;; amdgpu-corpus repo=ROCm/hipCUB kind=compiled arch=gfx1100 opt=O3
	.text
	.amdgcn_target "amdgcn-amd-amdhsa--gfx1100"
	.amdhsa_code_object_version 6
	.section	.text._Z6kernelI14inclusive_scanILN6hipcub18BlockScanAlgorithmE1EEiLj64ELj1ELj100EEvPKT0_PS4_S4_,"axG",@progbits,_Z6kernelI14inclusive_scanILN6hipcub18BlockScanAlgorithmE1EEiLj64ELj1ELj100EEvPKT0_PS4_S4_,comdat
	.protected	_Z6kernelI14inclusive_scanILN6hipcub18BlockScanAlgorithmE1EEiLj64ELj1ELj100EEvPKT0_PS4_S4_ ; -- Begin function _Z6kernelI14inclusive_scanILN6hipcub18BlockScanAlgorithmE1EEiLj64ELj1ELj100EEvPKT0_PS4_S4_
	.globl	_Z6kernelI14inclusive_scanILN6hipcub18BlockScanAlgorithmE1EEiLj64ELj1ELj100EEvPKT0_PS4_S4_
	.p2align	8
	.type	_Z6kernelI14inclusive_scanILN6hipcub18BlockScanAlgorithmE1EEiLj64ELj1ELj100EEvPKT0_PS4_S4_,@function
_Z6kernelI14inclusive_scanILN6hipcub18BlockScanAlgorithmE1EEiLj64ELj1ELj100EEvPKT0_PS4_S4_: ; @_Z6kernelI14inclusive_scanILN6hipcub18BlockScanAlgorithmE1EEiLj64ELj1ELj100EEvPKT0_PS4_S4_
; %bb.0:
	s_clause 0x1
	s_load_b32 s4, s[0:1], 0x24
	s_load_b128 s[0:3], s[0:1], 0x0
	v_lshrrev_b32_e32 v5, 5, v0
	v_lshlrev_b32_e32 v6, 1, v0
	v_lshrrev_b32_e32 v7, 4, v0
	s_delay_alu instid0(VALU_DEP_3) | instskip(NEXT) | instid1(VALU_DEP_2)
	v_add_lshl_u32 v5, v5, v0, 2
	v_add_lshl_u32 v6, v7, v6, 2
	s_waitcnt lgkmcnt(0)
	s_and_b32 s4, s4, 0xffff
	s_delay_alu instid0(SALU_CYCLE_1) | instskip(SKIP_2) | instid1(VALU_DEP_1)
	v_mad_u64_u32 v[1:2], null, s15, s4, v[0:1]
	v_mov_b32_e32 v2, 0
	s_movk_i32 s4, 0x64
	v_lshlrev_b64 v[1:2], 2, v[1:2]
	s_delay_alu instid0(VALU_DEP_1) | instskip(NEXT) | instid1(VALU_DEP_2)
	v_add_co_u32 v3, vcc_lo, s0, v1
	v_add_co_ci_u32_e32 v4, vcc_lo, s1, v2, vcc_lo
	v_cmp_gt_u32_e32 vcc_lo, 32, v0
	v_cmp_eq_u32_e64 s0, 0, v0
	global_load_b32 v3, v[3:4], off
	v_mbcnt_lo_u32_b32 v4, -1, 0
	s_delay_alu instid0(VALU_DEP_1)
	v_and_b32_e32 v0, 15, v4
	v_bfe_i32 v7, v4, 4, 1
	v_add_nc_u32_e32 v8, -1, v4
	s_branch .LBB0_2
.LBB0_1:                                ;   in Loop: Header=BB0_2 Depth=1
	s_or_b32 exec_lo, exec_lo, s5
	s_waitcnt lgkmcnt(0)
	s_barrier
	buffer_gl0_inv
	ds_load_b32 v3, v5
	s_add_i32 s4, s4, -1
	s_delay_alu instid0(SALU_CYCLE_1)
	s_cmp_lg_u32 s4, 0
	s_cbranch_scc0 .LBB0_4
.LBB0_2:                                ; =>This Inner Loop Header: Depth=1
	s_waitcnt vmcnt(0) lgkmcnt(0)
	ds_store_b32 v5, v3
	s_waitcnt lgkmcnt(0)
	s_barrier
	buffer_gl0_inv
	s_and_saveexec_b32 s5, vcc_lo
	s_cbranch_execz .LBB0_1
; %bb.3:                                ;   in Loop: Header=BB0_2 Depth=1
	ds_load_2addr_b32 v[9:10], v6 offset1:1
	v_cmp_ne_u32_e64 s1, 0, v0
	s_waitcnt lgkmcnt(0)
	v_add_nc_u32_e32 v11, v10, v9
	s_delay_alu instid0(VALU_DEP_1) | instskip(NEXT) | instid1(VALU_DEP_1)
	v_mov_b32_dpp v12, v11 row_shr:1 row_mask:0xf bank_mask:0xf
	v_cndmask_b32_e64 v12, 0, v12, s1
	v_cmp_lt_u32_e64 s1, 1, v0
	s_delay_alu instid0(VALU_DEP_2) | instskip(NEXT) | instid1(VALU_DEP_1)
	v_add_nc_u32_e32 v11, v12, v11
	v_mov_b32_dpp v12, v11 row_shr:2 row_mask:0xf bank_mask:0xf
	s_delay_alu instid0(VALU_DEP_1) | instskip(SKIP_1) | instid1(VALU_DEP_2)
	v_cndmask_b32_e64 v12, 0, v12, s1
	v_cmp_lt_u32_e64 s1, 3, v0
	v_add_nc_u32_e32 v11, v11, v12
	s_delay_alu instid0(VALU_DEP_1) | instskip(NEXT) | instid1(VALU_DEP_1)
	v_mov_b32_dpp v12, v11 row_shr:4 row_mask:0xf bank_mask:0xf
	v_cndmask_b32_e64 v12, 0, v12, s1
	v_cmp_lt_u32_e64 s1, 7, v0
	s_delay_alu instid0(VALU_DEP_2) | instskip(NEXT) | instid1(VALU_DEP_1)
	v_add_nc_u32_e32 v11, v11, v12
	v_mov_b32_dpp v12, v11 row_shr:8 row_mask:0xf bank_mask:0xf
	s_delay_alu instid0(VALU_DEP_1) | instskip(SKIP_1) | instid1(VALU_DEP_2)
	v_cndmask_b32_e64 v12, 0, v12, s1
	v_cmp_gt_i32_e64 s1, 0, v8
	v_add_nc_u32_e32 v11, v11, v12
	s_delay_alu instid0(VALU_DEP_2) | instskip(SKIP_3) | instid1(VALU_DEP_1)
	v_cndmask_b32_e64 v13, v8, v4, s1
	ds_swizzle_b32 v12, v11 offset:swizzle(BROADCAST,32,15)
	s_waitcnt lgkmcnt(0)
	v_and_b32_e32 v12, v7, v12
	v_add_nc_u32_e32 v11, v11, v12
	v_lshlrev_b32_e32 v12, 2, v13
	ds_bpermute_b32 v11, v12, v11
	s_waitcnt lgkmcnt(0)
	v_add_nc_u32_e32 v9, v11, v9
	s_delay_alu instid0(VALU_DEP_1) | instskip(NEXT) | instid1(VALU_DEP_1)
	v_cndmask_b32_e64 v3, v9, v3, s0
	v_add_nc_u32_e32 v9, v3, v10
	ds_store_2addr_b32 v6, v3, v9 offset1:1
	s_branch .LBB0_1
.LBB0_4:
	v_add_co_u32 v0, vcc_lo, s2, v1
	v_add_co_ci_u32_e32 v1, vcc_lo, s3, v2, vcc_lo
	s_waitcnt lgkmcnt(0)
	global_store_b32 v[0:1], v3, off
	s_nop 0
	s_sendmsg sendmsg(MSG_DEALLOC_VGPRS)
	s_endpgm
	.section	.rodata,"a",@progbits
	.p2align	6, 0x0
	.amdhsa_kernel _Z6kernelI14inclusive_scanILN6hipcub18BlockScanAlgorithmE1EEiLj64ELj1ELj100EEvPKT0_PS4_S4_
		.amdhsa_group_segment_fixed_size 264
		.amdhsa_private_segment_fixed_size 0
		.amdhsa_kernarg_size 280
		.amdhsa_user_sgpr_count 15
		.amdhsa_user_sgpr_dispatch_ptr 0
		.amdhsa_user_sgpr_queue_ptr 0
		.amdhsa_user_sgpr_kernarg_segment_ptr 1
		.amdhsa_user_sgpr_dispatch_id 0
		.amdhsa_user_sgpr_private_segment_size 0
		.amdhsa_wavefront_size32 1
		.amdhsa_uses_dynamic_stack 0
		.amdhsa_enable_private_segment 0
		.amdhsa_system_sgpr_workgroup_id_x 1
		.amdhsa_system_sgpr_workgroup_id_y 0
		.amdhsa_system_sgpr_workgroup_id_z 0
		.amdhsa_system_sgpr_workgroup_info 0
		.amdhsa_system_vgpr_workitem_id 0
		.amdhsa_next_free_vgpr 14
		.amdhsa_next_free_sgpr 16
		.amdhsa_reserve_vcc 1
		.amdhsa_float_round_mode_32 0
		.amdhsa_float_round_mode_16_64 0
		.amdhsa_float_denorm_mode_32 3
		.amdhsa_float_denorm_mode_16_64 3
		.amdhsa_dx10_clamp 1
		.amdhsa_ieee_mode 1
		.amdhsa_fp16_overflow 0
		.amdhsa_workgroup_processor_mode 1
		.amdhsa_memory_ordered 1
		.amdhsa_forward_progress 0
		.amdhsa_shared_vgpr_count 0
		.amdhsa_exception_fp_ieee_invalid_op 0
		.amdhsa_exception_fp_denorm_src 0
		.amdhsa_exception_fp_ieee_div_zero 0
		.amdhsa_exception_fp_ieee_overflow 0
		.amdhsa_exception_fp_ieee_underflow 0
		.amdhsa_exception_fp_ieee_inexact 0
		.amdhsa_exception_int_div_zero 0
	.end_amdhsa_kernel
	.section	.text._Z6kernelI14inclusive_scanILN6hipcub18BlockScanAlgorithmE1EEiLj64ELj1ELj100EEvPKT0_PS4_S4_,"axG",@progbits,_Z6kernelI14inclusive_scanILN6hipcub18BlockScanAlgorithmE1EEiLj64ELj1ELj100EEvPKT0_PS4_S4_,comdat
.Lfunc_end0:
	.size	_Z6kernelI14inclusive_scanILN6hipcub18BlockScanAlgorithmE1EEiLj64ELj1ELj100EEvPKT0_PS4_S4_, .Lfunc_end0-_Z6kernelI14inclusive_scanILN6hipcub18BlockScanAlgorithmE1EEiLj64ELj1ELj100EEvPKT0_PS4_S4_
                                        ; -- End function
	.section	.AMDGPU.csdata,"",@progbits
; Kernel info:
; codeLenInByte = 516
; NumSgprs: 18
; NumVgprs: 14
; ScratchSize: 0
; MemoryBound: 0
; FloatMode: 240
; IeeeMode: 1
; LDSByteSize: 264 bytes/workgroup (compile time only)
; SGPRBlocks: 2
; VGPRBlocks: 1
; NumSGPRsForWavesPerEU: 18
; NumVGPRsForWavesPerEU: 14
; Occupancy: 16
; WaveLimiterHint : 0
; COMPUTE_PGM_RSRC2:SCRATCH_EN: 0
; COMPUTE_PGM_RSRC2:USER_SGPR: 15
; COMPUTE_PGM_RSRC2:TRAP_HANDLER: 0
; COMPUTE_PGM_RSRC2:TGID_X_EN: 1
; COMPUTE_PGM_RSRC2:TGID_Y_EN: 0
; COMPUTE_PGM_RSRC2:TGID_Z_EN: 0
; COMPUTE_PGM_RSRC2:TIDIG_COMP_CNT: 0
	.section	.text._Z6kernelI14inclusive_scanILN6hipcub18BlockScanAlgorithmE1EEiLj64ELj3ELj100EEvPKT0_PS4_S4_,"axG",@progbits,_Z6kernelI14inclusive_scanILN6hipcub18BlockScanAlgorithmE1EEiLj64ELj3ELj100EEvPKT0_PS4_S4_,comdat
	.protected	_Z6kernelI14inclusive_scanILN6hipcub18BlockScanAlgorithmE1EEiLj64ELj3ELj100EEvPKT0_PS4_S4_ ; -- Begin function _Z6kernelI14inclusive_scanILN6hipcub18BlockScanAlgorithmE1EEiLj64ELj3ELj100EEvPKT0_PS4_S4_
	.globl	_Z6kernelI14inclusive_scanILN6hipcub18BlockScanAlgorithmE1EEiLj64ELj3ELj100EEvPKT0_PS4_S4_
	.p2align	8
	.type	_Z6kernelI14inclusive_scanILN6hipcub18BlockScanAlgorithmE1EEiLj64ELj3ELj100EEvPKT0_PS4_S4_,@function
_Z6kernelI14inclusive_scanILN6hipcub18BlockScanAlgorithmE1EEiLj64ELj3ELj100EEvPKT0_PS4_S4_: ; @_Z6kernelI14inclusive_scanILN6hipcub18BlockScanAlgorithmE1EEiLj64ELj3ELj100EEvPKT0_PS4_S4_
; %bb.0:
	s_clause 0x1
	s_load_b32 s2, s[0:1], 0x24
	s_load_b128 s[4:7], s[0:1], 0x0
	v_lshlrev_b32_e32 v13, 1, v0
	v_lshrrev_b32_e32 v14, 4, v0
	v_cmp_eq_u32_e64 s0, 0, v0
	v_cmp_ne_u32_e64 s1, 0, v0
	s_movk_i32 s3, 0x64
	s_waitcnt lgkmcnt(0)
	s_and_b32 s2, s2, 0xffff
	s_delay_alu instid0(SALU_CYCLE_1) | instskip(NEXT) | instid1(VALU_DEP_1)
	v_mad_u64_u32 v[1:2], null, s15, s2, v[0:1]
	v_lshl_add_u32 v3, v1, 1, v1
	s_delay_alu instid0(VALU_DEP_1) | instskip(NEXT) | instid1(VALU_DEP_1)
	v_dual_mov_b32 v4, 0 :: v_dual_add_nc_u32 v5, 1, v3
	v_mov_b32_e32 v6, v4
	v_lshlrev_b64 v[1:2], 2, v[3:4]
	v_add_nc_u32_e32 v3, 2, v3
	s_delay_alu instid0(VALU_DEP_3) | instskip(NEXT) | instid1(VALU_DEP_2)
	v_lshlrev_b64 v[5:6], 2, v[5:6]
	v_lshlrev_b64 v[3:4], 2, v[3:4]
	s_delay_alu instid0(VALU_DEP_4) | instskip(SKIP_1) | instid1(VALU_DEP_4)
	v_add_co_u32 v7, vcc_lo, s4, v1
	v_add_co_ci_u32_e32 v8, vcc_lo, s5, v2, vcc_lo
	v_add_co_u32 v9, vcc_lo, s4, v5
	v_add_co_ci_u32_e32 v10, vcc_lo, s5, v6, vcc_lo
	;; [unrolled: 2-line block ×3, first 2 shown]
	s_clause 0x2
	global_load_b32 v7, v[7:8], off
	global_load_b32 v8, v[9:10], off
	;; [unrolled: 1-line block ×3, first 2 shown]
	v_add_nc_u32_e32 v12, -1, v0
	v_lshrrev_b32_e32 v10, 5, v0
	v_mbcnt_lo_u32_b32 v11, -1, 0
	v_cmp_gt_u32_e32 vcc_lo, 32, v0
	s_delay_alu instid0(VALU_DEP_4) | instskip(NEXT) | instid1(VALU_DEP_4)
	v_lshrrev_b32_e32 v15, 5, v12
	v_add_lshl_u32 v10, v10, v0, 2
	v_add_lshl_u32 v0, v14, v13, 2
	v_and_b32_e32 v13, 15, v11
	v_bfe_i32 v14, v11, 4, 1
	v_add_lshl_u32 v12, v15, v12, 2
	v_add_nc_u32_e32 v15, -1, v11
	s_branch .LBB1_2
.LBB1_1:                                ;   in Loop: Header=BB1_2 Depth=1
	s_or_b32 exec_lo, exec_lo, s2
	s_waitcnt lgkmcnt(0)
	v_add_nc_u32_e32 v7, v16, v7
	s_add_i32 s3, s3, -1
	s_delay_alu instid0(SALU_CYCLE_1) | instskip(NEXT) | instid1(VALU_DEP_1)
	s_cmp_lg_u32 s3, 0
	v_add_nc_u32_e32 v8, v7, v8
	s_delay_alu instid0(VALU_DEP_1)
	v_add_nc_u32_e32 v9, v8, v9
	s_cbranch_scc0 .LBB1_6
.LBB1_2:                                ; =>This Inner Loop Header: Depth=1
	s_waitcnt vmcnt(0)
	s_delay_alu instid0(VALU_DEP_1)
	v_add3_u32 v16, v8, v7, v9
	ds_store_b32 v10, v16
	s_waitcnt lgkmcnt(0)
	s_barrier
	buffer_gl0_inv
	s_and_saveexec_b32 s4, vcc_lo
	s_cbranch_execz .LBB1_4
; %bb.3:                                ;   in Loop: Header=BB1_2 Depth=1
	ds_load_2addr_b32 v[17:18], v0 offset1:1
	v_cmp_ne_u32_e64 s2, 0, v13
	s_waitcnt lgkmcnt(0)
	v_add_nc_u32_e32 v19, v18, v17
	s_delay_alu instid0(VALU_DEP_1) | instskip(NEXT) | instid1(VALU_DEP_1)
	v_mov_b32_dpp v20, v19 row_shr:1 row_mask:0xf bank_mask:0xf
	v_cndmask_b32_e64 v20, 0, v20, s2
	v_cmp_lt_u32_e64 s2, 1, v13
	s_delay_alu instid0(VALU_DEP_2) | instskip(NEXT) | instid1(VALU_DEP_1)
	v_add_nc_u32_e32 v19, v20, v19
	v_mov_b32_dpp v20, v19 row_shr:2 row_mask:0xf bank_mask:0xf
	s_delay_alu instid0(VALU_DEP_1) | instskip(SKIP_1) | instid1(VALU_DEP_2)
	v_cndmask_b32_e64 v20, 0, v20, s2
	v_cmp_lt_u32_e64 s2, 3, v13
	v_add_nc_u32_e32 v19, v19, v20
	s_delay_alu instid0(VALU_DEP_1) | instskip(NEXT) | instid1(VALU_DEP_1)
	v_mov_b32_dpp v20, v19 row_shr:4 row_mask:0xf bank_mask:0xf
	v_cndmask_b32_e64 v20, 0, v20, s2
	v_cmp_lt_u32_e64 s2, 7, v13
	s_delay_alu instid0(VALU_DEP_2) | instskip(NEXT) | instid1(VALU_DEP_1)
	v_add_nc_u32_e32 v19, v19, v20
	v_mov_b32_dpp v20, v19 row_shr:8 row_mask:0xf bank_mask:0xf
	s_delay_alu instid0(VALU_DEP_1) | instskip(SKIP_1) | instid1(VALU_DEP_2)
	v_cndmask_b32_e64 v20, 0, v20, s2
	v_cmp_gt_i32_e64 s2, 0, v15
	v_add_nc_u32_e32 v19, v19, v20
	s_delay_alu instid0(VALU_DEP_2) | instskip(SKIP_3) | instid1(VALU_DEP_1)
	v_cndmask_b32_e64 v21, v15, v11, s2
	ds_swizzle_b32 v20, v19 offset:swizzle(BROADCAST,32,15)
	s_waitcnt lgkmcnt(0)
	v_and_b32_e32 v20, v14, v20
	v_add_nc_u32_e32 v19, v19, v20
	v_lshlrev_b32_e32 v20, 2, v21
	ds_bpermute_b32 v19, v20, v19
	s_waitcnt lgkmcnt(0)
	v_add_nc_u32_e32 v17, v19, v17
	s_delay_alu instid0(VALU_DEP_1) | instskip(NEXT) | instid1(VALU_DEP_1)
	v_cndmask_b32_e64 v16, v17, v16, s0
	v_add_nc_u32_e32 v17, v16, v18
	ds_store_2addr_b32 v0, v16, v17 offset1:1
.LBB1_4:                                ;   in Loop: Header=BB1_2 Depth=1
	s_or_b32 exec_lo, exec_lo, s4
	v_mov_b32_e32 v16, 0
	s_waitcnt lgkmcnt(0)
	s_barrier
	buffer_gl0_inv
	s_and_saveexec_b32 s2, s1
	s_cbranch_execz .LBB1_1
; %bb.5:                                ;   in Loop: Header=BB1_2 Depth=1
	ds_load_b32 v16, v12
	s_branch .LBB1_1
.LBB1_6:
	v_add_co_u32 v0, vcc_lo, s6, v1
	v_add_co_ci_u32_e32 v1, vcc_lo, s7, v2, vcc_lo
	v_add_co_u32 v5, vcc_lo, s6, v5
	v_add_co_ci_u32_e32 v6, vcc_lo, s7, v6, vcc_lo
	;; [unrolled: 2-line block ×3, first 2 shown]
	s_clause 0x2
	global_store_b32 v[0:1], v7, off
	global_store_b32 v[5:6], v8, off
	;; [unrolled: 1-line block ×3, first 2 shown]
	s_nop 0
	s_sendmsg sendmsg(MSG_DEALLOC_VGPRS)
	s_endpgm
	.section	.rodata,"a",@progbits
	.p2align	6, 0x0
	.amdhsa_kernel _Z6kernelI14inclusive_scanILN6hipcub18BlockScanAlgorithmE1EEiLj64ELj3ELj100EEvPKT0_PS4_S4_
		.amdhsa_group_segment_fixed_size 264
		.amdhsa_private_segment_fixed_size 0
		.amdhsa_kernarg_size 280
		.amdhsa_user_sgpr_count 15
		.amdhsa_user_sgpr_dispatch_ptr 0
		.amdhsa_user_sgpr_queue_ptr 0
		.amdhsa_user_sgpr_kernarg_segment_ptr 1
		.amdhsa_user_sgpr_dispatch_id 0
		.amdhsa_user_sgpr_private_segment_size 0
		.amdhsa_wavefront_size32 1
		.amdhsa_uses_dynamic_stack 0
		.amdhsa_enable_private_segment 0
		.amdhsa_system_sgpr_workgroup_id_x 1
		.amdhsa_system_sgpr_workgroup_id_y 0
		.amdhsa_system_sgpr_workgroup_id_z 0
		.amdhsa_system_sgpr_workgroup_info 0
		.amdhsa_system_vgpr_workitem_id 0
		.amdhsa_next_free_vgpr 22
		.amdhsa_next_free_sgpr 16
		.amdhsa_reserve_vcc 1
		.amdhsa_float_round_mode_32 0
		.amdhsa_float_round_mode_16_64 0
		.amdhsa_float_denorm_mode_32 3
		.amdhsa_float_denorm_mode_16_64 3
		.amdhsa_dx10_clamp 1
		.amdhsa_ieee_mode 1
		.amdhsa_fp16_overflow 0
		.amdhsa_workgroup_processor_mode 1
		.amdhsa_memory_ordered 1
		.amdhsa_forward_progress 0
		.amdhsa_shared_vgpr_count 0
		.amdhsa_exception_fp_ieee_invalid_op 0
		.amdhsa_exception_fp_denorm_src 0
		.amdhsa_exception_fp_ieee_div_zero 0
		.amdhsa_exception_fp_ieee_overflow 0
		.amdhsa_exception_fp_ieee_underflow 0
		.amdhsa_exception_fp_ieee_inexact 0
		.amdhsa_exception_int_div_zero 0
	.end_amdhsa_kernel
	.section	.text._Z6kernelI14inclusive_scanILN6hipcub18BlockScanAlgorithmE1EEiLj64ELj3ELj100EEvPKT0_PS4_S4_,"axG",@progbits,_Z6kernelI14inclusive_scanILN6hipcub18BlockScanAlgorithmE1EEiLj64ELj3ELj100EEvPKT0_PS4_S4_,comdat
.Lfunc_end1:
	.size	_Z6kernelI14inclusive_scanILN6hipcub18BlockScanAlgorithmE1EEiLj64ELj3ELj100EEvPKT0_PS4_S4_, .Lfunc_end1-_Z6kernelI14inclusive_scanILN6hipcub18BlockScanAlgorithmE1EEiLj64ELj3ELj100EEvPKT0_PS4_S4_
                                        ; -- End function
	.section	.AMDGPU.csdata,"",@progbits
; Kernel info:
; codeLenInByte = 712
; NumSgprs: 18
; NumVgprs: 22
; ScratchSize: 0
; MemoryBound: 0
; FloatMode: 240
; IeeeMode: 1
; LDSByteSize: 264 bytes/workgroup (compile time only)
; SGPRBlocks: 2
; VGPRBlocks: 2
; NumSGPRsForWavesPerEU: 18
; NumVGPRsForWavesPerEU: 22
; Occupancy: 16
; WaveLimiterHint : 0
; COMPUTE_PGM_RSRC2:SCRATCH_EN: 0
; COMPUTE_PGM_RSRC2:USER_SGPR: 15
; COMPUTE_PGM_RSRC2:TRAP_HANDLER: 0
; COMPUTE_PGM_RSRC2:TGID_X_EN: 1
; COMPUTE_PGM_RSRC2:TGID_Y_EN: 0
; COMPUTE_PGM_RSRC2:TGID_Z_EN: 0
; COMPUTE_PGM_RSRC2:TIDIG_COMP_CNT: 0
	.section	.text._Z6kernelI14inclusive_scanILN6hipcub18BlockScanAlgorithmE1EEiLj64ELj4ELj100EEvPKT0_PS4_S4_,"axG",@progbits,_Z6kernelI14inclusive_scanILN6hipcub18BlockScanAlgorithmE1EEiLj64ELj4ELj100EEvPKT0_PS4_S4_,comdat
	.protected	_Z6kernelI14inclusive_scanILN6hipcub18BlockScanAlgorithmE1EEiLj64ELj4ELj100EEvPKT0_PS4_S4_ ; -- Begin function _Z6kernelI14inclusive_scanILN6hipcub18BlockScanAlgorithmE1EEiLj64ELj4ELj100EEvPKT0_PS4_S4_
	.globl	_Z6kernelI14inclusive_scanILN6hipcub18BlockScanAlgorithmE1EEiLj64ELj4ELj100EEvPKT0_PS4_S4_
	.p2align	8
	.type	_Z6kernelI14inclusive_scanILN6hipcub18BlockScanAlgorithmE1EEiLj64ELj4ELj100EEvPKT0_PS4_S4_,@function
_Z6kernelI14inclusive_scanILN6hipcub18BlockScanAlgorithmE1EEiLj64ELj4ELj100EEvPKT0_PS4_S4_: ; @_Z6kernelI14inclusive_scanILN6hipcub18BlockScanAlgorithmE1EEiLj64ELj4ELj100EEvPKT0_PS4_S4_
; %bb.0:
	s_clause 0x1
	s_load_b32 s2, s[0:1], 0x24
	s_load_b128 s[4:7], s[0:1], 0x0
	v_dual_mov_b32 v2, 0 :: v_dual_add_nc_u32 v9, -1, v0
	v_lshrrev_b32_e32 v7, 5, v0
	v_lshlrev_b32_e32 v10, 1, v0
	v_lshrrev_b32_e32 v11, 4, v0
	v_mbcnt_lo_u32_b32 v8, -1, 0
	v_lshrrev_b32_e32 v12, 5, v9
	v_add_lshl_u32 v7, v7, v0, 2
	v_cmp_ne_u32_e64 s1, 0, v0
	s_movk_i32 s3, 0x64
	s_delay_alu instid0(VALU_DEP_3) | instskip(SKIP_3) | instid1(SALU_CYCLE_1)
	v_add_lshl_u32 v9, v12, v9, 2
	v_add_nc_u32_e32 v12, -1, v8
	s_waitcnt lgkmcnt(0)
	s_and_b32 s0, s2, 0xffff
	s_mul_i32 s15, s15, s0
	v_cmp_eq_u32_e64 s0, 0, v0
	v_add_lshl_u32 v1, s15, v0, 2
	s_delay_alu instid0(VALU_DEP_1) | instskip(NEXT) | instid1(VALU_DEP_1)
	v_lshlrev_b64 v[5:6], 2, v[1:2]
	v_add_co_u32 v1, vcc_lo, s4, v5
	s_delay_alu instid0(VALU_DEP_2)
	v_add_co_ci_u32_e32 v2, vcc_lo, s5, v6, vcc_lo
	v_cmp_gt_u32_e32 vcc_lo, 32, v0
	v_add_lshl_u32 v0, v11, v10, 2
	v_and_b32_e32 v10, 15, v8
	global_load_b128 v[1:4], v[1:2], off
	v_bfe_i32 v11, v8, 4, 1
	s_branch .LBB2_2
.LBB2_1:                                ;   in Loop: Header=BB2_2 Depth=1
	s_or_b32 exec_lo, exec_lo, s2
	s_waitcnt lgkmcnt(0)
	v_add_nc_u32_e32 v1, v13, v1
	s_add_i32 s3, s3, -1
	s_delay_alu instid0(SALU_CYCLE_1) | instskip(NEXT) | instid1(VALU_DEP_1)
	s_cmp_lg_u32 s3, 0
	v_add_nc_u32_e32 v2, v1, v2
	s_delay_alu instid0(VALU_DEP_1) | instskip(NEXT) | instid1(VALU_DEP_1)
	v_add_nc_u32_e32 v3, v2, v3
	v_add_nc_u32_e32 v4, v3, v4
	s_cbranch_scc0 .LBB2_6
.LBB2_2:                                ; =>This Inner Loop Header: Depth=1
	s_waitcnt vmcnt(0)
	v_add_nc_u32_e32 v13, v2, v1
	s_delay_alu instid0(VALU_DEP_1)
	v_add3_u32 v13, v13, v3, v4
	ds_store_b32 v7, v13
	s_waitcnt lgkmcnt(0)
	s_barrier
	buffer_gl0_inv
	s_and_saveexec_b32 s4, vcc_lo
	s_cbranch_execz .LBB2_4
; %bb.3:                                ;   in Loop: Header=BB2_2 Depth=1
	ds_load_2addr_b32 v[14:15], v0 offset1:1
	v_cmp_ne_u32_e64 s2, 0, v10
	s_waitcnt lgkmcnt(0)
	v_add_nc_u32_e32 v16, v15, v14
	s_delay_alu instid0(VALU_DEP_1) | instskip(NEXT) | instid1(VALU_DEP_1)
	v_mov_b32_dpp v17, v16 row_shr:1 row_mask:0xf bank_mask:0xf
	v_cndmask_b32_e64 v17, 0, v17, s2
	v_cmp_lt_u32_e64 s2, 1, v10
	s_delay_alu instid0(VALU_DEP_2) | instskip(NEXT) | instid1(VALU_DEP_1)
	v_add_nc_u32_e32 v16, v17, v16
	v_mov_b32_dpp v17, v16 row_shr:2 row_mask:0xf bank_mask:0xf
	s_delay_alu instid0(VALU_DEP_1) | instskip(SKIP_1) | instid1(VALU_DEP_2)
	v_cndmask_b32_e64 v17, 0, v17, s2
	v_cmp_lt_u32_e64 s2, 3, v10
	v_add_nc_u32_e32 v16, v16, v17
	s_delay_alu instid0(VALU_DEP_1) | instskip(NEXT) | instid1(VALU_DEP_1)
	v_mov_b32_dpp v17, v16 row_shr:4 row_mask:0xf bank_mask:0xf
	v_cndmask_b32_e64 v17, 0, v17, s2
	v_cmp_lt_u32_e64 s2, 7, v10
	s_delay_alu instid0(VALU_DEP_2) | instskip(NEXT) | instid1(VALU_DEP_1)
	v_add_nc_u32_e32 v16, v16, v17
	v_mov_b32_dpp v17, v16 row_shr:8 row_mask:0xf bank_mask:0xf
	s_delay_alu instid0(VALU_DEP_1) | instskip(SKIP_1) | instid1(VALU_DEP_2)
	v_cndmask_b32_e64 v17, 0, v17, s2
	v_cmp_gt_i32_e64 s2, 0, v12
	v_add_nc_u32_e32 v16, v16, v17
	s_delay_alu instid0(VALU_DEP_2) | instskip(SKIP_3) | instid1(VALU_DEP_1)
	v_cndmask_b32_e64 v18, v12, v8, s2
	ds_swizzle_b32 v17, v16 offset:swizzle(BROADCAST,32,15)
	s_waitcnt lgkmcnt(0)
	v_and_b32_e32 v17, v11, v17
	v_add_nc_u32_e32 v16, v16, v17
	v_lshlrev_b32_e32 v17, 2, v18
	ds_bpermute_b32 v16, v17, v16
	s_waitcnt lgkmcnt(0)
	v_add_nc_u32_e32 v14, v16, v14
	s_delay_alu instid0(VALU_DEP_1) | instskip(NEXT) | instid1(VALU_DEP_1)
	v_cndmask_b32_e64 v13, v14, v13, s0
	v_add_nc_u32_e32 v14, v13, v15
	ds_store_2addr_b32 v0, v13, v14 offset1:1
.LBB2_4:                                ;   in Loop: Header=BB2_2 Depth=1
	s_or_b32 exec_lo, exec_lo, s4
	v_mov_b32_e32 v13, 0
	s_waitcnt lgkmcnt(0)
	s_barrier
	buffer_gl0_inv
	s_and_saveexec_b32 s2, s1
	s_cbranch_execz .LBB2_1
; %bb.5:                                ;   in Loop: Header=BB2_2 Depth=1
	ds_load_b32 v13, v9
	s_branch .LBB2_1
.LBB2_6:
	v_add_co_u32 v5, vcc_lo, s6, v5
	v_add_co_ci_u32_e32 v6, vcc_lo, s7, v6, vcc_lo
	global_store_b128 v[5:6], v[1:4], off
	s_nop 0
	s_sendmsg sendmsg(MSG_DEALLOC_VGPRS)
	s_endpgm
	.section	.rodata,"a",@progbits
	.p2align	6, 0x0
	.amdhsa_kernel _Z6kernelI14inclusive_scanILN6hipcub18BlockScanAlgorithmE1EEiLj64ELj4ELj100EEvPKT0_PS4_S4_
		.amdhsa_group_segment_fixed_size 264
		.amdhsa_private_segment_fixed_size 0
		.amdhsa_kernarg_size 280
		.amdhsa_user_sgpr_count 15
		.amdhsa_user_sgpr_dispatch_ptr 0
		.amdhsa_user_sgpr_queue_ptr 0
		.amdhsa_user_sgpr_kernarg_segment_ptr 1
		.amdhsa_user_sgpr_dispatch_id 0
		.amdhsa_user_sgpr_private_segment_size 0
		.amdhsa_wavefront_size32 1
		.amdhsa_uses_dynamic_stack 0
		.amdhsa_enable_private_segment 0
		.amdhsa_system_sgpr_workgroup_id_x 1
		.amdhsa_system_sgpr_workgroup_id_y 0
		.amdhsa_system_sgpr_workgroup_id_z 0
		.amdhsa_system_sgpr_workgroup_info 0
		.amdhsa_system_vgpr_workitem_id 0
		.amdhsa_next_free_vgpr 19
		.amdhsa_next_free_sgpr 16
		.amdhsa_reserve_vcc 1
		.amdhsa_float_round_mode_32 0
		.amdhsa_float_round_mode_16_64 0
		.amdhsa_float_denorm_mode_32 3
		.amdhsa_float_denorm_mode_16_64 3
		.amdhsa_dx10_clamp 1
		.amdhsa_ieee_mode 1
		.amdhsa_fp16_overflow 0
		.amdhsa_workgroup_processor_mode 1
		.amdhsa_memory_ordered 1
		.amdhsa_forward_progress 0
		.amdhsa_shared_vgpr_count 0
		.amdhsa_exception_fp_ieee_invalid_op 0
		.amdhsa_exception_fp_denorm_src 0
		.amdhsa_exception_fp_ieee_div_zero 0
		.amdhsa_exception_fp_ieee_overflow 0
		.amdhsa_exception_fp_ieee_underflow 0
		.amdhsa_exception_fp_ieee_inexact 0
		.amdhsa_exception_int_div_zero 0
	.end_amdhsa_kernel
	.section	.text._Z6kernelI14inclusive_scanILN6hipcub18BlockScanAlgorithmE1EEiLj64ELj4ELj100EEvPKT0_PS4_S4_,"axG",@progbits,_Z6kernelI14inclusive_scanILN6hipcub18BlockScanAlgorithmE1EEiLj64ELj4ELj100EEvPKT0_PS4_S4_,comdat
.Lfunc_end2:
	.size	_Z6kernelI14inclusive_scanILN6hipcub18BlockScanAlgorithmE1EEiLj64ELj4ELj100EEvPKT0_PS4_S4_, .Lfunc_end2-_Z6kernelI14inclusive_scanILN6hipcub18BlockScanAlgorithmE1EEiLj64ELj4ELj100EEvPKT0_PS4_S4_
                                        ; -- End function
	.section	.AMDGPU.csdata,"",@progbits
; Kernel info:
; codeLenInByte = 592
; NumSgprs: 18
; NumVgprs: 19
; ScratchSize: 0
; MemoryBound: 0
; FloatMode: 240
; IeeeMode: 1
; LDSByteSize: 264 bytes/workgroup (compile time only)
; SGPRBlocks: 2
; VGPRBlocks: 2
; NumSGPRsForWavesPerEU: 18
; NumVGPRsForWavesPerEU: 19
; Occupancy: 16
; WaveLimiterHint : 0
; COMPUTE_PGM_RSRC2:SCRATCH_EN: 0
; COMPUTE_PGM_RSRC2:USER_SGPR: 15
; COMPUTE_PGM_RSRC2:TRAP_HANDLER: 0
; COMPUTE_PGM_RSRC2:TGID_X_EN: 1
; COMPUTE_PGM_RSRC2:TGID_Y_EN: 0
; COMPUTE_PGM_RSRC2:TGID_Z_EN: 0
; COMPUTE_PGM_RSRC2:TIDIG_COMP_CNT: 0
	.section	.text._Z6kernelI14inclusive_scanILN6hipcub18BlockScanAlgorithmE1EEiLj64ELj8ELj100EEvPKT0_PS4_S4_,"axG",@progbits,_Z6kernelI14inclusive_scanILN6hipcub18BlockScanAlgorithmE1EEiLj64ELj8ELj100EEvPKT0_PS4_S4_,comdat
	.protected	_Z6kernelI14inclusive_scanILN6hipcub18BlockScanAlgorithmE1EEiLj64ELj8ELj100EEvPKT0_PS4_S4_ ; -- Begin function _Z6kernelI14inclusive_scanILN6hipcub18BlockScanAlgorithmE1EEiLj64ELj8ELj100EEvPKT0_PS4_S4_
	.globl	_Z6kernelI14inclusive_scanILN6hipcub18BlockScanAlgorithmE1EEiLj64ELj8ELj100EEvPKT0_PS4_S4_
	.p2align	8
	.type	_Z6kernelI14inclusive_scanILN6hipcub18BlockScanAlgorithmE1EEiLj64ELj8ELj100EEvPKT0_PS4_S4_,@function
_Z6kernelI14inclusive_scanILN6hipcub18BlockScanAlgorithmE1EEiLj64ELj8ELj100EEvPKT0_PS4_S4_: ; @_Z6kernelI14inclusive_scanILN6hipcub18BlockScanAlgorithmE1EEiLj64ELj8ELj100EEvPKT0_PS4_S4_
; %bb.0:
	s_clause 0x1
	s_load_b32 s2, s[0:1], 0x24
	s_load_b128 s[4:7], s[0:1], 0x0
	v_dual_mov_b32 v2, 0 :: v_dual_add_nc_u32 v13, -1, v0
	v_lshrrev_b32_e32 v11, 5, v0
	v_lshlrev_b32_e32 v14, 1, v0
	v_lshrrev_b32_e32 v15, 4, v0
	v_mbcnt_lo_u32_b32 v12, -1, 0
	v_lshrrev_b32_e32 v16, 5, v13
	v_add_lshl_u32 v11, v11, v0, 2
	v_cmp_ne_u32_e64 s1, 0, v0
	s_movk_i32 s3, 0x64
	s_delay_alu instid0(VALU_DEP_3) | instskip(SKIP_3) | instid1(SALU_CYCLE_1)
	v_add_lshl_u32 v13, v16, v13, 2
	v_add_nc_u32_e32 v16, -1, v12
	s_waitcnt lgkmcnt(0)
	s_and_b32 s0, s2, 0xffff
	s_mul_i32 s15, s15, s0
	v_cmp_eq_u32_e64 s0, 0, v0
	v_add_lshl_u32 v1, s15, v0, 3
	s_delay_alu instid0(VALU_DEP_1) | instskip(NEXT) | instid1(VALU_DEP_1)
	v_lshlrev_b64 v[9:10], 2, v[1:2]
	v_add_co_u32 v1, vcc_lo, s4, v9
	s_delay_alu instid0(VALU_DEP_2)
	v_add_co_ci_u32_e32 v2, vcc_lo, s5, v10, vcc_lo
	v_cmp_gt_u32_e32 vcc_lo, 32, v0
	v_add_lshl_u32 v0, v15, v14, 2
	v_and_b32_e32 v14, 15, v12
	s_clause 0x1
	global_load_b128 v[5:8], v[1:2], off
	global_load_b128 v[1:4], v[1:2], off offset:16
	v_bfe_i32 v15, v12, 4, 1
	s_branch .LBB3_2
.LBB3_1:                                ;   in Loop: Header=BB3_2 Depth=1
	s_or_b32 exec_lo, exec_lo, s2
	s_waitcnt lgkmcnt(0)
	v_add_nc_u32_e32 v5, v17, v5
	s_add_i32 s3, s3, -1
	s_delay_alu instid0(SALU_CYCLE_1) | instskip(NEXT) | instid1(VALU_DEP_1)
	s_cmp_lg_u32 s3, 0
	v_add_nc_u32_e32 v6, v5, v6
	s_delay_alu instid0(VALU_DEP_1) | instskip(NEXT) | instid1(VALU_DEP_1)
	v_add_nc_u32_e32 v7, v6, v7
	v_add_nc_u32_e32 v8, v7, v8
	s_delay_alu instid0(VALU_DEP_1) | instskip(NEXT) | instid1(VALU_DEP_1)
	v_add_nc_u32_e32 v1, v8, v1
	;; [unrolled: 3-line block ×3, first 2 shown]
	v_add_nc_u32_e32 v4, v3, v4
	s_cbranch_scc0 .LBB3_6
.LBB3_2:                                ; =>This Inner Loop Header: Depth=1
	s_waitcnt vmcnt(1)
	v_add_nc_u32_e32 v17, v6, v5
	s_delay_alu instid0(VALU_DEP_1) | instskip(SKIP_1) | instid1(VALU_DEP_1)
	v_add3_u32 v17, v17, v7, v8
	s_waitcnt vmcnt(0)
	v_add3_u32 v17, v17, v1, v2
	s_delay_alu instid0(VALU_DEP_1)
	v_add3_u32 v17, v17, v3, v4
	ds_store_b32 v11, v17
	s_waitcnt lgkmcnt(0)
	s_barrier
	buffer_gl0_inv
	s_and_saveexec_b32 s4, vcc_lo
	s_cbranch_execz .LBB3_4
; %bb.3:                                ;   in Loop: Header=BB3_2 Depth=1
	ds_load_2addr_b32 v[18:19], v0 offset1:1
	v_cmp_ne_u32_e64 s2, 0, v14
	s_waitcnt lgkmcnt(0)
	v_add_nc_u32_e32 v20, v19, v18
	s_delay_alu instid0(VALU_DEP_1) | instskip(NEXT) | instid1(VALU_DEP_1)
	v_mov_b32_dpp v21, v20 row_shr:1 row_mask:0xf bank_mask:0xf
	v_cndmask_b32_e64 v21, 0, v21, s2
	v_cmp_lt_u32_e64 s2, 1, v14
	s_delay_alu instid0(VALU_DEP_2) | instskip(NEXT) | instid1(VALU_DEP_1)
	v_add_nc_u32_e32 v20, v21, v20
	v_mov_b32_dpp v21, v20 row_shr:2 row_mask:0xf bank_mask:0xf
	s_delay_alu instid0(VALU_DEP_1) | instskip(SKIP_1) | instid1(VALU_DEP_2)
	v_cndmask_b32_e64 v21, 0, v21, s2
	v_cmp_lt_u32_e64 s2, 3, v14
	v_add_nc_u32_e32 v20, v20, v21
	s_delay_alu instid0(VALU_DEP_1) | instskip(NEXT) | instid1(VALU_DEP_1)
	v_mov_b32_dpp v21, v20 row_shr:4 row_mask:0xf bank_mask:0xf
	v_cndmask_b32_e64 v21, 0, v21, s2
	v_cmp_lt_u32_e64 s2, 7, v14
	s_delay_alu instid0(VALU_DEP_2) | instskip(NEXT) | instid1(VALU_DEP_1)
	v_add_nc_u32_e32 v20, v20, v21
	v_mov_b32_dpp v21, v20 row_shr:8 row_mask:0xf bank_mask:0xf
	s_delay_alu instid0(VALU_DEP_1) | instskip(SKIP_1) | instid1(VALU_DEP_2)
	v_cndmask_b32_e64 v21, 0, v21, s2
	v_cmp_gt_i32_e64 s2, 0, v16
	v_add_nc_u32_e32 v20, v20, v21
	s_delay_alu instid0(VALU_DEP_2) | instskip(SKIP_3) | instid1(VALU_DEP_1)
	v_cndmask_b32_e64 v22, v16, v12, s2
	ds_swizzle_b32 v21, v20 offset:swizzle(BROADCAST,32,15)
	s_waitcnt lgkmcnt(0)
	v_and_b32_e32 v21, v15, v21
	v_add_nc_u32_e32 v20, v20, v21
	v_lshlrev_b32_e32 v21, 2, v22
	ds_bpermute_b32 v20, v21, v20
	s_waitcnt lgkmcnt(0)
	v_add_nc_u32_e32 v18, v20, v18
	s_delay_alu instid0(VALU_DEP_1) | instskip(NEXT) | instid1(VALU_DEP_1)
	v_cndmask_b32_e64 v17, v18, v17, s0
	v_add_nc_u32_e32 v18, v17, v19
	ds_store_2addr_b32 v0, v17, v18 offset1:1
.LBB3_4:                                ;   in Loop: Header=BB3_2 Depth=1
	s_or_b32 exec_lo, exec_lo, s4
	v_mov_b32_e32 v17, 0
	s_waitcnt lgkmcnt(0)
	s_barrier
	buffer_gl0_inv
	s_and_saveexec_b32 s2, s1
	s_cbranch_execz .LBB3_1
; %bb.5:                                ;   in Loop: Header=BB3_2 Depth=1
	ds_load_b32 v17, v13
	s_branch .LBB3_1
.LBB3_6:
	v_add_co_u32 v9, vcc_lo, s6, v9
	v_add_co_ci_u32_e32 v10, vcc_lo, s7, v10, vcc_lo
	s_clause 0x1
	global_store_b128 v[9:10], v[5:8], off
	global_store_b128 v[9:10], v[1:4], off offset:16
	s_nop 0
	s_sendmsg sendmsg(MSG_DEALLOC_VGPRS)
	s_endpgm
	.section	.rodata,"a",@progbits
	.p2align	6, 0x0
	.amdhsa_kernel _Z6kernelI14inclusive_scanILN6hipcub18BlockScanAlgorithmE1EEiLj64ELj8ELj100EEvPKT0_PS4_S4_
		.amdhsa_group_segment_fixed_size 264
		.amdhsa_private_segment_fixed_size 0
		.amdhsa_kernarg_size 280
		.amdhsa_user_sgpr_count 15
		.amdhsa_user_sgpr_dispatch_ptr 0
		.amdhsa_user_sgpr_queue_ptr 0
		.amdhsa_user_sgpr_kernarg_segment_ptr 1
		.amdhsa_user_sgpr_dispatch_id 0
		.amdhsa_user_sgpr_private_segment_size 0
		.amdhsa_wavefront_size32 1
		.amdhsa_uses_dynamic_stack 0
		.amdhsa_enable_private_segment 0
		.amdhsa_system_sgpr_workgroup_id_x 1
		.amdhsa_system_sgpr_workgroup_id_y 0
		.amdhsa_system_sgpr_workgroup_id_z 0
		.amdhsa_system_sgpr_workgroup_info 0
		.amdhsa_system_vgpr_workitem_id 0
		.amdhsa_next_free_vgpr 23
		.amdhsa_next_free_sgpr 16
		.amdhsa_reserve_vcc 1
		.amdhsa_float_round_mode_32 0
		.amdhsa_float_round_mode_16_64 0
		.amdhsa_float_denorm_mode_32 3
		.amdhsa_float_denorm_mode_16_64 3
		.amdhsa_dx10_clamp 1
		.amdhsa_ieee_mode 1
		.amdhsa_fp16_overflow 0
		.amdhsa_workgroup_processor_mode 1
		.amdhsa_memory_ordered 1
		.amdhsa_forward_progress 0
		.amdhsa_shared_vgpr_count 0
		.amdhsa_exception_fp_ieee_invalid_op 0
		.amdhsa_exception_fp_denorm_src 0
		.amdhsa_exception_fp_ieee_div_zero 0
		.amdhsa_exception_fp_ieee_overflow 0
		.amdhsa_exception_fp_ieee_underflow 0
		.amdhsa_exception_fp_ieee_inexact 0
		.amdhsa_exception_int_div_zero 0
	.end_amdhsa_kernel
	.section	.text._Z6kernelI14inclusive_scanILN6hipcub18BlockScanAlgorithmE1EEiLj64ELj8ELj100EEvPKT0_PS4_S4_,"axG",@progbits,_Z6kernelI14inclusive_scanILN6hipcub18BlockScanAlgorithmE1EEiLj64ELj8ELj100EEvPKT0_PS4_S4_,comdat
.Lfunc_end3:
	.size	_Z6kernelI14inclusive_scanILN6hipcub18BlockScanAlgorithmE1EEiLj64ELj8ELj100EEvPKT0_PS4_S4_, .Lfunc_end3-_Z6kernelI14inclusive_scanILN6hipcub18BlockScanAlgorithmE1EEiLj64ELj8ELj100EEvPKT0_PS4_S4_
                                        ; -- End function
	.section	.AMDGPU.csdata,"",@progbits
; Kernel info:
; codeLenInByte = 664
; NumSgprs: 18
; NumVgprs: 23
; ScratchSize: 0
; MemoryBound: 0
; FloatMode: 240
; IeeeMode: 1
; LDSByteSize: 264 bytes/workgroup (compile time only)
; SGPRBlocks: 2
; VGPRBlocks: 2
; NumSGPRsForWavesPerEU: 18
; NumVGPRsForWavesPerEU: 23
; Occupancy: 16
; WaveLimiterHint : 0
; COMPUTE_PGM_RSRC2:SCRATCH_EN: 0
; COMPUTE_PGM_RSRC2:USER_SGPR: 15
; COMPUTE_PGM_RSRC2:TRAP_HANDLER: 0
; COMPUTE_PGM_RSRC2:TGID_X_EN: 1
; COMPUTE_PGM_RSRC2:TGID_Y_EN: 0
; COMPUTE_PGM_RSRC2:TGID_Z_EN: 0
; COMPUTE_PGM_RSRC2:TIDIG_COMP_CNT: 0
	.section	.text._Z6kernelI14inclusive_scanILN6hipcub18BlockScanAlgorithmE1EEiLj64ELj11ELj100EEvPKT0_PS4_S4_,"axG",@progbits,_Z6kernelI14inclusive_scanILN6hipcub18BlockScanAlgorithmE1EEiLj64ELj11ELj100EEvPKT0_PS4_S4_,comdat
	.protected	_Z6kernelI14inclusive_scanILN6hipcub18BlockScanAlgorithmE1EEiLj64ELj11ELj100EEvPKT0_PS4_S4_ ; -- Begin function _Z6kernelI14inclusive_scanILN6hipcub18BlockScanAlgorithmE1EEiLj64ELj11ELj100EEvPKT0_PS4_S4_
	.globl	_Z6kernelI14inclusive_scanILN6hipcub18BlockScanAlgorithmE1EEiLj64ELj11ELj100EEvPKT0_PS4_S4_
	.p2align	8
	.type	_Z6kernelI14inclusive_scanILN6hipcub18BlockScanAlgorithmE1EEiLj64ELj11ELj100EEvPKT0_PS4_S4_,@function
_Z6kernelI14inclusive_scanILN6hipcub18BlockScanAlgorithmE1EEiLj64ELj11ELj100EEvPKT0_PS4_S4_: ; @_Z6kernelI14inclusive_scanILN6hipcub18BlockScanAlgorithmE1EEiLj64ELj11ELj100EEvPKT0_PS4_S4_
; %bb.0:
	s_clause 0x1
	s_load_b32 s2, s[0:1], 0x24
	s_load_b128 s[4:7], s[0:1], 0x0
	v_cmp_eq_u32_e64 s0, 0, v0
	v_cmp_ne_u32_e64 s1, 0, v0
	s_movk_i32 s3, 0x64
	s_waitcnt lgkmcnt(0)
	s_and_b32 s2, s2, 0xffff
	s_delay_alu instid0(SALU_CYCLE_1) | instskip(NEXT) | instid1(VALU_DEP_1)
	v_mad_u64_u32 v[1:2], null, s15, s2, v[0:1]
	v_mul_lo_u32 v21, v1, 11
	s_delay_alu instid0(VALU_DEP_1) | instskip(NEXT) | instid1(VALU_DEP_1)
	v_dual_mov_b32 v22, 0 :: v_dual_add_nc_u32 v1, 1, v21
	v_dual_mov_b32 v2, v22 :: v_dual_add_nc_u32 v3, 2, v21
	v_lshlrev_b64 v[15:16], 2, v[21:22]
	v_dual_mov_b32 v4, v22 :: v_dual_add_nc_u32 v5, 3, v21
	s_delay_alu instid0(VALU_DEP_3) | instskip(SKIP_1) | instid1(VALU_DEP_3)
	v_lshlrev_b64 v[17:18], 2, v[1:2]
	v_dual_mov_b32 v6, v22 :: v_dual_add_nc_u32 v7, 4, v21
	v_lshlrev_b64 v[13:14], 2, v[3:4]
	v_add_co_u32 v25, vcc_lo, s4, v15
	v_dual_mov_b32 v8, v22 :: v_dual_add_nc_u32 v11, 5, v21
	v_add_co_ci_u32_e32 v26, vcc_lo, s5, v16, vcc_lo
	v_lshlrev_b64 v[9:10], 2, v[5:6]
	v_add_co_u32 v27, vcc_lo, s4, v17
	v_dual_mov_b32 v12, v22 :: v_dual_add_nc_u32 v19, 6, v21
	v_add_co_ci_u32_e32 v28, vcc_lo, s5, v18, vcc_lo
	;; [unrolled: 4-line block ×4, first 2 shown]
	v_lshlrev_b64 v[1:2], 2, v[19:20]
	v_add_co_u32 v36, vcc_lo, s4, v5
	v_add_co_ci_u32_e32 v37, vcc_lo, s5, v6, vcc_lo
	v_add_co_u32 v38, vcc_lo, s4, v3
	v_lshlrev_b64 v[7:8], 2, v[23:24]
	v_add_nc_u32_e32 v19, 9, v21
	v_add_co_ci_u32_e32 v39, vcc_lo, s5, v4, vcc_lo
	v_add_co_u32 v23, vcc_lo, s4, v1
	v_lshlrev_b64 v[11:12], 2, v[11:12]
	v_add_nc_u32_e32 v21, 10, v21
	v_add_co_ci_u32_e32 v24, vcc_lo, s5, v2, vcc_lo
	v_add_co_u32 v40, vcc_lo, s4, v7
	v_lshlrev_b64 v[19:20], 2, v[19:20]
	v_add_co_ci_u32_e32 v41, vcc_lo, s5, v8, vcc_lo
	v_add_co_u32 v42, vcc_lo, s4, v11
	v_lshlrev_b64 v[21:22], 2, v[21:22]
	v_add_co_ci_u32_e32 v43, vcc_lo, s5, v12, vcc_lo
	v_add_co_u32 v44, vcc_lo, s4, v19
	v_add_co_ci_u32_e32 v45, vcc_lo, s5, v20, vcc_lo
	s_delay_alu instid0(VALU_DEP_4)
	v_add_co_u32 v46, vcc_lo, s4, v21
	v_add_co_ci_u32_e32 v47, vcc_lo, s5, v22, vcc_lo
	s_clause 0xa
	global_load_b32 v33, v[25:26], off
	global_load_b32 v32, v[27:28], off
	global_load_b32 v31, v[29:30], off
	global_load_b32 v30, v[34:35], off
	global_load_b32 v29, v[36:37], off
	global_load_b32 v28, v[38:39], off
	global_load_b32 v27, v[23:24], off
	global_load_b32 v26, v[40:41], off
	global_load_b32 v25, v[42:43], off
	global_load_b32 v24, v[44:45], off
	global_load_b32 v23, v[46:47], off
	v_add_nc_u32_e32 v36, -1, v0
	v_lshrrev_b32_e32 v34, 5, v0
	v_lshlrev_b32_e32 v37, 1, v0
	v_lshrrev_b32_e32 v38, 4, v0
	v_mbcnt_lo_u32_b32 v35, -1, 0
	v_lshrrev_b32_e32 v39, 5, v36
	v_add_lshl_u32 v34, v34, v0, 2
	v_cmp_gt_u32_e32 vcc_lo, 32, v0
	v_add_lshl_u32 v0, v38, v37, 2
	v_and_b32_e32 v37, 15, v35
	v_add_lshl_u32 v36, v39, v36, 2
	v_bfe_i32 v38, v35, 4, 1
	v_add_nc_u32_e32 v39, -1, v35
	s_branch .LBB4_2
.LBB4_1:                                ;   in Loop: Header=BB4_2 Depth=1
	s_or_b32 exec_lo, exec_lo, s2
	s_waitcnt lgkmcnt(0)
	v_add_nc_u32_e32 v33, v40, v33
	s_add_i32 s3, s3, -1
	s_delay_alu instid0(SALU_CYCLE_1) | instskip(NEXT) | instid1(VALU_DEP_1)
	s_cmp_lg_u32 s3, 0
	v_add_nc_u32_e32 v32, v33, v32
	s_delay_alu instid0(VALU_DEP_1) | instskip(NEXT) | instid1(VALU_DEP_1)
	v_add_nc_u32_e32 v31, v32, v31
	v_add_nc_u32_e32 v30, v31, v30
	s_delay_alu instid0(VALU_DEP_1) | instskip(NEXT) | instid1(VALU_DEP_1)
	v_add_nc_u32_e32 v29, v30, v29
	;; [unrolled: 3-line block ×4, first 2 shown]
	v_add_nc_u32_e32 v24, v25, v24
	s_delay_alu instid0(VALU_DEP_1)
	v_add_nc_u32_e32 v23, v24, v23
	s_cbranch_scc0 .LBB4_6
.LBB4_2:                                ; =>This Inner Loop Header: Depth=1
	s_waitcnt vmcnt(0)
	s_delay_alu instid0(VALU_DEP_1) | instskip(NEXT) | instid1(VALU_DEP_1)
	v_add3_u32 v40, v24, v23, v25
	v_add3_u32 v40, v40, v26, v27
	s_delay_alu instid0(VALU_DEP_1) | instskip(NEXT) | instid1(VALU_DEP_1)
	v_add3_u32 v40, v40, v28, v29
	v_add3_u32 v40, v40, v30, v31
	s_delay_alu instid0(VALU_DEP_1)
	v_add3_u32 v40, v40, v32, v33
	ds_store_b32 v34, v40
	s_waitcnt lgkmcnt(0)
	s_barrier
	buffer_gl0_inv
	s_and_saveexec_b32 s4, vcc_lo
	s_cbranch_execz .LBB4_4
; %bb.3:                                ;   in Loop: Header=BB4_2 Depth=1
	ds_load_2addr_b32 v[41:42], v0 offset1:1
	v_cmp_ne_u32_e64 s2, 0, v37
	s_waitcnt lgkmcnt(0)
	v_add_nc_u32_e32 v43, v42, v41
	s_delay_alu instid0(VALU_DEP_1) | instskip(NEXT) | instid1(VALU_DEP_1)
	v_mov_b32_dpp v44, v43 row_shr:1 row_mask:0xf bank_mask:0xf
	v_cndmask_b32_e64 v44, 0, v44, s2
	v_cmp_lt_u32_e64 s2, 1, v37
	s_delay_alu instid0(VALU_DEP_2) | instskip(NEXT) | instid1(VALU_DEP_1)
	v_add_nc_u32_e32 v43, v44, v43
	v_mov_b32_dpp v44, v43 row_shr:2 row_mask:0xf bank_mask:0xf
	s_delay_alu instid0(VALU_DEP_1) | instskip(SKIP_1) | instid1(VALU_DEP_2)
	v_cndmask_b32_e64 v44, 0, v44, s2
	v_cmp_lt_u32_e64 s2, 3, v37
	v_add_nc_u32_e32 v43, v43, v44
	s_delay_alu instid0(VALU_DEP_1) | instskip(NEXT) | instid1(VALU_DEP_1)
	v_mov_b32_dpp v44, v43 row_shr:4 row_mask:0xf bank_mask:0xf
	v_cndmask_b32_e64 v44, 0, v44, s2
	v_cmp_lt_u32_e64 s2, 7, v37
	s_delay_alu instid0(VALU_DEP_2) | instskip(NEXT) | instid1(VALU_DEP_1)
	v_add_nc_u32_e32 v43, v43, v44
	v_mov_b32_dpp v44, v43 row_shr:8 row_mask:0xf bank_mask:0xf
	s_delay_alu instid0(VALU_DEP_1) | instskip(SKIP_1) | instid1(VALU_DEP_2)
	v_cndmask_b32_e64 v44, 0, v44, s2
	v_cmp_gt_i32_e64 s2, 0, v39
	v_add_nc_u32_e32 v43, v43, v44
	s_delay_alu instid0(VALU_DEP_2) | instskip(SKIP_3) | instid1(VALU_DEP_1)
	v_cndmask_b32_e64 v45, v39, v35, s2
	ds_swizzle_b32 v44, v43 offset:swizzle(BROADCAST,32,15)
	s_waitcnt lgkmcnt(0)
	v_and_b32_e32 v44, v38, v44
	v_add_nc_u32_e32 v43, v43, v44
	v_lshlrev_b32_e32 v44, 2, v45
	ds_bpermute_b32 v43, v44, v43
	s_waitcnt lgkmcnt(0)
	v_add_nc_u32_e32 v41, v43, v41
	s_delay_alu instid0(VALU_DEP_1) | instskip(NEXT) | instid1(VALU_DEP_1)
	v_cndmask_b32_e64 v40, v41, v40, s0
	v_add_nc_u32_e32 v41, v40, v42
	ds_store_2addr_b32 v0, v40, v41 offset1:1
.LBB4_4:                                ;   in Loop: Header=BB4_2 Depth=1
	s_or_b32 exec_lo, exec_lo, s4
	v_mov_b32_e32 v40, 0
	s_waitcnt lgkmcnt(0)
	s_barrier
	buffer_gl0_inv
	s_and_saveexec_b32 s2, s1
	s_cbranch_execz .LBB4_1
; %bb.5:                                ;   in Loop: Header=BB4_2 Depth=1
	ds_load_b32 v40, v36
	s_branch .LBB4_1
.LBB4_6:
	v_add_co_u32 v15, vcc_lo, s6, v15
	v_add_co_ci_u32_e32 v16, vcc_lo, s7, v16, vcc_lo
	v_add_co_u32 v17, vcc_lo, s6, v17
	v_add_co_ci_u32_e32 v18, vcc_lo, s7, v18, vcc_lo
	;; [unrolled: 2-line block ×11, first 2 shown]
	s_clause 0xa
	global_store_b32 v[15:16], v33, off
	global_store_b32 v[17:18], v32, off
	;; [unrolled: 1-line block ×11, first 2 shown]
	s_nop 0
	s_sendmsg sendmsg(MSG_DEALLOC_VGPRS)
	s_endpgm
	.section	.rodata,"a",@progbits
	.p2align	6, 0x0
	.amdhsa_kernel _Z6kernelI14inclusive_scanILN6hipcub18BlockScanAlgorithmE1EEiLj64ELj11ELj100EEvPKT0_PS4_S4_
		.amdhsa_group_segment_fixed_size 264
		.amdhsa_private_segment_fixed_size 0
		.amdhsa_kernarg_size 280
		.amdhsa_user_sgpr_count 15
		.amdhsa_user_sgpr_dispatch_ptr 0
		.amdhsa_user_sgpr_queue_ptr 0
		.amdhsa_user_sgpr_kernarg_segment_ptr 1
		.amdhsa_user_sgpr_dispatch_id 0
		.amdhsa_user_sgpr_private_segment_size 0
		.amdhsa_wavefront_size32 1
		.amdhsa_uses_dynamic_stack 0
		.amdhsa_enable_private_segment 0
		.amdhsa_system_sgpr_workgroup_id_x 1
		.amdhsa_system_sgpr_workgroup_id_y 0
		.amdhsa_system_sgpr_workgroup_id_z 0
		.amdhsa_system_sgpr_workgroup_info 0
		.amdhsa_system_vgpr_workitem_id 0
		.amdhsa_next_free_vgpr 48
		.amdhsa_next_free_sgpr 16
		.amdhsa_reserve_vcc 1
		.amdhsa_float_round_mode_32 0
		.amdhsa_float_round_mode_16_64 0
		.amdhsa_float_denorm_mode_32 3
		.amdhsa_float_denorm_mode_16_64 3
		.amdhsa_dx10_clamp 1
		.amdhsa_ieee_mode 1
		.amdhsa_fp16_overflow 0
		.amdhsa_workgroup_processor_mode 1
		.amdhsa_memory_ordered 1
		.amdhsa_forward_progress 0
		.amdhsa_shared_vgpr_count 0
		.amdhsa_exception_fp_ieee_invalid_op 0
		.amdhsa_exception_fp_denorm_src 0
		.amdhsa_exception_fp_ieee_div_zero 0
		.amdhsa_exception_fp_ieee_overflow 0
		.amdhsa_exception_fp_ieee_underflow 0
		.amdhsa_exception_fp_ieee_inexact 0
		.amdhsa_exception_int_div_zero 0
	.end_amdhsa_kernel
	.section	.text._Z6kernelI14inclusive_scanILN6hipcub18BlockScanAlgorithmE1EEiLj64ELj11ELj100EEvPKT0_PS4_S4_,"axG",@progbits,_Z6kernelI14inclusive_scanILN6hipcub18BlockScanAlgorithmE1EEiLj64ELj11ELj100EEvPKT0_PS4_S4_,comdat
.Lfunc_end4:
	.size	_Z6kernelI14inclusive_scanILN6hipcub18BlockScanAlgorithmE1EEiLj64ELj11ELj100EEvPKT0_PS4_S4_, .Lfunc_end4-_Z6kernelI14inclusive_scanILN6hipcub18BlockScanAlgorithmE1EEiLj64ELj11ELj100EEvPKT0_PS4_S4_
                                        ; -- End function
	.section	.AMDGPU.csdata,"",@progbits
; Kernel info:
; codeLenInByte = 1236
; NumSgprs: 18
; NumVgprs: 48
; ScratchSize: 0
; MemoryBound: 0
; FloatMode: 240
; IeeeMode: 1
; LDSByteSize: 264 bytes/workgroup (compile time only)
; SGPRBlocks: 2
; VGPRBlocks: 5
; NumSGPRsForWavesPerEU: 18
; NumVGPRsForWavesPerEU: 48
; Occupancy: 16
; WaveLimiterHint : 0
; COMPUTE_PGM_RSRC2:SCRATCH_EN: 0
; COMPUTE_PGM_RSRC2:USER_SGPR: 15
; COMPUTE_PGM_RSRC2:TRAP_HANDLER: 0
; COMPUTE_PGM_RSRC2:TGID_X_EN: 1
; COMPUTE_PGM_RSRC2:TGID_Y_EN: 0
; COMPUTE_PGM_RSRC2:TGID_Z_EN: 0
; COMPUTE_PGM_RSRC2:TIDIG_COMP_CNT: 0
	.section	.text._Z6kernelI14inclusive_scanILN6hipcub18BlockScanAlgorithmE1EEiLj64ELj16ELj100EEvPKT0_PS4_S4_,"axG",@progbits,_Z6kernelI14inclusive_scanILN6hipcub18BlockScanAlgorithmE1EEiLj64ELj16ELj100EEvPKT0_PS4_S4_,comdat
	.protected	_Z6kernelI14inclusive_scanILN6hipcub18BlockScanAlgorithmE1EEiLj64ELj16ELj100EEvPKT0_PS4_S4_ ; -- Begin function _Z6kernelI14inclusive_scanILN6hipcub18BlockScanAlgorithmE1EEiLj64ELj16ELj100EEvPKT0_PS4_S4_
	.globl	_Z6kernelI14inclusive_scanILN6hipcub18BlockScanAlgorithmE1EEiLj64ELj16ELj100EEvPKT0_PS4_S4_
	.p2align	8
	.type	_Z6kernelI14inclusive_scanILN6hipcub18BlockScanAlgorithmE1EEiLj64ELj16ELj100EEvPKT0_PS4_S4_,@function
_Z6kernelI14inclusive_scanILN6hipcub18BlockScanAlgorithmE1EEiLj64ELj16ELj100EEvPKT0_PS4_S4_: ; @_Z6kernelI14inclusive_scanILN6hipcub18BlockScanAlgorithmE1EEiLj64ELj16ELj100EEvPKT0_PS4_S4_
; %bb.0:
	s_clause 0x1
	s_load_b32 s2, s[0:1], 0x24
	s_load_b128 s[4:7], s[0:1], 0x0
	v_dual_mov_b32 v2, 0 :: v_dual_add_nc_u32 v21, -1, v0
	v_lshrrev_b32_e32 v19, 5, v0
	v_lshlrev_b32_e32 v22, 1, v0
	v_lshrrev_b32_e32 v23, 4, v0
	v_mbcnt_lo_u32_b32 v20, -1, 0
	v_lshrrev_b32_e32 v24, 5, v21
	v_add_lshl_u32 v19, v19, v0, 2
	v_cmp_ne_u32_e64 s1, 0, v0
	s_movk_i32 s3, 0x64
	s_delay_alu instid0(VALU_DEP_3) | instskip(SKIP_3) | instid1(SALU_CYCLE_1)
	v_add_lshl_u32 v21, v24, v21, 2
	v_add_nc_u32_e32 v24, -1, v20
	s_waitcnt lgkmcnt(0)
	s_and_b32 s0, s2, 0xffff
	s_mul_i32 s15, s15, s0
	v_cmp_eq_u32_e64 s0, 0, v0
	v_add_lshl_u32 v1, s15, v0, 4
	s_delay_alu instid0(VALU_DEP_1) | instskip(NEXT) | instid1(VALU_DEP_1)
	v_lshlrev_b64 v[17:18], 2, v[1:2]
	v_add_co_u32 v1, vcc_lo, s4, v17
	s_delay_alu instid0(VALU_DEP_2)
	v_add_co_ci_u32_e32 v2, vcc_lo, s5, v18, vcc_lo
	v_cmp_gt_u32_e32 vcc_lo, 32, v0
	v_add_lshl_u32 v0, v23, v22, 2
	v_and_b32_e32 v22, 15, v20
	s_clause 0x3
	global_load_b128 v[13:16], v[1:2], off
	global_load_b128 v[9:12], v[1:2], off offset:16
	global_load_b128 v[5:8], v[1:2], off offset:32
	;; [unrolled: 1-line block ×3, first 2 shown]
	v_bfe_i32 v23, v20, 4, 1
	s_branch .LBB5_2
.LBB5_1:                                ;   in Loop: Header=BB5_2 Depth=1
	s_or_b32 exec_lo, exec_lo, s2
	s_waitcnt lgkmcnt(0)
	v_add_nc_u32_e32 v13, v25, v13
	s_add_i32 s3, s3, -1
	s_delay_alu instid0(SALU_CYCLE_1) | instskip(NEXT) | instid1(VALU_DEP_1)
	s_cmp_lg_u32 s3, 0
	v_add_nc_u32_e32 v14, v13, v14
	s_delay_alu instid0(VALU_DEP_1) | instskip(NEXT) | instid1(VALU_DEP_1)
	v_add_nc_u32_e32 v15, v14, v15
	v_add_nc_u32_e32 v16, v15, v16
	s_delay_alu instid0(VALU_DEP_1) | instskip(NEXT) | instid1(VALU_DEP_1)
	v_add_nc_u32_e32 v9, v16, v9
	;; [unrolled: 3-line block ×7, first 2 shown]
	v_add_nc_u32_e32 v4, v3, v4
	s_cbranch_scc0 .LBB5_6
.LBB5_2:                                ; =>This Inner Loop Header: Depth=1
	s_waitcnt vmcnt(0)
	s_delay_alu instid0(VALU_DEP_1) | instskip(NEXT) | instid1(VALU_DEP_1)
	v_add_nc_u32_e32 v25, v3, v4
	v_add3_u32 v25, v25, v2, v1
	s_delay_alu instid0(VALU_DEP_1) | instskip(NEXT) | instid1(VALU_DEP_1)
	v_add3_u32 v25, v25, v8, v7
	v_add3_u32 v25, v25, v6, v5
	s_delay_alu instid0(VALU_DEP_1) | instskip(NEXT) | instid1(VALU_DEP_1)
	v_add3_u32 v25, v25, v12, v11
	;; [unrolled: 3-line block ×3, first 2 shown]
	v_add3_u32 v25, v25, v14, v13
	ds_store_b32 v19, v25
	s_waitcnt lgkmcnt(0)
	s_barrier
	buffer_gl0_inv
	s_and_saveexec_b32 s4, vcc_lo
	s_cbranch_execz .LBB5_4
; %bb.3:                                ;   in Loop: Header=BB5_2 Depth=1
	ds_load_2addr_b32 v[26:27], v0 offset1:1
	v_cmp_ne_u32_e64 s2, 0, v22
	s_waitcnt lgkmcnt(0)
	v_add_nc_u32_e32 v28, v27, v26
	s_delay_alu instid0(VALU_DEP_1) | instskip(NEXT) | instid1(VALU_DEP_1)
	v_mov_b32_dpp v29, v28 row_shr:1 row_mask:0xf bank_mask:0xf
	v_cndmask_b32_e64 v29, 0, v29, s2
	v_cmp_lt_u32_e64 s2, 1, v22
	s_delay_alu instid0(VALU_DEP_2) | instskip(NEXT) | instid1(VALU_DEP_1)
	v_add_nc_u32_e32 v28, v29, v28
	v_mov_b32_dpp v29, v28 row_shr:2 row_mask:0xf bank_mask:0xf
	s_delay_alu instid0(VALU_DEP_1) | instskip(SKIP_1) | instid1(VALU_DEP_2)
	v_cndmask_b32_e64 v29, 0, v29, s2
	v_cmp_lt_u32_e64 s2, 3, v22
	v_add_nc_u32_e32 v28, v28, v29
	s_delay_alu instid0(VALU_DEP_1) | instskip(NEXT) | instid1(VALU_DEP_1)
	v_mov_b32_dpp v29, v28 row_shr:4 row_mask:0xf bank_mask:0xf
	v_cndmask_b32_e64 v29, 0, v29, s2
	v_cmp_lt_u32_e64 s2, 7, v22
	s_delay_alu instid0(VALU_DEP_2) | instskip(NEXT) | instid1(VALU_DEP_1)
	v_add_nc_u32_e32 v28, v28, v29
	v_mov_b32_dpp v29, v28 row_shr:8 row_mask:0xf bank_mask:0xf
	s_delay_alu instid0(VALU_DEP_1) | instskip(SKIP_1) | instid1(VALU_DEP_2)
	v_cndmask_b32_e64 v29, 0, v29, s2
	v_cmp_gt_i32_e64 s2, 0, v24
	v_add_nc_u32_e32 v28, v28, v29
	s_delay_alu instid0(VALU_DEP_2) | instskip(SKIP_3) | instid1(VALU_DEP_1)
	v_cndmask_b32_e64 v30, v24, v20, s2
	ds_swizzle_b32 v29, v28 offset:swizzle(BROADCAST,32,15)
	s_waitcnt lgkmcnt(0)
	v_and_b32_e32 v29, v23, v29
	v_add_nc_u32_e32 v28, v28, v29
	v_lshlrev_b32_e32 v29, 2, v30
	ds_bpermute_b32 v28, v29, v28
	s_waitcnt lgkmcnt(0)
	v_add_nc_u32_e32 v26, v28, v26
	s_delay_alu instid0(VALU_DEP_1) | instskip(NEXT) | instid1(VALU_DEP_1)
	v_cndmask_b32_e64 v25, v26, v25, s0
	v_add_nc_u32_e32 v26, v25, v27
	ds_store_2addr_b32 v0, v25, v26 offset1:1
.LBB5_4:                                ;   in Loop: Header=BB5_2 Depth=1
	s_or_b32 exec_lo, exec_lo, s4
	v_mov_b32_e32 v25, 0
	s_waitcnt lgkmcnt(0)
	s_barrier
	buffer_gl0_inv
	s_and_saveexec_b32 s2, s1
	s_cbranch_execz .LBB5_1
; %bb.5:                                ;   in Loop: Header=BB5_2 Depth=1
	ds_load_b32 v25, v21
	s_branch .LBB5_1
.LBB5_6:
	v_add_co_u32 v17, vcc_lo, s6, v17
	v_add_co_ci_u32_e32 v18, vcc_lo, s7, v18, vcc_lo
	s_clause 0x3
	global_store_b128 v[17:18], v[13:16], off
	global_store_b128 v[17:18], v[9:12], off offset:16
	global_store_b128 v[17:18], v[5:8], off offset:32
	;; [unrolled: 1-line block ×3, first 2 shown]
	s_nop 0
	s_sendmsg sendmsg(MSG_DEALLOC_VGPRS)
	s_endpgm
	.section	.rodata,"a",@progbits
	.p2align	6, 0x0
	.amdhsa_kernel _Z6kernelI14inclusive_scanILN6hipcub18BlockScanAlgorithmE1EEiLj64ELj16ELj100EEvPKT0_PS4_S4_
		.amdhsa_group_segment_fixed_size 264
		.amdhsa_private_segment_fixed_size 0
		.amdhsa_kernarg_size 280
		.amdhsa_user_sgpr_count 15
		.amdhsa_user_sgpr_dispatch_ptr 0
		.amdhsa_user_sgpr_queue_ptr 0
		.amdhsa_user_sgpr_kernarg_segment_ptr 1
		.amdhsa_user_sgpr_dispatch_id 0
		.amdhsa_user_sgpr_private_segment_size 0
		.amdhsa_wavefront_size32 1
		.amdhsa_uses_dynamic_stack 0
		.amdhsa_enable_private_segment 0
		.amdhsa_system_sgpr_workgroup_id_x 1
		.amdhsa_system_sgpr_workgroup_id_y 0
		.amdhsa_system_sgpr_workgroup_id_z 0
		.amdhsa_system_sgpr_workgroup_info 0
		.amdhsa_system_vgpr_workitem_id 0
		.amdhsa_next_free_vgpr 31
		.amdhsa_next_free_sgpr 16
		.amdhsa_reserve_vcc 1
		.amdhsa_float_round_mode_32 0
		.amdhsa_float_round_mode_16_64 0
		.amdhsa_float_denorm_mode_32 3
		.amdhsa_float_denorm_mode_16_64 3
		.amdhsa_dx10_clamp 1
		.amdhsa_ieee_mode 1
		.amdhsa_fp16_overflow 0
		.amdhsa_workgroup_processor_mode 1
		.amdhsa_memory_ordered 1
		.amdhsa_forward_progress 0
		.amdhsa_shared_vgpr_count 0
		.amdhsa_exception_fp_ieee_invalid_op 0
		.amdhsa_exception_fp_denorm_src 0
		.amdhsa_exception_fp_ieee_div_zero 0
		.amdhsa_exception_fp_ieee_overflow 0
		.amdhsa_exception_fp_ieee_underflow 0
		.amdhsa_exception_fp_ieee_inexact 0
		.amdhsa_exception_int_div_zero 0
	.end_amdhsa_kernel
	.section	.text._Z6kernelI14inclusive_scanILN6hipcub18BlockScanAlgorithmE1EEiLj64ELj16ELj100EEvPKT0_PS4_S4_,"axG",@progbits,_Z6kernelI14inclusive_scanILN6hipcub18BlockScanAlgorithmE1EEiLj64ELj16ELj100EEvPKT0_PS4_S4_,comdat
.Lfunc_end5:
	.size	_Z6kernelI14inclusive_scanILN6hipcub18BlockScanAlgorithmE1EEiLj64ELj16ELj100EEvPKT0_PS4_S4_, .Lfunc_end5-_Z6kernelI14inclusive_scanILN6hipcub18BlockScanAlgorithmE1EEiLj64ELj16ELj100EEvPKT0_PS4_S4_
                                        ; -- End function
	.section	.AMDGPU.csdata,"",@progbits
; Kernel info:
; codeLenInByte = 780
; NumSgprs: 18
; NumVgprs: 31
; ScratchSize: 0
; MemoryBound: 0
; FloatMode: 240
; IeeeMode: 1
; LDSByteSize: 264 bytes/workgroup (compile time only)
; SGPRBlocks: 2
; VGPRBlocks: 3
; NumSGPRsForWavesPerEU: 18
; NumVGPRsForWavesPerEU: 31
; Occupancy: 16
; WaveLimiterHint : 0
; COMPUTE_PGM_RSRC2:SCRATCH_EN: 0
; COMPUTE_PGM_RSRC2:USER_SGPR: 15
; COMPUTE_PGM_RSRC2:TRAP_HANDLER: 0
; COMPUTE_PGM_RSRC2:TGID_X_EN: 1
; COMPUTE_PGM_RSRC2:TGID_Y_EN: 0
; COMPUTE_PGM_RSRC2:TGID_Z_EN: 0
; COMPUTE_PGM_RSRC2:TIDIG_COMP_CNT: 0
	.section	.text._Z6kernelI14inclusive_scanILN6hipcub18BlockScanAlgorithmE1EEfLj64ELj1ELj100EEvPKT0_PS4_S4_,"axG",@progbits,_Z6kernelI14inclusive_scanILN6hipcub18BlockScanAlgorithmE1EEfLj64ELj1ELj100EEvPKT0_PS4_S4_,comdat
	.protected	_Z6kernelI14inclusive_scanILN6hipcub18BlockScanAlgorithmE1EEfLj64ELj1ELj100EEvPKT0_PS4_S4_ ; -- Begin function _Z6kernelI14inclusive_scanILN6hipcub18BlockScanAlgorithmE1EEfLj64ELj1ELj100EEvPKT0_PS4_S4_
	.globl	_Z6kernelI14inclusive_scanILN6hipcub18BlockScanAlgorithmE1EEfLj64ELj1ELj100EEvPKT0_PS4_S4_
	.p2align	8
	.type	_Z6kernelI14inclusive_scanILN6hipcub18BlockScanAlgorithmE1EEfLj64ELj1ELj100EEvPKT0_PS4_S4_,@function
_Z6kernelI14inclusive_scanILN6hipcub18BlockScanAlgorithmE1EEfLj64ELj1ELj100EEvPKT0_PS4_S4_: ; @_Z6kernelI14inclusive_scanILN6hipcub18BlockScanAlgorithmE1EEfLj64ELj1ELj100EEvPKT0_PS4_S4_
; %bb.0:
	s_clause 0x1
	s_load_b32 s4, s[0:1], 0x24
	s_load_b128 s[0:3], s[0:1], 0x0
	v_lshrrev_b32_e32 v5, 5, v0
	v_lshlrev_b32_e32 v6, 1, v0
	v_lshrrev_b32_e32 v7, 4, v0
	s_delay_alu instid0(VALU_DEP_3) | instskip(NEXT) | instid1(VALU_DEP_2)
	v_add_lshl_u32 v5, v5, v0, 2
	v_add_lshl_u32 v6, v7, v6, 2
	s_waitcnt lgkmcnt(0)
	s_and_b32 s4, s4, 0xffff
	s_delay_alu instid0(SALU_CYCLE_1) | instskip(SKIP_2) | instid1(VALU_DEP_1)
	v_mad_u64_u32 v[1:2], null, s15, s4, v[0:1]
	v_mov_b32_e32 v2, 0
	s_movk_i32 s4, 0x64
	v_lshlrev_b64 v[1:2], 2, v[1:2]
	s_delay_alu instid0(VALU_DEP_1) | instskip(NEXT) | instid1(VALU_DEP_2)
	v_add_co_u32 v3, vcc_lo, s0, v1
	v_add_co_ci_u32_e32 v4, vcc_lo, s1, v2, vcc_lo
	v_cmp_gt_u32_e32 vcc_lo, 32, v0
	v_cmp_eq_u32_e64 s0, 0, v0
	global_load_b32 v3, v[3:4], off
	v_mbcnt_lo_u32_b32 v4, -1, 0
	s_delay_alu instid0(VALU_DEP_1)
	v_and_b32_e32 v7, 16, v4
	v_and_b32_e32 v0, 15, v4
	v_add_nc_u32_e32 v8, -1, v4
	s_branch .LBB6_2
.LBB6_1:                                ;   in Loop: Header=BB6_2 Depth=1
	s_or_b32 exec_lo, exec_lo, s5
	s_waitcnt lgkmcnt(0)
	s_barrier
	buffer_gl0_inv
	ds_load_b32 v3, v5
	s_add_i32 s4, s4, -1
	s_delay_alu instid0(SALU_CYCLE_1)
	s_cmp_lg_u32 s4, 0
	s_cbranch_scc0 .LBB6_4
.LBB6_2:                                ; =>This Inner Loop Header: Depth=1
	s_waitcnt vmcnt(0) lgkmcnt(0)
	ds_store_b32 v5, v3
	s_waitcnt lgkmcnt(0)
	s_barrier
	buffer_gl0_inv
	s_and_saveexec_b32 s5, vcc_lo
	s_cbranch_execz .LBB6_1
; %bb.3:                                ;   in Loop: Header=BB6_2 Depth=1
	ds_load_2addr_b32 v[9:10], v6 offset1:1
	v_cmp_eq_u32_e64 s1, 0, v0
	s_waitcnt lgkmcnt(0)
	v_add_f32_e32 v11, v9, v10
	s_delay_alu instid0(VALU_DEP_1) | instskip(NEXT) | instid1(VALU_DEP_1)
	v_mov_b32_dpp v12, v11 row_shr:1 row_mask:0xf bank_mask:0xf
	v_add_f32_e32 v12, v11, v12
	s_delay_alu instid0(VALU_DEP_1) | instskip(SKIP_1) | instid1(VALU_DEP_2)
	v_cndmask_b32_e64 v11, v12, v11, s1
	v_cmp_lt_u32_e64 s1, 1, v0
	v_mov_b32_dpp v12, v11 row_shr:2 row_mask:0xf bank_mask:0xf
	s_delay_alu instid0(VALU_DEP_1) | instskip(NEXT) | instid1(VALU_DEP_1)
	v_add_f32_e32 v12, v11, v12
	v_cndmask_b32_e64 v11, v11, v12, s1
	v_cmp_lt_u32_e64 s1, 3, v0
	s_delay_alu instid0(VALU_DEP_2) | instskip(NEXT) | instid1(VALU_DEP_1)
	v_mov_b32_dpp v12, v11 row_shr:4 row_mask:0xf bank_mask:0xf
	v_add_f32_e32 v12, v11, v12
	s_delay_alu instid0(VALU_DEP_1) | instskip(SKIP_1) | instid1(VALU_DEP_2)
	v_cndmask_b32_e64 v11, v11, v12, s1
	v_cmp_lt_u32_e64 s1, 7, v0
	v_mov_b32_dpp v12, v11 row_shr:8 row_mask:0xf bank_mask:0xf
	s_delay_alu instid0(VALU_DEP_1) | instskip(NEXT) | instid1(VALU_DEP_1)
	v_add_f32_e32 v12, v11, v12
	v_cndmask_b32_e64 v11, v11, v12, s1
	v_cmp_gt_i32_e64 s1, 0, v8
	ds_swizzle_b32 v12, v11 offset:swizzle(BROADCAST,32,15)
	v_cndmask_b32_e64 v13, v8, v4, s1
	v_cmp_eq_u32_e64 s1, 0, v7
	s_waitcnt lgkmcnt(0)
	v_add_f32_e32 v12, v11, v12
	s_delay_alu instid0(VALU_DEP_1) | instskip(SKIP_4) | instid1(VALU_DEP_1)
	v_cndmask_b32_e64 v11, v12, v11, s1
	v_lshlrev_b32_e32 v12, 2, v13
	ds_bpermute_b32 v11, v12, v11
	s_waitcnt lgkmcnt(0)
	v_add_f32_e32 v9, v9, v11
	v_cndmask_b32_e64 v3, v9, v3, s0
	s_delay_alu instid0(VALU_DEP_1)
	v_add_f32_e32 v9, v10, v3
	ds_store_2addr_b32 v6, v3, v9 offset1:1
	s_branch .LBB6_1
.LBB6_4:
	v_add_co_u32 v0, vcc_lo, s2, v1
	v_add_co_ci_u32_e32 v1, vcc_lo, s3, v2, vcc_lo
	s_waitcnt lgkmcnt(0)
	global_store_b32 v[0:1], v3, off
	s_nop 0
	s_sendmsg sendmsg(MSG_DEALLOC_VGPRS)
	s_endpgm
	.section	.rodata,"a",@progbits
	.p2align	6, 0x0
	.amdhsa_kernel _Z6kernelI14inclusive_scanILN6hipcub18BlockScanAlgorithmE1EEfLj64ELj1ELj100EEvPKT0_PS4_S4_
		.amdhsa_group_segment_fixed_size 264
		.amdhsa_private_segment_fixed_size 0
		.amdhsa_kernarg_size 280
		.amdhsa_user_sgpr_count 15
		.amdhsa_user_sgpr_dispatch_ptr 0
		.amdhsa_user_sgpr_queue_ptr 0
		.amdhsa_user_sgpr_kernarg_segment_ptr 1
		.amdhsa_user_sgpr_dispatch_id 0
		.amdhsa_user_sgpr_private_segment_size 0
		.amdhsa_wavefront_size32 1
		.amdhsa_uses_dynamic_stack 0
		.amdhsa_enable_private_segment 0
		.amdhsa_system_sgpr_workgroup_id_x 1
		.amdhsa_system_sgpr_workgroup_id_y 0
		.amdhsa_system_sgpr_workgroup_id_z 0
		.amdhsa_system_sgpr_workgroup_info 0
		.amdhsa_system_vgpr_workitem_id 0
		.amdhsa_next_free_vgpr 14
		.amdhsa_next_free_sgpr 16
		.amdhsa_reserve_vcc 1
		.amdhsa_float_round_mode_32 0
		.amdhsa_float_round_mode_16_64 0
		.amdhsa_float_denorm_mode_32 3
		.amdhsa_float_denorm_mode_16_64 3
		.amdhsa_dx10_clamp 1
		.amdhsa_ieee_mode 1
		.amdhsa_fp16_overflow 0
		.amdhsa_workgroup_processor_mode 1
		.amdhsa_memory_ordered 1
		.amdhsa_forward_progress 0
		.amdhsa_shared_vgpr_count 0
		.amdhsa_exception_fp_ieee_invalid_op 0
		.amdhsa_exception_fp_denorm_src 0
		.amdhsa_exception_fp_ieee_div_zero 0
		.amdhsa_exception_fp_ieee_overflow 0
		.amdhsa_exception_fp_ieee_underflow 0
		.amdhsa_exception_fp_ieee_inexact 0
		.amdhsa_exception_int_div_zero 0
	.end_amdhsa_kernel
	.section	.text._Z6kernelI14inclusive_scanILN6hipcub18BlockScanAlgorithmE1EEfLj64ELj1ELj100EEvPKT0_PS4_S4_,"axG",@progbits,_Z6kernelI14inclusive_scanILN6hipcub18BlockScanAlgorithmE1EEfLj64ELj1ELj100EEvPKT0_PS4_S4_,comdat
.Lfunc_end6:
	.size	_Z6kernelI14inclusive_scanILN6hipcub18BlockScanAlgorithmE1EEfLj64ELj1ELj100EEvPKT0_PS4_S4_, .Lfunc_end6-_Z6kernelI14inclusive_scanILN6hipcub18BlockScanAlgorithmE1EEfLj64ELj1ELj100EEvPKT0_PS4_S4_
                                        ; -- End function
	.section	.AMDGPU.csdata,"",@progbits
; Kernel info:
; codeLenInByte = 524
; NumSgprs: 18
; NumVgprs: 14
; ScratchSize: 0
; MemoryBound: 0
; FloatMode: 240
; IeeeMode: 1
; LDSByteSize: 264 bytes/workgroup (compile time only)
; SGPRBlocks: 2
; VGPRBlocks: 1
; NumSGPRsForWavesPerEU: 18
; NumVGPRsForWavesPerEU: 14
; Occupancy: 16
; WaveLimiterHint : 0
; COMPUTE_PGM_RSRC2:SCRATCH_EN: 0
; COMPUTE_PGM_RSRC2:USER_SGPR: 15
; COMPUTE_PGM_RSRC2:TRAP_HANDLER: 0
; COMPUTE_PGM_RSRC2:TGID_X_EN: 1
; COMPUTE_PGM_RSRC2:TGID_Y_EN: 0
; COMPUTE_PGM_RSRC2:TGID_Z_EN: 0
; COMPUTE_PGM_RSRC2:TIDIG_COMP_CNT: 0
	.section	.text._Z6kernelI14inclusive_scanILN6hipcub18BlockScanAlgorithmE1EEfLj64ELj3ELj100EEvPKT0_PS4_S4_,"axG",@progbits,_Z6kernelI14inclusive_scanILN6hipcub18BlockScanAlgorithmE1EEfLj64ELj3ELj100EEvPKT0_PS4_S4_,comdat
	.protected	_Z6kernelI14inclusive_scanILN6hipcub18BlockScanAlgorithmE1EEfLj64ELj3ELj100EEvPKT0_PS4_S4_ ; -- Begin function _Z6kernelI14inclusive_scanILN6hipcub18BlockScanAlgorithmE1EEfLj64ELj3ELj100EEvPKT0_PS4_S4_
	.globl	_Z6kernelI14inclusive_scanILN6hipcub18BlockScanAlgorithmE1EEfLj64ELj3ELj100EEvPKT0_PS4_S4_
	.p2align	8
	.type	_Z6kernelI14inclusive_scanILN6hipcub18BlockScanAlgorithmE1EEfLj64ELj3ELj100EEvPKT0_PS4_S4_,@function
_Z6kernelI14inclusive_scanILN6hipcub18BlockScanAlgorithmE1EEfLj64ELj3ELj100EEvPKT0_PS4_S4_: ; @_Z6kernelI14inclusive_scanILN6hipcub18BlockScanAlgorithmE1EEfLj64ELj3ELj100EEvPKT0_PS4_S4_
; %bb.0:
	s_clause 0x1
	s_load_b32 s2, s[0:1], 0x24
	s_load_b128 s[4:7], s[0:1], 0x0
	v_lshlrev_b32_e32 v13, 1, v0
	v_lshrrev_b32_e32 v14, 4, v0
	v_cmp_eq_u32_e64 s0, 0, v0
	v_cmp_ne_u32_e64 s1, 0, v0
	s_movk_i32 s3, 0x64
	s_waitcnt lgkmcnt(0)
	s_and_b32 s2, s2, 0xffff
	s_delay_alu instid0(SALU_CYCLE_1) | instskip(NEXT) | instid1(VALU_DEP_1)
	v_mad_u64_u32 v[1:2], null, s15, s2, v[0:1]
	v_lshl_add_u32 v3, v1, 1, v1
	s_delay_alu instid0(VALU_DEP_1) | instskip(NEXT) | instid1(VALU_DEP_1)
	v_dual_mov_b32 v4, 0 :: v_dual_add_nc_u32 v5, 1, v3
	v_mov_b32_e32 v6, v4
	v_lshlrev_b64 v[1:2], 2, v[3:4]
	v_add_nc_u32_e32 v3, 2, v3
	s_delay_alu instid0(VALU_DEP_3) | instskip(NEXT) | instid1(VALU_DEP_2)
	v_lshlrev_b64 v[5:6], 2, v[5:6]
	v_lshlrev_b64 v[3:4], 2, v[3:4]
	s_delay_alu instid0(VALU_DEP_4) | instskip(SKIP_1) | instid1(VALU_DEP_4)
	v_add_co_u32 v7, vcc_lo, s4, v1
	v_add_co_ci_u32_e32 v8, vcc_lo, s5, v2, vcc_lo
	v_add_co_u32 v9, vcc_lo, s4, v5
	v_add_co_ci_u32_e32 v10, vcc_lo, s5, v6, vcc_lo
	;; [unrolled: 2-line block ×3, first 2 shown]
	s_clause 0x2
	global_load_b32 v7, v[7:8], off
	global_load_b32 v8, v[9:10], off
	;; [unrolled: 1-line block ×3, first 2 shown]
	v_add_nc_u32_e32 v12, -1, v0
	v_lshrrev_b32_e32 v10, 5, v0
	v_mbcnt_lo_u32_b32 v11, -1, 0
	v_cmp_gt_u32_e32 vcc_lo, 32, v0
	s_delay_alu instid0(VALU_DEP_4) | instskip(NEXT) | instid1(VALU_DEP_4)
	v_lshrrev_b32_e32 v15, 5, v12
	v_add_lshl_u32 v10, v10, v0, 2
	v_add_lshl_u32 v0, v14, v13, 2
	v_and_b32_e32 v13, 15, v11
	v_and_b32_e32 v14, 16, v11
	v_add_lshl_u32 v12, v15, v12, 2
	v_add_nc_u32_e32 v15, -1, v11
	s_branch .LBB7_2
.LBB7_1:                                ;   in Loop: Header=BB7_2 Depth=1
	s_or_b32 exec_lo, exec_lo, s2
	s_waitcnt lgkmcnt(0)
	v_add_f32_e32 v16, v7, v16
	s_add_i32 s3, s3, -1
	s_delay_alu instid0(SALU_CYCLE_1) | instskip(NEXT) | instid1(VALU_DEP_1)
	s_cmp_lg_u32 s3, 0
	v_cndmask_b32_e64 v7, v16, v7, s0
	s_delay_alu instid0(VALU_DEP_1) | instskip(NEXT) | instid1(VALU_DEP_1)
	v_add_f32_e32 v8, v8, v7
	v_add_f32_e32 v9, v9, v8
	s_cbranch_scc0 .LBB7_6
.LBB7_2:                                ; =>This Inner Loop Header: Depth=1
	s_waitcnt vmcnt(1)
	v_add_f32_e32 v16, v7, v8
	s_waitcnt vmcnt(0)
	s_delay_alu instid0(VALU_DEP_1)
	v_add_f32_e32 v16, v9, v16
	ds_store_b32 v10, v16
	s_waitcnt lgkmcnt(0)
	s_barrier
	buffer_gl0_inv
	s_and_saveexec_b32 s4, vcc_lo
	s_cbranch_execz .LBB7_4
; %bb.3:                                ;   in Loop: Header=BB7_2 Depth=1
	ds_load_2addr_b32 v[17:18], v0 offset1:1
	v_cmp_eq_u32_e64 s2, 0, v13
	s_waitcnt lgkmcnt(0)
	v_add_f32_e32 v19, v17, v18
	s_delay_alu instid0(VALU_DEP_1) | instskip(NEXT) | instid1(VALU_DEP_1)
	v_mov_b32_dpp v20, v19 row_shr:1 row_mask:0xf bank_mask:0xf
	v_add_f32_e32 v20, v19, v20
	s_delay_alu instid0(VALU_DEP_1) | instskip(SKIP_1) | instid1(VALU_DEP_2)
	v_cndmask_b32_e64 v19, v20, v19, s2
	v_cmp_lt_u32_e64 s2, 1, v13
	v_mov_b32_dpp v20, v19 row_shr:2 row_mask:0xf bank_mask:0xf
	s_delay_alu instid0(VALU_DEP_1) | instskip(NEXT) | instid1(VALU_DEP_1)
	v_add_f32_e32 v20, v19, v20
	v_cndmask_b32_e64 v19, v19, v20, s2
	v_cmp_lt_u32_e64 s2, 3, v13
	s_delay_alu instid0(VALU_DEP_2) | instskip(NEXT) | instid1(VALU_DEP_1)
	v_mov_b32_dpp v20, v19 row_shr:4 row_mask:0xf bank_mask:0xf
	v_add_f32_e32 v20, v19, v20
	s_delay_alu instid0(VALU_DEP_1) | instskip(SKIP_1) | instid1(VALU_DEP_2)
	v_cndmask_b32_e64 v19, v19, v20, s2
	v_cmp_lt_u32_e64 s2, 7, v13
	v_mov_b32_dpp v20, v19 row_shr:8 row_mask:0xf bank_mask:0xf
	s_delay_alu instid0(VALU_DEP_1) | instskip(NEXT) | instid1(VALU_DEP_1)
	v_add_f32_e32 v20, v19, v20
	v_cndmask_b32_e64 v19, v19, v20, s2
	v_cmp_gt_i32_e64 s2, 0, v15
	ds_swizzle_b32 v20, v19 offset:swizzle(BROADCAST,32,15)
	v_cndmask_b32_e64 v21, v15, v11, s2
	v_cmp_eq_u32_e64 s2, 0, v14
	s_waitcnt lgkmcnt(0)
	v_add_f32_e32 v20, v19, v20
	s_delay_alu instid0(VALU_DEP_1) | instskip(SKIP_4) | instid1(VALU_DEP_1)
	v_cndmask_b32_e64 v19, v20, v19, s2
	v_lshlrev_b32_e32 v20, 2, v21
	ds_bpermute_b32 v19, v20, v19
	s_waitcnt lgkmcnt(0)
	v_add_f32_e32 v17, v17, v19
	v_cndmask_b32_e64 v17, v17, v16, s0
	s_delay_alu instid0(VALU_DEP_1)
	v_add_f32_e32 v18, v18, v17
	ds_store_2addr_b32 v0, v17, v18 offset1:1
.LBB7_4:                                ;   in Loop: Header=BB7_2 Depth=1
	s_or_b32 exec_lo, exec_lo, s4
	s_waitcnt lgkmcnt(0)
	s_barrier
	buffer_gl0_inv
	s_and_saveexec_b32 s2, s1
	s_cbranch_execz .LBB7_1
; %bb.5:                                ;   in Loop: Header=BB7_2 Depth=1
	ds_load_b32 v16, v12
	s_branch .LBB7_1
.LBB7_6:
	v_add_co_u32 v0, vcc_lo, s6, v1
	v_add_co_ci_u32_e32 v1, vcc_lo, s7, v2, vcc_lo
	v_add_co_u32 v5, vcc_lo, s6, v5
	v_add_co_ci_u32_e32 v6, vcc_lo, s7, v6, vcc_lo
	;; [unrolled: 2-line block ×3, first 2 shown]
	s_clause 0x2
	global_store_b32 v[0:1], v7, off
	global_store_b32 v[5:6], v8, off
	global_store_b32 v[2:3], v9, off
	s_nop 0
	s_sendmsg sendmsg(MSG_DEALLOC_VGPRS)
	s_endpgm
	.section	.rodata,"a",@progbits
	.p2align	6, 0x0
	.amdhsa_kernel _Z6kernelI14inclusive_scanILN6hipcub18BlockScanAlgorithmE1EEfLj64ELj3ELj100EEvPKT0_PS4_S4_
		.amdhsa_group_segment_fixed_size 264
		.amdhsa_private_segment_fixed_size 0
		.amdhsa_kernarg_size 280
		.amdhsa_user_sgpr_count 15
		.amdhsa_user_sgpr_dispatch_ptr 0
		.amdhsa_user_sgpr_queue_ptr 0
		.amdhsa_user_sgpr_kernarg_segment_ptr 1
		.amdhsa_user_sgpr_dispatch_id 0
		.amdhsa_user_sgpr_private_segment_size 0
		.amdhsa_wavefront_size32 1
		.amdhsa_uses_dynamic_stack 0
		.amdhsa_enable_private_segment 0
		.amdhsa_system_sgpr_workgroup_id_x 1
		.amdhsa_system_sgpr_workgroup_id_y 0
		.amdhsa_system_sgpr_workgroup_id_z 0
		.amdhsa_system_sgpr_workgroup_info 0
		.amdhsa_system_vgpr_workitem_id 0
		.amdhsa_next_free_vgpr 22
		.amdhsa_next_free_sgpr 16
		.amdhsa_reserve_vcc 1
		.amdhsa_float_round_mode_32 0
		.amdhsa_float_round_mode_16_64 0
		.amdhsa_float_denorm_mode_32 3
		.amdhsa_float_denorm_mode_16_64 3
		.amdhsa_dx10_clamp 1
		.amdhsa_ieee_mode 1
		.amdhsa_fp16_overflow 0
		.amdhsa_workgroup_processor_mode 1
		.amdhsa_memory_ordered 1
		.amdhsa_forward_progress 0
		.amdhsa_shared_vgpr_count 0
		.amdhsa_exception_fp_ieee_invalid_op 0
		.amdhsa_exception_fp_denorm_src 0
		.amdhsa_exception_fp_ieee_div_zero 0
		.amdhsa_exception_fp_ieee_overflow 0
		.amdhsa_exception_fp_ieee_underflow 0
		.amdhsa_exception_fp_ieee_inexact 0
		.amdhsa_exception_int_div_zero 0
	.end_amdhsa_kernel
	.section	.text._Z6kernelI14inclusive_scanILN6hipcub18BlockScanAlgorithmE1EEfLj64ELj3ELj100EEvPKT0_PS4_S4_,"axG",@progbits,_Z6kernelI14inclusive_scanILN6hipcub18BlockScanAlgorithmE1EEfLj64ELj3ELj100EEvPKT0_PS4_S4_,comdat
.Lfunc_end7:
	.size	_Z6kernelI14inclusive_scanILN6hipcub18BlockScanAlgorithmE1EEfLj64ELj3ELj100EEvPKT0_PS4_S4_, .Lfunc_end7-_Z6kernelI14inclusive_scanILN6hipcub18BlockScanAlgorithmE1EEfLj64ELj3ELj100EEvPKT0_PS4_S4_
                                        ; -- End function
	.section	.AMDGPU.csdata,"",@progbits
; Kernel info:
; codeLenInByte = 728
; NumSgprs: 18
; NumVgprs: 22
; ScratchSize: 0
; MemoryBound: 0
; FloatMode: 240
; IeeeMode: 1
; LDSByteSize: 264 bytes/workgroup (compile time only)
; SGPRBlocks: 2
; VGPRBlocks: 2
; NumSGPRsForWavesPerEU: 18
; NumVGPRsForWavesPerEU: 22
; Occupancy: 16
; WaveLimiterHint : 0
; COMPUTE_PGM_RSRC2:SCRATCH_EN: 0
; COMPUTE_PGM_RSRC2:USER_SGPR: 15
; COMPUTE_PGM_RSRC2:TRAP_HANDLER: 0
; COMPUTE_PGM_RSRC2:TGID_X_EN: 1
; COMPUTE_PGM_RSRC2:TGID_Y_EN: 0
; COMPUTE_PGM_RSRC2:TGID_Z_EN: 0
; COMPUTE_PGM_RSRC2:TIDIG_COMP_CNT: 0
	.section	.text._Z6kernelI14inclusive_scanILN6hipcub18BlockScanAlgorithmE1EEfLj64ELj4ELj100EEvPKT0_PS4_S4_,"axG",@progbits,_Z6kernelI14inclusive_scanILN6hipcub18BlockScanAlgorithmE1EEfLj64ELj4ELj100EEvPKT0_PS4_S4_,comdat
	.protected	_Z6kernelI14inclusive_scanILN6hipcub18BlockScanAlgorithmE1EEfLj64ELj4ELj100EEvPKT0_PS4_S4_ ; -- Begin function _Z6kernelI14inclusive_scanILN6hipcub18BlockScanAlgorithmE1EEfLj64ELj4ELj100EEvPKT0_PS4_S4_
	.globl	_Z6kernelI14inclusive_scanILN6hipcub18BlockScanAlgorithmE1EEfLj64ELj4ELj100EEvPKT0_PS4_S4_
	.p2align	8
	.type	_Z6kernelI14inclusive_scanILN6hipcub18BlockScanAlgorithmE1EEfLj64ELj4ELj100EEvPKT0_PS4_S4_,@function
_Z6kernelI14inclusive_scanILN6hipcub18BlockScanAlgorithmE1EEfLj64ELj4ELj100EEvPKT0_PS4_S4_: ; @_Z6kernelI14inclusive_scanILN6hipcub18BlockScanAlgorithmE1EEfLj64ELj4ELj100EEvPKT0_PS4_S4_
; %bb.0:
	s_clause 0x1
	s_load_b32 s2, s[0:1], 0x24
	s_load_b128 s[4:7], s[0:1], 0x0
	v_dual_mov_b32 v2, 0 :: v_dual_add_nc_u32 v9, -1, v0
	v_lshrrev_b32_e32 v7, 5, v0
	v_lshlrev_b32_e32 v10, 1, v0
	v_lshrrev_b32_e32 v11, 4, v0
	v_mbcnt_lo_u32_b32 v8, -1, 0
	v_lshrrev_b32_e32 v12, 5, v9
	v_add_lshl_u32 v7, v7, v0, 2
	v_cmp_ne_u32_e64 s1, 0, v0
	s_movk_i32 s3, 0x64
	s_delay_alu instid0(VALU_DEP_3) | instskip(SKIP_3) | instid1(SALU_CYCLE_1)
	v_add_lshl_u32 v9, v12, v9, 2
	v_add_nc_u32_e32 v12, -1, v8
	s_waitcnt lgkmcnt(0)
	s_and_b32 s0, s2, 0xffff
	s_mul_i32 s15, s15, s0
	v_cmp_eq_u32_e64 s0, 0, v0
	v_add_lshl_u32 v1, s15, v0, 2
	s_delay_alu instid0(VALU_DEP_1) | instskip(NEXT) | instid1(VALU_DEP_1)
	v_lshlrev_b64 v[5:6], 2, v[1:2]
	v_add_co_u32 v1, vcc_lo, s4, v5
	s_delay_alu instid0(VALU_DEP_2)
	v_add_co_ci_u32_e32 v2, vcc_lo, s5, v6, vcc_lo
	v_cmp_gt_u32_e32 vcc_lo, 32, v0
	v_add_lshl_u32 v0, v11, v10, 2
	v_and_b32_e32 v10, 15, v8
	global_load_b128 v[1:4], v[1:2], off
	v_and_b32_e32 v11, 16, v8
	s_branch .LBB8_2
.LBB8_1:                                ;   in Loop: Header=BB8_2 Depth=1
	s_or_b32 exec_lo, exec_lo, s2
	s_waitcnt lgkmcnt(0)
	v_add_f32_e32 v13, v1, v13
	s_add_i32 s3, s3, -1
	s_delay_alu instid0(SALU_CYCLE_1) | instskip(NEXT) | instid1(VALU_DEP_1)
	s_cmp_lg_u32 s3, 0
	v_cndmask_b32_e64 v1, v13, v1, s0
	s_delay_alu instid0(VALU_DEP_1) | instskip(NEXT) | instid1(VALU_DEP_1)
	v_add_f32_e32 v2, v2, v1
	v_add_f32_e32 v3, v3, v2
	s_delay_alu instid0(VALU_DEP_1)
	v_add_f32_e32 v4, v4, v3
	s_cbranch_scc0 .LBB8_6
.LBB8_2:                                ; =>This Inner Loop Header: Depth=1
	s_waitcnt vmcnt(0)
	v_add_f32_e32 v13, v1, v2
	s_delay_alu instid0(VALU_DEP_1) | instskip(NEXT) | instid1(VALU_DEP_1)
	v_add_f32_e32 v13, v3, v13
	v_add_f32_e32 v13, v4, v13
	ds_store_b32 v7, v13
	s_waitcnt lgkmcnt(0)
	s_barrier
	buffer_gl0_inv
	s_and_saveexec_b32 s4, vcc_lo
	s_cbranch_execz .LBB8_4
; %bb.3:                                ;   in Loop: Header=BB8_2 Depth=1
	ds_load_2addr_b32 v[14:15], v0 offset1:1
	v_cmp_eq_u32_e64 s2, 0, v10
	s_waitcnt lgkmcnt(0)
	v_add_f32_e32 v16, v14, v15
	s_delay_alu instid0(VALU_DEP_1) | instskip(NEXT) | instid1(VALU_DEP_1)
	v_mov_b32_dpp v17, v16 row_shr:1 row_mask:0xf bank_mask:0xf
	v_add_f32_e32 v17, v16, v17
	s_delay_alu instid0(VALU_DEP_1) | instskip(SKIP_1) | instid1(VALU_DEP_2)
	v_cndmask_b32_e64 v16, v17, v16, s2
	v_cmp_lt_u32_e64 s2, 1, v10
	v_mov_b32_dpp v17, v16 row_shr:2 row_mask:0xf bank_mask:0xf
	s_delay_alu instid0(VALU_DEP_1) | instskip(NEXT) | instid1(VALU_DEP_1)
	v_add_f32_e32 v17, v16, v17
	v_cndmask_b32_e64 v16, v16, v17, s2
	v_cmp_lt_u32_e64 s2, 3, v10
	s_delay_alu instid0(VALU_DEP_2) | instskip(NEXT) | instid1(VALU_DEP_1)
	v_mov_b32_dpp v17, v16 row_shr:4 row_mask:0xf bank_mask:0xf
	v_add_f32_e32 v17, v16, v17
	s_delay_alu instid0(VALU_DEP_1) | instskip(SKIP_1) | instid1(VALU_DEP_2)
	v_cndmask_b32_e64 v16, v16, v17, s2
	v_cmp_lt_u32_e64 s2, 7, v10
	v_mov_b32_dpp v17, v16 row_shr:8 row_mask:0xf bank_mask:0xf
	s_delay_alu instid0(VALU_DEP_1) | instskip(NEXT) | instid1(VALU_DEP_1)
	v_add_f32_e32 v17, v16, v17
	v_cndmask_b32_e64 v16, v16, v17, s2
	v_cmp_gt_i32_e64 s2, 0, v12
	ds_swizzle_b32 v17, v16 offset:swizzle(BROADCAST,32,15)
	v_cndmask_b32_e64 v18, v12, v8, s2
	v_cmp_eq_u32_e64 s2, 0, v11
	s_waitcnt lgkmcnt(0)
	v_add_f32_e32 v17, v16, v17
	s_delay_alu instid0(VALU_DEP_1) | instskip(SKIP_4) | instid1(VALU_DEP_1)
	v_cndmask_b32_e64 v16, v17, v16, s2
	v_lshlrev_b32_e32 v17, 2, v18
	ds_bpermute_b32 v16, v17, v16
	s_waitcnt lgkmcnt(0)
	v_add_f32_e32 v14, v14, v16
	v_cndmask_b32_e64 v14, v14, v13, s0
	s_delay_alu instid0(VALU_DEP_1)
	v_add_f32_e32 v15, v15, v14
	ds_store_2addr_b32 v0, v14, v15 offset1:1
.LBB8_4:                                ;   in Loop: Header=BB8_2 Depth=1
	s_or_b32 exec_lo, exec_lo, s4
	s_waitcnt lgkmcnt(0)
	s_barrier
	buffer_gl0_inv
	s_and_saveexec_b32 s2, s1
	s_cbranch_execz .LBB8_1
; %bb.5:                                ;   in Loop: Header=BB8_2 Depth=1
	ds_load_b32 v13, v9
	s_branch .LBB8_1
.LBB8_6:
	v_add_co_u32 v5, vcc_lo, s6, v5
	v_add_co_ci_u32_e32 v6, vcc_lo, s7, v6, vcc_lo
	global_store_b128 v[5:6], v[1:4], off
	s_nop 0
	s_sendmsg sendmsg(MSG_DEALLOC_VGPRS)
	s_endpgm
	.section	.rodata,"a",@progbits
	.p2align	6, 0x0
	.amdhsa_kernel _Z6kernelI14inclusive_scanILN6hipcub18BlockScanAlgorithmE1EEfLj64ELj4ELj100EEvPKT0_PS4_S4_
		.amdhsa_group_segment_fixed_size 264
		.amdhsa_private_segment_fixed_size 0
		.amdhsa_kernarg_size 280
		.amdhsa_user_sgpr_count 15
		.amdhsa_user_sgpr_dispatch_ptr 0
		.amdhsa_user_sgpr_queue_ptr 0
		.amdhsa_user_sgpr_kernarg_segment_ptr 1
		.amdhsa_user_sgpr_dispatch_id 0
		.amdhsa_user_sgpr_private_segment_size 0
		.amdhsa_wavefront_size32 1
		.amdhsa_uses_dynamic_stack 0
		.amdhsa_enable_private_segment 0
		.amdhsa_system_sgpr_workgroup_id_x 1
		.amdhsa_system_sgpr_workgroup_id_y 0
		.amdhsa_system_sgpr_workgroup_id_z 0
		.amdhsa_system_sgpr_workgroup_info 0
		.amdhsa_system_vgpr_workitem_id 0
		.amdhsa_next_free_vgpr 19
		.amdhsa_next_free_sgpr 16
		.amdhsa_reserve_vcc 1
		.amdhsa_float_round_mode_32 0
		.amdhsa_float_round_mode_16_64 0
		.amdhsa_float_denorm_mode_32 3
		.amdhsa_float_denorm_mode_16_64 3
		.amdhsa_dx10_clamp 1
		.amdhsa_ieee_mode 1
		.amdhsa_fp16_overflow 0
		.amdhsa_workgroup_processor_mode 1
		.amdhsa_memory_ordered 1
		.amdhsa_forward_progress 0
		.amdhsa_shared_vgpr_count 0
		.amdhsa_exception_fp_ieee_invalid_op 0
		.amdhsa_exception_fp_denorm_src 0
		.amdhsa_exception_fp_ieee_div_zero 0
		.amdhsa_exception_fp_ieee_overflow 0
		.amdhsa_exception_fp_ieee_underflow 0
		.amdhsa_exception_fp_ieee_inexact 0
		.amdhsa_exception_int_div_zero 0
	.end_amdhsa_kernel
	.section	.text._Z6kernelI14inclusive_scanILN6hipcub18BlockScanAlgorithmE1EEfLj64ELj4ELj100EEvPKT0_PS4_S4_,"axG",@progbits,_Z6kernelI14inclusive_scanILN6hipcub18BlockScanAlgorithmE1EEfLj64ELj4ELj100EEvPKT0_PS4_S4_,comdat
.Lfunc_end8:
	.size	_Z6kernelI14inclusive_scanILN6hipcub18BlockScanAlgorithmE1EEfLj64ELj4ELj100EEvPKT0_PS4_S4_, .Lfunc_end8-_Z6kernelI14inclusive_scanILN6hipcub18BlockScanAlgorithmE1EEfLj64ELj4ELj100EEvPKT0_PS4_S4_
                                        ; -- End function
	.section	.AMDGPU.csdata,"",@progbits
; Kernel info:
; codeLenInByte = 608
; NumSgprs: 18
; NumVgprs: 19
; ScratchSize: 0
; MemoryBound: 0
; FloatMode: 240
; IeeeMode: 1
; LDSByteSize: 264 bytes/workgroup (compile time only)
; SGPRBlocks: 2
; VGPRBlocks: 2
; NumSGPRsForWavesPerEU: 18
; NumVGPRsForWavesPerEU: 19
; Occupancy: 16
; WaveLimiterHint : 0
; COMPUTE_PGM_RSRC2:SCRATCH_EN: 0
; COMPUTE_PGM_RSRC2:USER_SGPR: 15
; COMPUTE_PGM_RSRC2:TRAP_HANDLER: 0
; COMPUTE_PGM_RSRC2:TGID_X_EN: 1
; COMPUTE_PGM_RSRC2:TGID_Y_EN: 0
; COMPUTE_PGM_RSRC2:TGID_Z_EN: 0
; COMPUTE_PGM_RSRC2:TIDIG_COMP_CNT: 0
	.section	.text._Z6kernelI14inclusive_scanILN6hipcub18BlockScanAlgorithmE1EEfLj64ELj8ELj100EEvPKT0_PS4_S4_,"axG",@progbits,_Z6kernelI14inclusive_scanILN6hipcub18BlockScanAlgorithmE1EEfLj64ELj8ELj100EEvPKT0_PS4_S4_,comdat
	.protected	_Z6kernelI14inclusive_scanILN6hipcub18BlockScanAlgorithmE1EEfLj64ELj8ELj100EEvPKT0_PS4_S4_ ; -- Begin function _Z6kernelI14inclusive_scanILN6hipcub18BlockScanAlgorithmE1EEfLj64ELj8ELj100EEvPKT0_PS4_S4_
	.globl	_Z6kernelI14inclusive_scanILN6hipcub18BlockScanAlgorithmE1EEfLj64ELj8ELj100EEvPKT0_PS4_S4_
	.p2align	8
	.type	_Z6kernelI14inclusive_scanILN6hipcub18BlockScanAlgorithmE1EEfLj64ELj8ELj100EEvPKT0_PS4_S4_,@function
_Z6kernelI14inclusive_scanILN6hipcub18BlockScanAlgorithmE1EEfLj64ELj8ELj100EEvPKT0_PS4_S4_: ; @_Z6kernelI14inclusive_scanILN6hipcub18BlockScanAlgorithmE1EEfLj64ELj8ELj100EEvPKT0_PS4_S4_
; %bb.0:
	s_clause 0x1
	s_load_b32 s2, s[0:1], 0x24
	s_load_b128 s[4:7], s[0:1], 0x0
	v_dual_mov_b32 v2, 0 :: v_dual_add_nc_u32 v13, -1, v0
	v_lshrrev_b32_e32 v11, 5, v0
	v_lshlrev_b32_e32 v14, 1, v0
	v_lshrrev_b32_e32 v15, 4, v0
	v_mbcnt_lo_u32_b32 v12, -1, 0
	v_lshrrev_b32_e32 v16, 5, v13
	v_add_lshl_u32 v11, v11, v0, 2
	v_cmp_ne_u32_e64 s1, 0, v0
	s_movk_i32 s3, 0x64
	s_delay_alu instid0(VALU_DEP_3) | instskip(SKIP_3) | instid1(SALU_CYCLE_1)
	v_add_lshl_u32 v13, v16, v13, 2
	v_add_nc_u32_e32 v16, -1, v12
	s_waitcnt lgkmcnt(0)
	s_and_b32 s0, s2, 0xffff
	s_mul_i32 s15, s15, s0
	v_cmp_eq_u32_e64 s0, 0, v0
	v_add_lshl_u32 v1, s15, v0, 3
	s_delay_alu instid0(VALU_DEP_1) | instskip(NEXT) | instid1(VALU_DEP_1)
	v_lshlrev_b64 v[9:10], 2, v[1:2]
	v_add_co_u32 v1, vcc_lo, s4, v9
	s_delay_alu instid0(VALU_DEP_2)
	v_add_co_ci_u32_e32 v2, vcc_lo, s5, v10, vcc_lo
	v_cmp_gt_u32_e32 vcc_lo, 32, v0
	v_add_lshl_u32 v0, v15, v14, 2
	v_and_b32_e32 v14, 15, v12
	s_clause 0x1
	global_load_b128 v[5:8], v[1:2], off
	global_load_b128 v[1:4], v[1:2], off offset:16
	v_and_b32_e32 v15, 16, v12
	s_branch .LBB9_2
.LBB9_1:                                ;   in Loop: Header=BB9_2 Depth=1
	s_or_b32 exec_lo, exec_lo, s2
	s_waitcnt lgkmcnt(0)
	v_add_f32_e32 v17, v5, v17
	s_add_i32 s3, s3, -1
	s_delay_alu instid0(SALU_CYCLE_1) | instskip(NEXT) | instid1(VALU_DEP_1)
	s_cmp_lg_u32 s3, 0
	v_cndmask_b32_e64 v5, v17, v5, s0
	s_delay_alu instid0(VALU_DEP_1) | instskip(NEXT) | instid1(VALU_DEP_1)
	v_add_f32_e32 v6, v6, v5
	v_add_f32_e32 v7, v7, v6
	s_delay_alu instid0(VALU_DEP_1) | instskip(NEXT) | instid1(VALU_DEP_1)
	v_add_f32_e32 v8, v8, v7
	v_add_f32_e32 v1, v1, v8
	;; [unrolled: 3-line block ×3, first 2 shown]
	s_delay_alu instid0(VALU_DEP_1)
	v_add_f32_e32 v4, v4, v3
	s_cbranch_scc0 .LBB9_6
.LBB9_2:                                ; =>This Inner Loop Header: Depth=1
	s_waitcnt vmcnt(1)
	v_add_f32_e32 v17, v5, v6
	s_delay_alu instid0(VALU_DEP_1) | instskip(NEXT) | instid1(VALU_DEP_1)
	v_add_f32_e32 v17, v7, v17
	v_add_f32_e32 v17, v8, v17
	s_waitcnt vmcnt(0)
	s_delay_alu instid0(VALU_DEP_1) | instskip(NEXT) | instid1(VALU_DEP_1)
	v_add_f32_e32 v17, v1, v17
	v_add_f32_e32 v17, v2, v17
	s_delay_alu instid0(VALU_DEP_1) | instskip(NEXT) | instid1(VALU_DEP_1)
	v_add_f32_e32 v17, v3, v17
	v_add_f32_e32 v17, v4, v17
	ds_store_b32 v11, v17
	s_waitcnt lgkmcnt(0)
	s_barrier
	buffer_gl0_inv
	s_and_saveexec_b32 s4, vcc_lo
	s_cbranch_execz .LBB9_4
; %bb.3:                                ;   in Loop: Header=BB9_2 Depth=1
	ds_load_2addr_b32 v[18:19], v0 offset1:1
	v_cmp_eq_u32_e64 s2, 0, v14
	s_waitcnt lgkmcnt(0)
	v_add_f32_e32 v20, v18, v19
	s_delay_alu instid0(VALU_DEP_1) | instskip(NEXT) | instid1(VALU_DEP_1)
	v_mov_b32_dpp v21, v20 row_shr:1 row_mask:0xf bank_mask:0xf
	v_add_f32_e32 v21, v20, v21
	s_delay_alu instid0(VALU_DEP_1) | instskip(SKIP_1) | instid1(VALU_DEP_2)
	v_cndmask_b32_e64 v20, v21, v20, s2
	v_cmp_lt_u32_e64 s2, 1, v14
	v_mov_b32_dpp v21, v20 row_shr:2 row_mask:0xf bank_mask:0xf
	s_delay_alu instid0(VALU_DEP_1) | instskip(NEXT) | instid1(VALU_DEP_1)
	v_add_f32_e32 v21, v20, v21
	v_cndmask_b32_e64 v20, v20, v21, s2
	v_cmp_lt_u32_e64 s2, 3, v14
	s_delay_alu instid0(VALU_DEP_2) | instskip(NEXT) | instid1(VALU_DEP_1)
	v_mov_b32_dpp v21, v20 row_shr:4 row_mask:0xf bank_mask:0xf
	v_add_f32_e32 v21, v20, v21
	s_delay_alu instid0(VALU_DEP_1) | instskip(SKIP_1) | instid1(VALU_DEP_2)
	v_cndmask_b32_e64 v20, v20, v21, s2
	v_cmp_lt_u32_e64 s2, 7, v14
	v_mov_b32_dpp v21, v20 row_shr:8 row_mask:0xf bank_mask:0xf
	s_delay_alu instid0(VALU_DEP_1) | instskip(NEXT) | instid1(VALU_DEP_1)
	v_add_f32_e32 v21, v20, v21
	v_cndmask_b32_e64 v20, v20, v21, s2
	v_cmp_gt_i32_e64 s2, 0, v16
	ds_swizzle_b32 v21, v20 offset:swizzle(BROADCAST,32,15)
	v_cndmask_b32_e64 v22, v16, v12, s2
	v_cmp_eq_u32_e64 s2, 0, v15
	s_waitcnt lgkmcnt(0)
	v_add_f32_e32 v21, v20, v21
	s_delay_alu instid0(VALU_DEP_1) | instskip(SKIP_4) | instid1(VALU_DEP_1)
	v_cndmask_b32_e64 v20, v21, v20, s2
	v_lshlrev_b32_e32 v21, 2, v22
	ds_bpermute_b32 v20, v21, v20
	s_waitcnt lgkmcnt(0)
	v_add_f32_e32 v18, v18, v20
	v_cndmask_b32_e64 v18, v18, v17, s0
	s_delay_alu instid0(VALU_DEP_1)
	v_add_f32_e32 v19, v19, v18
	ds_store_2addr_b32 v0, v18, v19 offset1:1
.LBB9_4:                                ;   in Loop: Header=BB9_2 Depth=1
	s_or_b32 exec_lo, exec_lo, s4
	s_waitcnt lgkmcnt(0)
	s_barrier
	buffer_gl0_inv
	s_and_saveexec_b32 s2, s1
	s_cbranch_execz .LBB9_1
; %bb.5:                                ;   in Loop: Header=BB9_2 Depth=1
	ds_load_b32 v17, v13
	s_branch .LBB9_1
.LBB9_6:
	v_add_co_u32 v9, vcc_lo, s6, v9
	v_add_co_ci_u32_e32 v10, vcc_lo, s7, v10, vcc_lo
	s_clause 0x1
	global_store_b128 v[9:10], v[5:8], off
	global_store_b128 v[9:10], v[1:4], off offset:16
	s_nop 0
	s_sendmsg sendmsg(MSG_DEALLOC_VGPRS)
	s_endpgm
	.section	.rodata,"a",@progbits
	.p2align	6, 0x0
	.amdhsa_kernel _Z6kernelI14inclusive_scanILN6hipcub18BlockScanAlgorithmE1EEfLj64ELj8ELj100EEvPKT0_PS4_S4_
		.amdhsa_group_segment_fixed_size 264
		.amdhsa_private_segment_fixed_size 0
		.amdhsa_kernarg_size 280
		.amdhsa_user_sgpr_count 15
		.amdhsa_user_sgpr_dispatch_ptr 0
		.amdhsa_user_sgpr_queue_ptr 0
		.amdhsa_user_sgpr_kernarg_segment_ptr 1
		.amdhsa_user_sgpr_dispatch_id 0
		.amdhsa_user_sgpr_private_segment_size 0
		.amdhsa_wavefront_size32 1
		.amdhsa_uses_dynamic_stack 0
		.amdhsa_enable_private_segment 0
		.amdhsa_system_sgpr_workgroup_id_x 1
		.amdhsa_system_sgpr_workgroup_id_y 0
		.amdhsa_system_sgpr_workgroup_id_z 0
		.amdhsa_system_sgpr_workgroup_info 0
		.amdhsa_system_vgpr_workitem_id 0
		.amdhsa_next_free_vgpr 23
		.amdhsa_next_free_sgpr 16
		.amdhsa_reserve_vcc 1
		.amdhsa_float_round_mode_32 0
		.amdhsa_float_round_mode_16_64 0
		.amdhsa_float_denorm_mode_32 3
		.amdhsa_float_denorm_mode_16_64 3
		.amdhsa_dx10_clamp 1
		.amdhsa_ieee_mode 1
		.amdhsa_fp16_overflow 0
		.amdhsa_workgroup_processor_mode 1
		.amdhsa_memory_ordered 1
		.amdhsa_forward_progress 0
		.amdhsa_shared_vgpr_count 0
		.amdhsa_exception_fp_ieee_invalid_op 0
		.amdhsa_exception_fp_denorm_src 0
		.amdhsa_exception_fp_ieee_div_zero 0
		.amdhsa_exception_fp_ieee_overflow 0
		.amdhsa_exception_fp_ieee_underflow 0
		.amdhsa_exception_fp_ieee_inexact 0
		.amdhsa_exception_int_div_zero 0
	.end_amdhsa_kernel
	.section	.text._Z6kernelI14inclusive_scanILN6hipcub18BlockScanAlgorithmE1EEfLj64ELj8ELj100EEvPKT0_PS4_S4_,"axG",@progbits,_Z6kernelI14inclusive_scanILN6hipcub18BlockScanAlgorithmE1EEfLj64ELj8ELj100EEvPKT0_PS4_S4_,comdat
.Lfunc_end9:
	.size	_Z6kernelI14inclusive_scanILN6hipcub18BlockScanAlgorithmE1EEfLj64ELj8ELj100EEvPKT0_PS4_S4_, .Lfunc_end9-_Z6kernelI14inclusive_scanILN6hipcub18BlockScanAlgorithmE1EEfLj64ELj8ELj100EEvPKT0_PS4_S4_
                                        ; -- End function
	.section	.AMDGPU.csdata,"",@progbits
; Kernel info:
; codeLenInByte = 684
; NumSgprs: 18
; NumVgprs: 23
; ScratchSize: 0
; MemoryBound: 0
; FloatMode: 240
; IeeeMode: 1
; LDSByteSize: 264 bytes/workgroup (compile time only)
; SGPRBlocks: 2
; VGPRBlocks: 2
; NumSGPRsForWavesPerEU: 18
; NumVGPRsForWavesPerEU: 23
; Occupancy: 16
; WaveLimiterHint : 0
; COMPUTE_PGM_RSRC2:SCRATCH_EN: 0
; COMPUTE_PGM_RSRC2:USER_SGPR: 15
; COMPUTE_PGM_RSRC2:TRAP_HANDLER: 0
; COMPUTE_PGM_RSRC2:TGID_X_EN: 1
; COMPUTE_PGM_RSRC2:TGID_Y_EN: 0
; COMPUTE_PGM_RSRC2:TGID_Z_EN: 0
; COMPUTE_PGM_RSRC2:TIDIG_COMP_CNT: 0
	.section	.text._Z6kernelI14inclusive_scanILN6hipcub18BlockScanAlgorithmE1EEfLj64ELj11ELj100EEvPKT0_PS4_S4_,"axG",@progbits,_Z6kernelI14inclusive_scanILN6hipcub18BlockScanAlgorithmE1EEfLj64ELj11ELj100EEvPKT0_PS4_S4_,comdat
	.protected	_Z6kernelI14inclusive_scanILN6hipcub18BlockScanAlgorithmE1EEfLj64ELj11ELj100EEvPKT0_PS4_S4_ ; -- Begin function _Z6kernelI14inclusive_scanILN6hipcub18BlockScanAlgorithmE1EEfLj64ELj11ELj100EEvPKT0_PS4_S4_
	.globl	_Z6kernelI14inclusive_scanILN6hipcub18BlockScanAlgorithmE1EEfLj64ELj11ELj100EEvPKT0_PS4_S4_
	.p2align	8
	.type	_Z6kernelI14inclusive_scanILN6hipcub18BlockScanAlgorithmE1EEfLj64ELj11ELj100EEvPKT0_PS4_S4_,@function
_Z6kernelI14inclusive_scanILN6hipcub18BlockScanAlgorithmE1EEfLj64ELj11ELj100EEvPKT0_PS4_S4_: ; @_Z6kernelI14inclusive_scanILN6hipcub18BlockScanAlgorithmE1EEfLj64ELj11ELj100EEvPKT0_PS4_S4_
; %bb.0:
	s_clause 0x1
	s_load_b32 s2, s[0:1], 0x24
	s_load_b128 s[4:7], s[0:1], 0x0
	v_cmp_eq_u32_e64 s0, 0, v0
	v_cmp_ne_u32_e64 s1, 0, v0
	s_movk_i32 s3, 0x64
	s_waitcnt lgkmcnt(0)
	s_and_b32 s2, s2, 0xffff
	s_delay_alu instid0(SALU_CYCLE_1) | instskip(NEXT) | instid1(VALU_DEP_1)
	v_mad_u64_u32 v[1:2], null, s15, s2, v[0:1]
	v_mul_lo_u32 v21, v1, 11
	s_delay_alu instid0(VALU_DEP_1) | instskip(NEXT) | instid1(VALU_DEP_1)
	v_dual_mov_b32 v22, 0 :: v_dual_add_nc_u32 v1, 1, v21
	v_dual_mov_b32 v2, v22 :: v_dual_add_nc_u32 v3, 2, v21
	v_lshlrev_b64 v[15:16], 2, v[21:22]
	v_dual_mov_b32 v4, v22 :: v_dual_add_nc_u32 v5, 3, v21
	s_delay_alu instid0(VALU_DEP_3) | instskip(SKIP_1) | instid1(VALU_DEP_3)
	v_lshlrev_b64 v[17:18], 2, v[1:2]
	v_dual_mov_b32 v6, v22 :: v_dual_add_nc_u32 v7, 4, v21
	v_lshlrev_b64 v[13:14], 2, v[3:4]
	v_add_co_u32 v25, vcc_lo, s4, v15
	v_dual_mov_b32 v8, v22 :: v_dual_add_nc_u32 v11, 5, v21
	v_add_co_ci_u32_e32 v26, vcc_lo, s5, v16, vcc_lo
	v_lshlrev_b64 v[9:10], 2, v[5:6]
	v_add_co_u32 v27, vcc_lo, s4, v17
	v_dual_mov_b32 v12, v22 :: v_dual_add_nc_u32 v19, 6, v21
	v_add_co_ci_u32_e32 v28, vcc_lo, s5, v18, vcc_lo
	;; [unrolled: 4-line block ×4, first 2 shown]
	v_lshlrev_b64 v[1:2], 2, v[19:20]
	v_add_co_u32 v36, vcc_lo, s4, v5
	v_add_co_ci_u32_e32 v37, vcc_lo, s5, v6, vcc_lo
	v_add_co_u32 v38, vcc_lo, s4, v3
	v_lshlrev_b64 v[7:8], 2, v[23:24]
	v_add_nc_u32_e32 v19, 9, v21
	v_add_co_ci_u32_e32 v39, vcc_lo, s5, v4, vcc_lo
	v_add_co_u32 v23, vcc_lo, s4, v1
	v_lshlrev_b64 v[11:12], 2, v[11:12]
	v_add_nc_u32_e32 v21, 10, v21
	v_add_co_ci_u32_e32 v24, vcc_lo, s5, v2, vcc_lo
	v_add_co_u32 v40, vcc_lo, s4, v7
	v_lshlrev_b64 v[19:20], 2, v[19:20]
	v_add_co_ci_u32_e32 v41, vcc_lo, s5, v8, vcc_lo
	v_add_co_u32 v42, vcc_lo, s4, v11
	v_lshlrev_b64 v[21:22], 2, v[21:22]
	v_add_co_ci_u32_e32 v43, vcc_lo, s5, v12, vcc_lo
	v_add_co_u32 v44, vcc_lo, s4, v19
	v_add_co_ci_u32_e32 v45, vcc_lo, s5, v20, vcc_lo
	s_delay_alu instid0(VALU_DEP_4)
	v_add_co_u32 v46, vcc_lo, s4, v21
	v_add_co_ci_u32_e32 v47, vcc_lo, s5, v22, vcc_lo
	s_clause 0xa
	global_load_b32 v33, v[25:26], off
	global_load_b32 v32, v[27:28], off
	;; [unrolled: 1-line block ×11, first 2 shown]
	v_add_nc_u32_e32 v36, -1, v0
	v_lshrrev_b32_e32 v34, 5, v0
	v_lshlrev_b32_e32 v37, 1, v0
	v_lshrrev_b32_e32 v38, 4, v0
	v_mbcnt_lo_u32_b32 v35, -1, 0
	v_lshrrev_b32_e32 v39, 5, v36
	v_add_lshl_u32 v34, v34, v0, 2
	v_cmp_gt_u32_e32 vcc_lo, 32, v0
	v_add_lshl_u32 v0, v38, v37, 2
	v_and_b32_e32 v37, 15, v35
	v_add_lshl_u32 v36, v39, v36, 2
	v_and_b32_e32 v38, 16, v35
	v_add_nc_u32_e32 v39, -1, v35
	s_branch .LBB10_2
.LBB10_1:                               ;   in Loop: Header=BB10_2 Depth=1
	s_or_b32 exec_lo, exec_lo, s2
	s_waitcnt lgkmcnt(0)
	v_add_f32_e32 v40, v33, v40
	s_add_i32 s3, s3, -1
	s_delay_alu instid0(SALU_CYCLE_1) | instskip(NEXT) | instid1(VALU_DEP_1)
	s_cmp_lg_u32 s3, 0
	v_cndmask_b32_e64 v33, v40, v33, s0
	s_delay_alu instid0(VALU_DEP_1) | instskip(NEXT) | instid1(VALU_DEP_1)
	v_add_f32_e32 v32, v32, v33
	v_add_f32_e32 v31, v31, v32
	s_delay_alu instid0(VALU_DEP_1) | instskip(NEXT) | instid1(VALU_DEP_1)
	v_add_f32_e32 v30, v30, v31
	v_add_f32_e32 v29, v29, v30
	s_delay_alu instid0(VALU_DEP_1) | instskip(NEXT) | instid1(VALU_DEP_1)
	v_add_f32_e32 v28, v28, v29
	v_add_f32_e32 v27, v27, v28
	s_delay_alu instid0(VALU_DEP_1) | instskip(NEXT) | instid1(VALU_DEP_1)
	v_add_f32_e32 v26, v26, v27
	v_add_f32_e32 v25, v25, v26
	s_delay_alu instid0(VALU_DEP_1) | instskip(NEXT) | instid1(VALU_DEP_1)
	v_add_f32_e32 v24, v24, v25
	v_add_f32_e32 v23, v23, v24
	s_cbranch_scc0 .LBB10_6
.LBB10_2:                               ; =>This Inner Loop Header: Depth=1
	s_waitcnt vmcnt(9)
	v_add_f32_e32 v40, v32, v33
	s_waitcnt vmcnt(8)
	s_delay_alu instid0(VALU_DEP_1) | instskip(SKIP_1) | instid1(VALU_DEP_1)
	v_add_f32_e32 v40, v31, v40
	s_waitcnt vmcnt(7)
	v_add_f32_e32 v40, v30, v40
	s_waitcnt vmcnt(6)
	s_delay_alu instid0(VALU_DEP_1) | instskip(SKIP_1) | instid1(VALU_DEP_1)
	v_add_f32_e32 v40, v29, v40
	;; [unrolled: 5-line block ×4, first 2 shown]
	s_waitcnt vmcnt(1)
	v_add_f32_e32 v40, v24, v40
	s_waitcnt vmcnt(0)
	s_delay_alu instid0(VALU_DEP_1)
	v_add_f32_e32 v40, v23, v40
	ds_store_b32 v34, v40
	s_waitcnt lgkmcnt(0)
	s_barrier
	buffer_gl0_inv
	s_and_saveexec_b32 s4, vcc_lo
	s_cbranch_execz .LBB10_4
; %bb.3:                                ;   in Loop: Header=BB10_2 Depth=1
	ds_load_2addr_b32 v[41:42], v0 offset1:1
	v_cmp_eq_u32_e64 s2, 0, v37
	s_waitcnt lgkmcnt(0)
	v_add_f32_e32 v43, v41, v42
	s_delay_alu instid0(VALU_DEP_1) | instskip(NEXT) | instid1(VALU_DEP_1)
	v_mov_b32_dpp v44, v43 row_shr:1 row_mask:0xf bank_mask:0xf
	v_add_f32_e32 v44, v43, v44
	s_delay_alu instid0(VALU_DEP_1) | instskip(SKIP_1) | instid1(VALU_DEP_2)
	v_cndmask_b32_e64 v43, v44, v43, s2
	v_cmp_lt_u32_e64 s2, 1, v37
	v_mov_b32_dpp v44, v43 row_shr:2 row_mask:0xf bank_mask:0xf
	s_delay_alu instid0(VALU_DEP_1) | instskip(NEXT) | instid1(VALU_DEP_1)
	v_add_f32_e32 v44, v43, v44
	v_cndmask_b32_e64 v43, v43, v44, s2
	v_cmp_lt_u32_e64 s2, 3, v37
	s_delay_alu instid0(VALU_DEP_2) | instskip(NEXT) | instid1(VALU_DEP_1)
	v_mov_b32_dpp v44, v43 row_shr:4 row_mask:0xf bank_mask:0xf
	v_add_f32_e32 v44, v43, v44
	s_delay_alu instid0(VALU_DEP_1) | instskip(SKIP_1) | instid1(VALU_DEP_2)
	v_cndmask_b32_e64 v43, v43, v44, s2
	v_cmp_lt_u32_e64 s2, 7, v37
	v_mov_b32_dpp v44, v43 row_shr:8 row_mask:0xf bank_mask:0xf
	s_delay_alu instid0(VALU_DEP_1) | instskip(NEXT) | instid1(VALU_DEP_1)
	v_add_f32_e32 v44, v43, v44
	v_cndmask_b32_e64 v43, v43, v44, s2
	v_cmp_gt_i32_e64 s2, 0, v39
	ds_swizzle_b32 v44, v43 offset:swizzle(BROADCAST,32,15)
	v_cndmask_b32_e64 v45, v39, v35, s2
	v_cmp_eq_u32_e64 s2, 0, v38
	s_waitcnt lgkmcnt(0)
	v_add_f32_e32 v44, v43, v44
	s_delay_alu instid0(VALU_DEP_1) | instskip(SKIP_4) | instid1(VALU_DEP_1)
	v_cndmask_b32_e64 v43, v44, v43, s2
	v_lshlrev_b32_e32 v44, 2, v45
	ds_bpermute_b32 v43, v44, v43
	s_waitcnt lgkmcnt(0)
	v_add_f32_e32 v41, v41, v43
	v_cndmask_b32_e64 v41, v41, v40, s0
	s_delay_alu instid0(VALU_DEP_1)
	v_add_f32_e32 v42, v42, v41
	ds_store_2addr_b32 v0, v41, v42 offset1:1
.LBB10_4:                               ;   in Loop: Header=BB10_2 Depth=1
	s_or_b32 exec_lo, exec_lo, s4
	s_waitcnt lgkmcnt(0)
	s_barrier
	buffer_gl0_inv
	s_and_saveexec_b32 s2, s1
	s_cbranch_execz .LBB10_1
; %bb.5:                                ;   in Loop: Header=BB10_2 Depth=1
	ds_load_b32 v40, v36
	s_branch .LBB10_1
.LBB10_6:
	v_add_co_u32 v15, vcc_lo, s6, v15
	v_add_co_ci_u32_e32 v16, vcc_lo, s7, v16, vcc_lo
	v_add_co_u32 v17, vcc_lo, s6, v17
	v_add_co_ci_u32_e32 v18, vcc_lo, s7, v18, vcc_lo
	v_add_co_u32 v13, vcc_lo, s6, v13
	v_add_co_ci_u32_e32 v14, vcc_lo, s7, v14, vcc_lo
	v_add_co_u32 v9, vcc_lo, s6, v9
	v_add_co_ci_u32_e32 v10, vcc_lo, s7, v10, vcc_lo
	v_add_co_u32 v5, vcc_lo, s6, v5
	v_add_co_ci_u32_e32 v6, vcc_lo, s7, v6, vcc_lo
	v_add_co_u32 v3, vcc_lo, s6, v3
	v_add_co_ci_u32_e32 v4, vcc_lo, s7, v4, vcc_lo
	v_add_co_u32 v0, vcc_lo, s6, v1
	v_add_co_ci_u32_e32 v1, vcc_lo, s7, v2, vcc_lo
	v_add_co_u32 v7, vcc_lo, s6, v7
	v_add_co_ci_u32_e32 v8, vcc_lo, s7, v8, vcc_lo
	v_add_co_u32 v11, vcc_lo, s6, v11
	v_add_co_ci_u32_e32 v12, vcc_lo, s7, v12, vcc_lo
	v_add_co_u32 v19, vcc_lo, s6, v19
	v_add_co_ci_u32_e32 v20, vcc_lo, s7, v20, vcc_lo
	v_add_co_u32 v21, vcc_lo, s6, v21
	v_add_co_ci_u32_e32 v22, vcc_lo, s7, v22, vcc_lo
	s_clause 0xa
	global_store_b32 v[15:16], v33, off
	global_store_b32 v[17:18], v32, off
	;; [unrolled: 1-line block ×11, first 2 shown]
	s_nop 0
	s_sendmsg sendmsg(MSG_DEALLOC_VGPRS)
	s_endpgm
	.section	.rodata,"a",@progbits
	.p2align	6, 0x0
	.amdhsa_kernel _Z6kernelI14inclusive_scanILN6hipcub18BlockScanAlgorithmE1EEfLj64ELj11ELj100EEvPKT0_PS4_S4_
		.amdhsa_group_segment_fixed_size 264
		.amdhsa_private_segment_fixed_size 0
		.amdhsa_kernarg_size 280
		.amdhsa_user_sgpr_count 15
		.amdhsa_user_sgpr_dispatch_ptr 0
		.amdhsa_user_sgpr_queue_ptr 0
		.amdhsa_user_sgpr_kernarg_segment_ptr 1
		.amdhsa_user_sgpr_dispatch_id 0
		.amdhsa_user_sgpr_private_segment_size 0
		.amdhsa_wavefront_size32 1
		.amdhsa_uses_dynamic_stack 0
		.amdhsa_enable_private_segment 0
		.amdhsa_system_sgpr_workgroup_id_x 1
		.amdhsa_system_sgpr_workgroup_id_y 0
		.amdhsa_system_sgpr_workgroup_id_z 0
		.amdhsa_system_sgpr_workgroup_info 0
		.amdhsa_system_vgpr_workitem_id 0
		.amdhsa_next_free_vgpr 48
		.amdhsa_next_free_sgpr 16
		.amdhsa_reserve_vcc 1
		.amdhsa_float_round_mode_32 0
		.amdhsa_float_round_mode_16_64 0
		.amdhsa_float_denorm_mode_32 3
		.amdhsa_float_denorm_mode_16_64 3
		.amdhsa_dx10_clamp 1
		.amdhsa_ieee_mode 1
		.amdhsa_fp16_overflow 0
		.amdhsa_workgroup_processor_mode 1
		.amdhsa_memory_ordered 1
		.amdhsa_forward_progress 0
		.amdhsa_shared_vgpr_count 0
		.amdhsa_exception_fp_ieee_invalid_op 0
		.amdhsa_exception_fp_denorm_src 0
		.amdhsa_exception_fp_ieee_div_zero 0
		.amdhsa_exception_fp_ieee_overflow 0
		.amdhsa_exception_fp_ieee_underflow 0
		.amdhsa_exception_fp_ieee_inexact 0
		.amdhsa_exception_int_div_zero 0
	.end_amdhsa_kernel
	.section	.text._Z6kernelI14inclusive_scanILN6hipcub18BlockScanAlgorithmE1EEfLj64ELj11ELj100EEvPKT0_PS4_S4_,"axG",@progbits,_Z6kernelI14inclusive_scanILN6hipcub18BlockScanAlgorithmE1EEfLj64ELj11ELj100EEvPKT0_PS4_S4_,comdat
.Lfunc_end10:
	.size	_Z6kernelI14inclusive_scanILN6hipcub18BlockScanAlgorithmE1EEfLj64ELj11ELj100EEvPKT0_PS4_S4_, .Lfunc_end10-_Z6kernelI14inclusive_scanILN6hipcub18BlockScanAlgorithmE1EEfLj64ELj11ELj100EEvPKT0_PS4_S4_
                                        ; -- End function
	.section	.AMDGPU.csdata,"",@progbits
; Kernel info:
; codeLenInByte = 1292
; NumSgprs: 18
; NumVgprs: 48
; ScratchSize: 0
; MemoryBound: 0
; FloatMode: 240
; IeeeMode: 1
; LDSByteSize: 264 bytes/workgroup (compile time only)
; SGPRBlocks: 2
; VGPRBlocks: 5
; NumSGPRsForWavesPerEU: 18
; NumVGPRsForWavesPerEU: 48
; Occupancy: 16
; WaveLimiterHint : 0
; COMPUTE_PGM_RSRC2:SCRATCH_EN: 0
; COMPUTE_PGM_RSRC2:USER_SGPR: 15
; COMPUTE_PGM_RSRC2:TRAP_HANDLER: 0
; COMPUTE_PGM_RSRC2:TGID_X_EN: 1
; COMPUTE_PGM_RSRC2:TGID_Y_EN: 0
; COMPUTE_PGM_RSRC2:TGID_Z_EN: 0
; COMPUTE_PGM_RSRC2:TIDIG_COMP_CNT: 0
	.section	.text._Z6kernelI14inclusive_scanILN6hipcub18BlockScanAlgorithmE1EEfLj64ELj16ELj100EEvPKT0_PS4_S4_,"axG",@progbits,_Z6kernelI14inclusive_scanILN6hipcub18BlockScanAlgorithmE1EEfLj64ELj16ELj100EEvPKT0_PS4_S4_,comdat
	.protected	_Z6kernelI14inclusive_scanILN6hipcub18BlockScanAlgorithmE1EEfLj64ELj16ELj100EEvPKT0_PS4_S4_ ; -- Begin function _Z6kernelI14inclusive_scanILN6hipcub18BlockScanAlgorithmE1EEfLj64ELj16ELj100EEvPKT0_PS4_S4_
	.globl	_Z6kernelI14inclusive_scanILN6hipcub18BlockScanAlgorithmE1EEfLj64ELj16ELj100EEvPKT0_PS4_S4_
	.p2align	8
	.type	_Z6kernelI14inclusive_scanILN6hipcub18BlockScanAlgorithmE1EEfLj64ELj16ELj100EEvPKT0_PS4_S4_,@function
_Z6kernelI14inclusive_scanILN6hipcub18BlockScanAlgorithmE1EEfLj64ELj16ELj100EEvPKT0_PS4_S4_: ; @_Z6kernelI14inclusive_scanILN6hipcub18BlockScanAlgorithmE1EEfLj64ELj16ELj100EEvPKT0_PS4_S4_
; %bb.0:
	s_clause 0x1
	s_load_b32 s2, s[0:1], 0x24
	s_load_b128 s[4:7], s[0:1], 0x0
	v_dual_mov_b32 v2, 0 :: v_dual_add_nc_u32 v21, -1, v0
	v_lshrrev_b32_e32 v19, 5, v0
	v_lshlrev_b32_e32 v22, 1, v0
	v_lshrrev_b32_e32 v23, 4, v0
	v_mbcnt_lo_u32_b32 v20, -1, 0
	v_lshrrev_b32_e32 v24, 5, v21
	v_add_lshl_u32 v19, v19, v0, 2
	v_cmp_ne_u32_e64 s1, 0, v0
	s_movk_i32 s3, 0x64
	s_delay_alu instid0(VALU_DEP_3) | instskip(SKIP_3) | instid1(SALU_CYCLE_1)
	v_add_lshl_u32 v21, v24, v21, 2
	v_add_nc_u32_e32 v24, -1, v20
	s_waitcnt lgkmcnt(0)
	s_and_b32 s0, s2, 0xffff
	s_mul_i32 s15, s15, s0
	v_cmp_eq_u32_e64 s0, 0, v0
	v_add_lshl_u32 v1, s15, v0, 4
	s_delay_alu instid0(VALU_DEP_1) | instskip(NEXT) | instid1(VALU_DEP_1)
	v_lshlrev_b64 v[17:18], 2, v[1:2]
	v_add_co_u32 v1, vcc_lo, s4, v17
	s_delay_alu instid0(VALU_DEP_2)
	v_add_co_ci_u32_e32 v2, vcc_lo, s5, v18, vcc_lo
	v_cmp_gt_u32_e32 vcc_lo, 32, v0
	v_add_lshl_u32 v0, v23, v22, 2
	v_and_b32_e32 v22, 15, v20
	s_clause 0x3
	global_load_b128 v[13:16], v[1:2], off
	global_load_b128 v[9:12], v[1:2], off offset:16
	global_load_b128 v[5:8], v[1:2], off offset:32
	;; [unrolled: 1-line block ×3, first 2 shown]
	v_and_b32_e32 v23, 16, v20
	s_branch .LBB11_2
.LBB11_1:                               ;   in Loop: Header=BB11_2 Depth=1
	s_or_b32 exec_lo, exec_lo, s2
	s_waitcnt lgkmcnt(0)
	v_add_f32_e32 v25, v13, v25
	s_add_i32 s3, s3, -1
	s_delay_alu instid0(SALU_CYCLE_1) | instskip(NEXT) | instid1(VALU_DEP_1)
	s_cmp_lg_u32 s3, 0
	v_cndmask_b32_e64 v13, v25, v13, s0
	s_delay_alu instid0(VALU_DEP_1) | instskip(NEXT) | instid1(VALU_DEP_1)
	v_add_f32_e32 v14, v14, v13
	v_add_f32_e32 v15, v15, v14
	s_delay_alu instid0(VALU_DEP_1) | instskip(NEXT) | instid1(VALU_DEP_1)
	v_add_f32_e32 v16, v16, v15
	v_add_f32_e32 v9, v9, v16
	;; [unrolled: 3-line block ×7, first 2 shown]
	s_delay_alu instid0(VALU_DEP_1)
	v_add_f32_e32 v4, v4, v3
	s_cbranch_scc0 .LBB11_6
.LBB11_2:                               ; =>This Inner Loop Header: Depth=1
	s_waitcnt vmcnt(3)
	v_add_f32_e32 v25, v14, v13
	s_delay_alu instid0(VALU_DEP_1) | instskip(NEXT) | instid1(VALU_DEP_1)
	v_add_f32_e32 v25, v15, v25
	v_add_f32_e32 v25, v16, v25
	s_waitcnt vmcnt(2)
	s_delay_alu instid0(VALU_DEP_1) | instskip(NEXT) | instid1(VALU_DEP_1)
	v_add_f32_e32 v25, v9, v25
	v_add_f32_e32 v25, v10, v25
	s_delay_alu instid0(VALU_DEP_1) | instskip(NEXT) | instid1(VALU_DEP_1)
	v_add_f32_e32 v25, v11, v25
	v_add_f32_e32 v25, v12, v25
	s_waitcnt vmcnt(1)
	s_delay_alu instid0(VALU_DEP_1) | instskip(NEXT) | instid1(VALU_DEP_1)
	v_add_f32_e32 v25, v5, v25
	;; [unrolled: 7-line block ×3, first 2 shown]
	v_add_f32_e32 v25, v2, v25
	s_delay_alu instid0(VALU_DEP_1) | instskip(NEXT) | instid1(VALU_DEP_1)
	v_add_f32_e32 v25, v3, v25
	v_add_f32_e32 v25, v4, v25
	ds_store_b32 v19, v25
	s_waitcnt lgkmcnt(0)
	s_barrier
	buffer_gl0_inv
	s_and_saveexec_b32 s4, vcc_lo
	s_cbranch_execz .LBB11_4
; %bb.3:                                ;   in Loop: Header=BB11_2 Depth=1
	ds_load_2addr_b32 v[26:27], v0 offset1:1
	v_cmp_eq_u32_e64 s2, 0, v22
	s_waitcnt lgkmcnt(0)
	v_add_f32_e32 v28, v26, v27
	s_delay_alu instid0(VALU_DEP_1) | instskip(NEXT) | instid1(VALU_DEP_1)
	v_mov_b32_dpp v29, v28 row_shr:1 row_mask:0xf bank_mask:0xf
	v_add_f32_e32 v29, v28, v29
	s_delay_alu instid0(VALU_DEP_1) | instskip(SKIP_1) | instid1(VALU_DEP_2)
	v_cndmask_b32_e64 v28, v29, v28, s2
	v_cmp_lt_u32_e64 s2, 1, v22
	v_mov_b32_dpp v29, v28 row_shr:2 row_mask:0xf bank_mask:0xf
	s_delay_alu instid0(VALU_DEP_1) | instskip(NEXT) | instid1(VALU_DEP_1)
	v_add_f32_e32 v29, v28, v29
	v_cndmask_b32_e64 v28, v28, v29, s2
	v_cmp_lt_u32_e64 s2, 3, v22
	s_delay_alu instid0(VALU_DEP_2) | instskip(NEXT) | instid1(VALU_DEP_1)
	v_mov_b32_dpp v29, v28 row_shr:4 row_mask:0xf bank_mask:0xf
	v_add_f32_e32 v29, v28, v29
	s_delay_alu instid0(VALU_DEP_1) | instskip(SKIP_1) | instid1(VALU_DEP_2)
	v_cndmask_b32_e64 v28, v28, v29, s2
	v_cmp_lt_u32_e64 s2, 7, v22
	v_mov_b32_dpp v29, v28 row_shr:8 row_mask:0xf bank_mask:0xf
	s_delay_alu instid0(VALU_DEP_1) | instskip(NEXT) | instid1(VALU_DEP_1)
	v_add_f32_e32 v29, v28, v29
	v_cndmask_b32_e64 v28, v28, v29, s2
	v_cmp_gt_i32_e64 s2, 0, v24
	ds_swizzle_b32 v29, v28 offset:swizzle(BROADCAST,32,15)
	v_cndmask_b32_e64 v30, v24, v20, s2
	v_cmp_eq_u32_e64 s2, 0, v23
	s_waitcnt lgkmcnt(0)
	v_add_f32_e32 v29, v28, v29
	s_delay_alu instid0(VALU_DEP_1) | instskip(SKIP_4) | instid1(VALU_DEP_1)
	v_cndmask_b32_e64 v28, v29, v28, s2
	v_lshlrev_b32_e32 v29, 2, v30
	ds_bpermute_b32 v28, v29, v28
	s_waitcnt lgkmcnt(0)
	v_add_f32_e32 v26, v26, v28
	v_cndmask_b32_e64 v26, v26, v25, s0
	s_delay_alu instid0(VALU_DEP_1)
	v_add_f32_e32 v27, v27, v26
	ds_store_2addr_b32 v0, v26, v27 offset1:1
.LBB11_4:                               ;   in Loop: Header=BB11_2 Depth=1
	s_or_b32 exec_lo, exec_lo, s4
	s_waitcnt lgkmcnt(0)
	s_barrier
	buffer_gl0_inv
	s_and_saveexec_b32 s2, s1
	s_cbranch_execz .LBB11_1
; %bb.5:                                ;   in Loop: Header=BB11_2 Depth=1
	ds_load_b32 v25, v21
	s_branch .LBB11_1
.LBB11_6:
	v_add_co_u32 v17, vcc_lo, s6, v17
	v_add_co_ci_u32_e32 v18, vcc_lo, s7, v18, vcc_lo
	s_clause 0x3
	global_store_b128 v[17:18], v[13:16], off
	global_store_b128 v[17:18], v[9:12], off offset:16
	global_store_b128 v[17:18], v[5:8], off offset:32
	;; [unrolled: 1-line block ×3, first 2 shown]
	s_nop 0
	s_sendmsg sendmsg(MSG_DEALLOC_VGPRS)
	s_endpgm
	.section	.rodata,"a",@progbits
	.p2align	6, 0x0
	.amdhsa_kernel _Z6kernelI14inclusive_scanILN6hipcub18BlockScanAlgorithmE1EEfLj64ELj16ELj100EEvPKT0_PS4_S4_
		.amdhsa_group_segment_fixed_size 264
		.amdhsa_private_segment_fixed_size 0
		.amdhsa_kernarg_size 280
		.amdhsa_user_sgpr_count 15
		.amdhsa_user_sgpr_dispatch_ptr 0
		.amdhsa_user_sgpr_queue_ptr 0
		.amdhsa_user_sgpr_kernarg_segment_ptr 1
		.amdhsa_user_sgpr_dispatch_id 0
		.amdhsa_user_sgpr_private_segment_size 0
		.amdhsa_wavefront_size32 1
		.amdhsa_uses_dynamic_stack 0
		.amdhsa_enable_private_segment 0
		.amdhsa_system_sgpr_workgroup_id_x 1
		.amdhsa_system_sgpr_workgroup_id_y 0
		.amdhsa_system_sgpr_workgroup_id_z 0
		.amdhsa_system_sgpr_workgroup_info 0
		.amdhsa_system_vgpr_workitem_id 0
		.amdhsa_next_free_vgpr 31
		.amdhsa_next_free_sgpr 16
		.amdhsa_reserve_vcc 1
		.amdhsa_float_round_mode_32 0
		.amdhsa_float_round_mode_16_64 0
		.amdhsa_float_denorm_mode_32 3
		.amdhsa_float_denorm_mode_16_64 3
		.amdhsa_dx10_clamp 1
		.amdhsa_ieee_mode 1
		.amdhsa_fp16_overflow 0
		.amdhsa_workgroup_processor_mode 1
		.amdhsa_memory_ordered 1
		.amdhsa_forward_progress 0
		.amdhsa_shared_vgpr_count 0
		.amdhsa_exception_fp_ieee_invalid_op 0
		.amdhsa_exception_fp_denorm_src 0
		.amdhsa_exception_fp_ieee_div_zero 0
		.amdhsa_exception_fp_ieee_overflow 0
		.amdhsa_exception_fp_ieee_underflow 0
		.amdhsa_exception_fp_ieee_inexact 0
		.amdhsa_exception_int_div_zero 0
	.end_amdhsa_kernel
	.section	.text._Z6kernelI14inclusive_scanILN6hipcub18BlockScanAlgorithmE1EEfLj64ELj16ELj100EEvPKT0_PS4_S4_,"axG",@progbits,_Z6kernelI14inclusive_scanILN6hipcub18BlockScanAlgorithmE1EEfLj64ELj16ELj100EEvPKT0_PS4_S4_,comdat
.Lfunc_end11:
	.size	_Z6kernelI14inclusive_scanILN6hipcub18BlockScanAlgorithmE1EEfLj64ELj16ELj100EEvPKT0_PS4_S4_, .Lfunc_end11-_Z6kernelI14inclusive_scanILN6hipcub18BlockScanAlgorithmE1EEfLj64ELj16ELj100EEvPKT0_PS4_S4_
                                        ; -- End function
	.section	.AMDGPU.csdata,"",@progbits
; Kernel info:
; codeLenInByte = 820
; NumSgprs: 18
; NumVgprs: 31
; ScratchSize: 0
; MemoryBound: 0
; FloatMode: 240
; IeeeMode: 1
; LDSByteSize: 264 bytes/workgroup (compile time only)
; SGPRBlocks: 2
; VGPRBlocks: 3
; NumSGPRsForWavesPerEU: 18
; NumVGPRsForWavesPerEU: 31
; Occupancy: 16
; WaveLimiterHint : 0
; COMPUTE_PGM_RSRC2:SCRATCH_EN: 0
; COMPUTE_PGM_RSRC2:USER_SGPR: 15
; COMPUTE_PGM_RSRC2:TRAP_HANDLER: 0
; COMPUTE_PGM_RSRC2:TGID_X_EN: 1
; COMPUTE_PGM_RSRC2:TGID_Y_EN: 0
; COMPUTE_PGM_RSRC2:TGID_Z_EN: 0
; COMPUTE_PGM_RSRC2:TIDIG_COMP_CNT: 0
	.section	.text._Z6kernelI14inclusive_scanILN6hipcub18BlockScanAlgorithmE1EEdLj64ELj1ELj100EEvPKT0_PS4_S4_,"axG",@progbits,_Z6kernelI14inclusive_scanILN6hipcub18BlockScanAlgorithmE1EEdLj64ELj1ELj100EEvPKT0_PS4_S4_,comdat
	.protected	_Z6kernelI14inclusive_scanILN6hipcub18BlockScanAlgorithmE1EEdLj64ELj1ELj100EEvPKT0_PS4_S4_ ; -- Begin function _Z6kernelI14inclusive_scanILN6hipcub18BlockScanAlgorithmE1EEdLj64ELj1ELj100EEvPKT0_PS4_S4_
	.globl	_Z6kernelI14inclusive_scanILN6hipcub18BlockScanAlgorithmE1EEdLj64ELj1ELj100EEvPKT0_PS4_S4_
	.p2align	8
	.type	_Z6kernelI14inclusive_scanILN6hipcub18BlockScanAlgorithmE1EEdLj64ELj1ELj100EEvPKT0_PS4_S4_,@function
_Z6kernelI14inclusive_scanILN6hipcub18BlockScanAlgorithmE1EEdLj64ELj1ELj100EEvPKT0_PS4_S4_: ; @_Z6kernelI14inclusive_scanILN6hipcub18BlockScanAlgorithmE1EEdLj64ELj1ELj100EEvPKT0_PS4_S4_
; %bb.0:
	s_clause 0x1
	s_load_b32 s4, s[0:1], 0x24
	s_load_b128 s[0:3], s[0:1], 0x0
	v_mbcnt_lo_u32_b32 v12, -1, 0
	v_lshrrev_b32_e32 v3, 4, v0
	s_delay_alu instid0(VALU_DEP_2) | instskip(SKIP_4) | instid1(SALU_CYCLE_1)
	v_and_b32_e32 v16, 16, v12
	v_add_nc_u32_e32 v17, -1, v12
	v_and_b32_e32 v15, 15, v12
	s_waitcnt lgkmcnt(0)
	s_and_b32 s4, s4, 0xffff
	v_mad_u64_u32 v[1:2], null, s15, s4, v[0:1]
	v_mov_b32_e32 v2, 0
	s_movk_i32 s4, 0x64
	s_delay_alu instid0(VALU_DEP_1) | instskip(NEXT) | instid1(VALU_DEP_1)
	v_lshlrev_b64 v[4:5], 3, v[1:2]
	v_add_co_u32 v1, vcc_lo, s0, v4
	s_delay_alu instid0(VALU_DEP_2)
	v_add_co_ci_u32_e32 v2, vcc_lo, s1, v5, vcc_lo
	v_cmp_gt_u32_e32 vcc_lo, 32, v0
	v_cmp_eq_u32_e64 s0, 0, v0
	global_load_b64 v[6:7], v[1:2], off
	v_lshrrev_b32_e32 v1, 5, v0
	v_lshlrev_b32_e32 v2, 1, v0
	s_delay_alu instid0(VALU_DEP_2) | instskip(NEXT) | instid1(VALU_DEP_2)
	v_add_lshl_u32 v13, v1, v0, 3
	v_add_lshl_u32 v14, v3, v2, 3
	s_branch .LBB12_3
.LBB12_1:                               ;   in Loop: Header=BB12_3 Depth=1
	s_or_b32 exec_lo, exec_lo, s6
	v_cmp_gt_i32_e64 s1, 0, v17
	s_waitcnt lgkmcnt(1)
	s_delay_alu instid0(VALU_DEP_1) | instskip(NEXT) | instid1(VALU_DEP_1)
	v_cndmask_b32_e64 v10, v17, v12, s1
	v_lshlrev_b32_e32 v10, 2, v10
	ds_bpermute_b32 v8, v10, v8
	ds_bpermute_b32 v9, v10, v9
	s_waitcnt lgkmcnt(0)
	v_add_f64 v[0:1], v[0:1], v[8:9]
	s_delay_alu instid0(VALU_DEP_1) | instskip(NEXT) | instid1(VALU_DEP_2)
	v_cndmask_b32_e64 v1, v1, v7, s0
	v_cndmask_b32_e64 v0, v0, v6, s0
	s_delay_alu instid0(VALU_DEP_1)
	v_add_f64 v[2:3], v[2:3], v[0:1]
	ds_store_2addr_b64 v14, v[0:1], v[2:3] offset1:1
.LBB12_2:                               ;   in Loop: Header=BB12_3 Depth=1
	s_or_b32 exec_lo, exec_lo, s5
	s_waitcnt lgkmcnt(0)
	s_barrier
	buffer_gl0_inv
	ds_load_b64 v[6:7], v13
	s_add_i32 s4, s4, -1
	s_delay_alu instid0(SALU_CYCLE_1)
	s_cmp_lg_u32 s4, 0
	s_cbranch_scc0 .LBB12_14
.LBB12_3:                               ; =>This Inner Loop Header: Depth=1
	s_waitcnt vmcnt(0) lgkmcnt(0)
	ds_store_b64 v13, v[6:7]
	s_waitcnt lgkmcnt(0)
	s_barrier
	buffer_gl0_inv
	s_and_saveexec_b32 s5, vcc_lo
	s_cbranch_execz .LBB12_2
; %bb.4:                                ;   in Loop: Header=BB12_3 Depth=1
	ds_load_2addr_b64 v[0:3], v14 offset1:1
	s_mov_b32 s6, exec_lo
	s_waitcnt lgkmcnt(0)
	v_add_f64 v[8:9], v[0:1], v[2:3]
	s_delay_alu instid0(VALU_DEP_1) | instskip(NEXT) | instid1(VALU_DEP_2)
	v_mov_b32_dpp v10, v8 row_shr:1 row_mask:0xf bank_mask:0xf
	v_mov_b32_dpp v11, v9 row_shr:1 row_mask:0xf bank_mask:0xf
	v_cmpx_ne_u32_e32 0, v15
; %bb.5:                                ;   in Loop: Header=BB12_3 Depth=1
	s_delay_alu instid0(VALU_DEP_2)
	v_add_f64 v[8:9], v[8:9], v[10:11]
; %bb.6:                                ;   in Loop: Header=BB12_3 Depth=1
	s_or_b32 exec_lo, exec_lo, s6
	s_delay_alu instid0(VALU_DEP_1) | instskip(NEXT) | instid1(VALU_DEP_2)
	v_mov_b32_dpp v10, v8 row_shr:2 row_mask:0xf bank_mask:0xf
	v_mov_b32_dpp v11, v9 row_shr:2 row_mask:0xf bank_mask:0xf
	s_mov_b32 s6, exec_lo
	v_cmpx_lt_u32_e32 1, v15
; %bb.7:                                ;   in Loop: Header=BB12_3 Depth=1
	s_delay_alu instid0(VALU_DEP_2)
	v_add_f64 v[8:9], v[8:9], v[10:11]
; %bb.8:                                ;   in Loop: Header=BB12_3 Depth=1
	s_or_b32 exec_lo, exec_lo, s6
	s_delay_alu instid0(VALU_DEP_1) | instskip(NEXT) | instid1(VALU_DEP_2)
	v_mov_b32_dpp v10, v8 row_shr:4 row_mask:0xf bank_mask:0xf
	v_mov_b32_dpp v11, v9 row_shr:4 row_mask:0xf bank_mask:0xf
	s_mov_b32 s6, exec_lo
	v_cmpx_lt_u32_e32 3, v15
; %bb.9:                                ;   in Loop: Header=BB12_3 Depth=1
	s_delay_alu instid0(VALU_DEP_2)
	v_add_f64 v[8:9], v[8:9], v[10:11]
; %bb.10:                               ;   in Loop: Header=BB12_3 Depth=1
	s_or_b32 exec_lo, exec_lo, s6
	s_delay_alu instid0(VALU_DEP_1) | instskip(NEXT) | instid1(VALU_DEP_2)
	v_mov_b32_dpp v10, v8 row_shr:8 row_mask:0xf bank_mask:0xf
	v_mov_b32_dpp v11, v9 row_shr:8 row_mask:0xf bank_mask:0xf
	s_mov_b32 s6, exec_lo
	v_cmpx_lt_u32_e32 7, v15
; %bb.11:                               ;   in Loop: Header=BB12_3 Depth=1
	s_delay_alu instid0(VALU_DEP_2)
	v_add_f64 v[8:9], v[8:9], v[10:11]
; %bb.12:                               ;   in Loop: Header=BB12_3 Depth=1
	s_or_b32 exec_lo, exec_lo, s6
	ds_swizzle_b32 v10, v8 offset:swizzle(BROADCAST,32,15)
	ds_swizzle_b32 v11, v9 offset:swizzle(BROADCAST,32,15)
	s_mov_b32 s6, exec_lo
	v_cmpx_ne_u32_e32 0, v16
	s_cbranch_execz .LBB12_1
; %bb.13:                               ;   in Loop: Header=BB12_3 Depth=1
	s_waitcnt lgkmcnt(0)
	v_add_f64 v[8:9], v[8:9], v[10:11]
	s_branch .LBB12_1
.LBB12_14:
	v_add_co_u32 v0, vcc_lo, s2, v4
	v_add_co_ci_u32_e32 v1, vcc_lo, s3, v5, vcc_lo
	s_waitcnt lgkmcnt(0)
	global_store_b64 v[0:1], v[6:7], off
	s_nop 0
	s_sendmsg sendmsg(MSG_DEALLOC_VGPRS)
	s_endpgm
	.section	.rodata,"a",@progbits
	.p2align	6, 0x0
	.amdhsa_kernel _Z6kernelI14inclusive_scanILN6hipcub18BlockScanAlgorithmE1EEdLj64ELj1ELj100EEvPKT0_PS4_S4_
		.amdhsa_group_segment_fixed_size 528
		.amdhsa_private_segment_fixed_size 0
		.amdhsa_kernarg_size 280
		.amdhsa_user_sgpr_count 15
		.amdhsa_user_sgpr_dispatch_ptr 0
		.amdhsa_user_sgpr_queue_ptr 0
		.amdhsa_user_sgpr_kernarg_segment_ptr 1
		.amdhsa_user_sgpr_dispatch_id 0
		.amdhsa_user_sgpr_private_segment_size 0
		.amdhsa_wavefront_size32 1
		.amdhsa_uses_dynamic_stack 0
		.amdhsa_enable_private_segment 0
		.amdhsa_system_sgpr_workgroup_id_x 1
		.amdhsa_system_sgpr_workgroup_id_y 0
		.amdhsa_system_sgpr_workgroup_id_z 0
		.amdhsa_system_sgpr_workgroup_info 0
		.amdhsa_system_vgpr_workitem_id 0
		.amdhsa_next_free_vgpr 18
		.amdhsa_next_free_sgpr 16
		.amdhsa_reserve_vcc 1
		.amdhsa_float_round_mode_32 0
		.amdhsa_float_round_mode_16_64 0
		.amdhsa_float_denorm_mode_32 3
		.amdhsa_float_denorm_mode_16_64 3
		.amdhsa_dx10_clamp 1
		.amdhsa_ieee_mode 1
		.amdhsa_fp16_overflow 0
		.amdhsa_workgroup_processor_mode 1
		.amdhsa_memory_ordered 1
		.amdhsa_forward_progress 0
		.amdhsa_shared_vgpr_count 0
		.amdhsa_exception_fp_ieee_invalid_op 0
		.amdhsa_exception_fp_denorm_src 0
		.amdhsa_exception_fp_ieee_div_zero 0
		.amdhsa_exception_fp_ieee_overflow 0
		.amdhsa_exception_fp_ieee_underflow 0
		.amdhsa_exception_fp_ieee_inexact 0
		.amdhsa_exception_int_div_zero 0
	.end_amdhsa_kernel
	.section	.text._Z6kernelI14inclusive_scanILN6hipcub18BlockScanAlgorithmE1EEdLj64ELj1ELj100EEvPKT0_PS4_S4_,"axG",@progbits,_Z6kernelI14inclusive_scanILN6hipcub18BlockScanAlgorithmE1EEdLj64ELj1ELj100EEvPKT0_PS4_S4_,comdat
.Lfunc_end12:
	.size	_Z6kernelI14inclusive_scanILN6hipcub18BlockScanAlgorithmE1EEdLj64ELj1ELj100EEvPKT0_PS4_S4_, .Lfunc_end12-_Z6kernelI14inclusive_scanILN6hipcub18BlockScanAlgorithmE1EEdLj64ELj1ELj100EEvPKT0_PS4_S4_
                                        ; -- End function
	.section	.AMDGPU.csdata,"",@progbits
; Kernel info:
; codeLenInByte = 612
; NumSgprs: 18
; NumVgprs: 18
; ScratchSize: 0
; MemoryBound: 0
; FloatMode: 240
; IeeeMode: 1
; LDSByteSize: 528 bytes/workgroup (compile time only)
; SGPRBlocks: 2
; VGPRBlocks: 2
; NumSGPRsForWavesPerEU: 18
; NumVGPRsForWavesPerEU: 18
; Occupancy: 16
; WaveLimiterHint : 0
; COMPUTE_PGM_RSRC2:SCRATCH_EN: 0
; COMPUTE_PGM_RSRC2:USER_SGPR: 15
; COMPUTE_PGM_RSRC2:TRAP_HANDLER: 0
; COMPUTE_PGM_RSRC2:TGID_X_EN: 1
; COMPUTE_PGM_RSRC2:TGID_Y_EN: 0
; COMPUTE_PGM_RSRC2:TGID_Z_EN: 0
; COMPUTE_PGM_RSRC2:TIDIG_COMP_CNT: 0
	.section	.text._Z6kernelI14inclusive_scanILN6hipcub18BlockScanAlgorithmE1EEdLj64ELj3ELj100EEvPKT0_PS4_S4_,"axG",@progbits,_Z6kernelI14inclusive_scanILN6hipcub18BlockScanAlgorithmE1EEdLj64ELj3ELj100EEvPKT0_PS4_S4_,comdat
	.protected	_Z6kernelI14inclusive_scanILN6hipcub18BlockScanAlgorithmE1EEdLj64ELj3ELj100EEvPKT0_PS4_S4_ ; -- Begin function _Z6kernelI14inclusive_scanILN6hipcub18BlockScanAlgorithmE1EEdLj64ELj3ELj100EEvPKT0_PS4_S4_
	.globl	_Z6kernelI14inclusive_scanILN6hipcub18BlockScanAlgorithmE1EEdLj64ELj3ELj100EEvPKT0_PS4_S4_
	.p2align	8
	.type	_Z6kernelI14inclusive_scanILN6hipcub18BlockScanAlgorithmE1EEdLj64ELj3ELj100EEvPKT0_PS4_S4_,@function
_Z6kernelI14inclusive_scanILN6hipcub18BlockScanAlgorithmE1EEdLj64ELj3ELj100EEvPKT0_PS4_S4_: ; @_Z6kernelI14inclusive_scanILN6hipcub18BlockScanAlgorithmE1EEdLj64ELj3ELj100EEvPKT0_PS4_S4_
; %bb.0:
	s_clause 0x1
	s_load_b32 s2, s[0:1], 0x24
	s_load_b128 s[4:7], s[0:1], 0x0
	v_lshrrev_b32_e32 v3, 4, v0
	v_mbcnt_lo_u32_b32 v23, -1, 0
	v_cmp_eq_u32_e64 s0, 0, v0
	v_cmp_ne_u32_e64 s1, 0, v0
	s_movk_i32 s3, 0x64
	s_delay_alu instid0(VALU_DEP_3) | instskip(SKIP_4) | instid1(SALU_CYCLE_1)
	v_and_b32_e32 v26, 15, v23
	v_and_b32_e32 v27, 16, v23
	v_add_nc_u32_e32 v28, -1, v23
	s_waitcnt lgkmcnt(0)
	s_and_b32 s2, s2, 0xffff
	v_mad_u64_u32 v[1:2], null, s15, s2, v[0:1]
	s_delay_alu instid0(VALU_DEP_1) | instskip(SKIP_1) | instid1(VALU_DEP_2)
	v_lshl_add_u32 v1, v1, 1, v1
	v_mov_b32_e32 v2, 0
	v_add_nc_u32_e32 v6, 1, v1
	s_delay_alu instid0(VALU_DEP_2) | instskip(SKIP_2) | instid1(VALU_DEP_1)
	v_lshlrev_b64 v[4:5], 3, v[1:2]
	v_add_nc_u32_e32 v1, 2, v1
	v_mov_b32_e32 v7, v2
	v_lshlrev_b64 v[8:9], 3, v[6:7]
	s_delay_alu instid0(VALU_DEP_3) | instskip(SKIP_2) | instid1(VALU_DEP_4)
	v_lshlrev_b64 v[6:7], 3, v[1:2]
	v_add_co_u32 v1, vcc_lo, s4, v4
	v_add_co_ci_u32_e32 v2, vcc_lo, s5, v5, vcc_lo
	v_add_co_u32 v12, vcc_lo, s4, v8
	v_add_co_ci_u32_e32 v13, vcc_lo, s5, v9, vcc_lo
	;; [unrolled: 2-line block ×3, first 2 shown]
	s_clause 0x2
	global_load_b64 v[10:11], v[1:2], off
	global_load_b64 v[12:13], v[12:13], off
	;; [unrolled: 1-line block ×3, first 2 shown]
	v_add_nc_u32_e32 v2, -1, v0
	v_lshrrev_b32_e32 v1, 5, v0
	v_cmp_gt_u32_e32 vcc_lo, 32, v0
	s_delay_alu instid0(VALU_DEP_3) | instskip(NEXT) | instid1(VALU_DEP_3)
	v_lshrrev_b32_e32 v16, 5, v2
	v_add_lshl_u32 v22, v1, v0, 3
	v_lshlrev_b32_e32 v1, 1, v0
	s_delay_alu instid0(VALU_DEP_3) | instskip(NEXT) | instid1(VALU_DEP_2)
	v_add_lshl_u32 v25, v16, v2, 3
	v_add_lshl_u32 v24, v3, v1, 3
	s_branch .LBB13_2
.LBB13_1:                               ;   in Loop: Header=BB13_2 Depth=1
	s_or_b32 exec_lo, exec_lo, s2
	s_waitcnt lgkmcnt(0)
	v_add_f64 v[0:1], v[10:11], v[16:17]
	s_add_i32 s3, s3, -1
	s_delay_alu instid0(SALU_CYCLE_1) | instskip(NEXT) | instid1(VALU_DEP_1)
	s_cmp_lg_u32 s3, 0
	v_cndmask_b32_e64 v11, v1, v11, s0
	s_delay_alu instid0(VALU_DEP_2) | instskip(NEXT) | instid1(VALU_DEP_1)
	v_cndmask_b32_e64 v10, v0, v10, s0
	v_add_f64 v[12:13], v[12:13], v[10:11]
	s_delay_alu instid0(VALU_DEP_1)
	v_add_f64 v[14:15], v[14:15], v[12:13]
	s_cbranch_scc0 .LBB13_16
.LBB13_2:                               ; =>This Inner Loop Header: Depth=1
	s_waitcnt vmcnt(1)
	v_add_f64 v[0:1], v[10:11], v[12:13]
	s_waitcnt vmcnt(0)
	s_delay_alu instid0(VALU_DEP_1)
	v_add_f64 v[16:17], v[14:15], v[0:1]
	ds_store_b64 v22, v[16:17]
	s_waitcnt lgkmcnt(0)
	s_barrier
	buffer_gl0_inv
	s_and_saveexec_b32 s4, vcc_lo
	s_cbranch_execz .LBB13_14
; %bb.3:                                ;   in Loop: Header=BB13_2 Depth=1
	ds_load_2addr_b64 v[0:3], v24 offset1:1
	s_mov_b32 s5, exec_lo
	s_waitcnt lgkmcnt(0)
	v_add_f64 v[18:19], v[0:1], v[2:3]
	s_delay_alu instid0(VALU_DEP_1) | instskip(NEXT) | instid1(VALU_DEP_2)
	v_mov_b32_dpp v20, v18 row_shr:1 row_mask:0xf bank_mask:0xf
	v_mov_b32_dpp v21, v19 row_shr:1 row_mask:0xf bank_mask:0xf
	v_cmpx_ne_u32_e32 0, v26
; %bb.4:                                ;   in Loop: Header=BB13_2 Depth=1
	s_delay_alu instid0(VALU_DEP_2)
	v_add_f64 v[18:19], v[18:19], v[20:21]
; %bb.5:                                ;   in Loop: Header=BB13_2 Depth=1
	s_or_b32 exec_lo, exec_lo, s5
	s_delay_alu instid0(VALU_DEP_1) | instskip(NEXT) | instid1(VALU_DEP_2)
	v_mov_b32_dpp v20, v18 row_shr:2 row_mask:0xf bank_mask:0xf
	v_mov_b32_dpp v21, v19 row_shr:2 row_mask:0xf bank_mask:0xf
	s_mov_b32 s5, exec_lo
	v_cmpx_lt_u32_e32 1, v26
; %bb.6:                                ;   in Loop: Header=BB13_2 Depth=1
	s_delay_alu instid0(VALU_DEP_2)
	v_add_f64 v[18:19], v[18:19], v[20:21]
; %bb.7:                                ;   in Loop: Header=BB13_2 Depth=1
	s_or_b32 exec_lo, exec_lo, s5
	s_delay_alu instid0(VALU_DEP_1) | instskip(NEXT) | instid1(VALU_DEP_2)
	v_mov_b32_dpp v20, v18 row_shr:4 row_mask:0xf bank_mask:0xf
	v_mov_b32_dpp v21, v19 row_shr:4 row_mask:0xf bank_mask:0xf
	s_mov_b32 s5, exec_lo
	v_cmpx_lt_u32_e32 3, v26
	;; [unrolled: 10-line block ×3, first 2 shown]
; %bb.10:                               ;   in Loop: Header=BB13_2 Depth=1
	s_delay_alu instid0(VALU_DEP_2)
	v_add_f64 v[18:19], v[18:19], v[20:21]
; %bb.11:                               ;   in Loop: Header=BB13_2 Depth=1
	s_or_b32 exec_lo, exec_lo, s5
	ds_swizzle_b32 v20, v18 offset:swizzle(BROADCAST,32,15)
	ds_swizzle_b32 v21, v19 offset:swizzle(BROADCAST,32,15)
	s_mov_b32 s5, exec_lo
	v_cmpx_ne_u32_e32 0, v27
	s_cbranch_execz .LBB13_13
; %bb.12:                               ;   in Loop: Header=BB13_2 Depth=1
	s_waitcnt lgkmcnt(0)
	v_add_f64 v[18:19], v[18:19], v[20:21]
.LBB13_13:                              ;   in Loop: Header=BB13_2 Depth=1
	s_or_b32 exec_lo, exec_lo, s5
	v_cmp_gt_i32_e64 s2, 0, v28
	s_waitcnt lgkmcnt(1)
	s_delay_alu instid0(VALU_DEP_1) | instskip(NEXT) | instid1(VALU_DEP_1)
	v_cndmask_b32_e64 v20, v28, v23, s2
	v_lshlrev_b32_e32 v20, 2, v20
	ds_bpermute_b32 v18, v20, v18
	ds_bpermute_b32 v19, v20, v19
	s_waitcnt lgkmcnt(0)
	v_add_f64 v[0:1], v[0:1], v[18:19]
	s_delay_alu instid0(VALU_DEP_1) | instskip(NEXT) | instid1(VALU_DEP_2)
	v_cndmask_b32_e64 v1, v1, v17, s0
	v_cndmask_b32_e64 v0, v0, v16, s0
	s_delay_alu instid0(VALU_DEP_1)
	v_add_f64 v[2:3], v[2:3], v[0:1]
	ds_store_2addr_b64 v24, v[0:1], v[2:3] offset1:1
.LBB13_14:                              ;   in Loop: Header=BB13_2 Depth=1
	s_or_b32 exec_lo, exec_lo, s4
	s_waitcnt lgkmcnt(0)
	s_barrier
	buffer_gl0_inv
	s_and_saveexec_b32 s2, s1
	s_cbranch_execz .LBB13_1
; %bb.15:                               ;   in Loop: Header=BB13_2 Depth=1
	ds_load_b64 v[16:17], v25
	s_branch .LBB13_1
.LBB13_16:
	v_add_co_u32 v0, vcc_lo, s6, v4
	v_add_co_ci_u32_e32 v1, vcc_lo, s7, v5, vcc_lo
	v_add_co_u32 v2, vcc_lo, s6, v8
	v_add_co_ci_u32_e32 v3, vcc_lo, s7, v9, vcc_lo
	;; [unrolled: 2-line block ×3, first 2 shown]
	s_clause 0x2
	global_store_b64 v[0:1], v[10:11], off
	global_store_b64 v[2:3], v[12:13], off
	;; [unrolled: 1-line block ×3, first 2 shown]
	s_nop 0
	s_sendmsg sendmsg(MSG_DEALLOC_VGPRS)
	s_endpgm
	.section	.rodata,"a",@progbits
	.p2align	6, 0x0
	.amdhsa_kernel _Z6kernelI14inclusive_scanILN6hipcub18BlockScanAlgorithmE1EEdLj64ELj3ELj100EEvPKT0_PS4_S4_
		.amdhsa_group_segment_fixed_size 528
		.amdhsa_private_segment_fixed_size 0
		.amdhsa_kernarg_size 280
		.amdhsa_user_sgpr_count 15
		.amdhsa_user_sgpr_dispatch_ptr 0
		.amdhsa_user_sgpr_queue_ptr 0
		.amdhsa_user_sgpr_kernarg_segment_ptr 1
		.amdhsa_user_sgpr_dispatch_id 0
		.amdhsa_user_sgpr_private_segment_size 0
		.amdhsa_wavefront_size32 1
		.amdhsa_uses_dynamic_stack 0
		.amdhsa_enable_private_segment 0
		.amdhsa_system_sgpr_workgroup_id_x 1
		.amdhsa_system_sgpr_workgroup_id_y 0
		.amdhsa_system_sgpr_workgroup_id_z 0
		.amdhsa_system_sgpr_workgroup_info 0
		.amdhsa_system_vgpr_workitem_id 0
		.amdhsa_next_free_vgpr 29
		.amdhsa_next_free_sgpr 16
		.amdhsa_reserve_vcc 1
		.amdhsa_float_round_mode_32 0
		.amdhsa_float_round_mode_16_64 0
		.amdhsa_float_denorm_mode_32 3
		.amdhsa_float_denorm_mode_16_64 3
		.amdhsa_dx10_clamp 1
		.amdhsa_ieee_mode 1
		.amdhsa_fp16_overflow 0
		.amdhsa_workgroup_processor_mode 1
		.amdhsa_memory_ordered 1
		.amdhsa_forward_progress 0
		.amdhsa_shared_vgpr_count 0
		.amdhsa_exception_fp_ieee_invalid_op 0
		.amdhsa_exception_fp_denorm_src 0
		.amdhsa_exception_fp_ieee_div_zero 0
		.amdhsa_exception_fp_ieee_overflow 0
		.amdhsa_exception_fp_ieee_underflow 0
		.amdhsa_exception_fp_ieee_inexact 0
		.amdhsa_exception_int_div_zero 0
	.end_amdhsa_kernel
	.section	.text._Z6kernelI14inclusive_scanILN6hipcub18BlockScanAlgorithmE1EEdLj64ELj3ELj100EEvPKT0_PS4_S4_,"axG",@progbits,_Z6kernelI14inclusive_scanILN6hipcub18BlockScanAlgorithmE1EEdLj64ELj3ELj100EEvPKT0_PS4_S4_,comdat
.Lfunc_end13:
	.size	_Z6kernelI14inclusive_scanILN6hipcub18BlockScanAlgorithmE1EEdLj64ELj3ELj100EEvPKT0_PS4_S4_, .Lfunc_end13-_Z6kernelI14inclusive_scanILN6hipcub18BlockScanAlgorithmE1EEdLj64ELj3ELj100EEvPKT0_PS4_S4_
                                        ; -- End function
	.section	.AMDGPU.csdata,"",@progbits
; Kernel info:
; codeLenInByte = 852
; NumSgprs: 18
; NumVgprs: 29
; ScratchSize: 0
; MemoryBound: 0
; FloatMode: 240
; IeeeMode: 1
; LDSByteSize: 528 bytes/workgroup (compile time only)
; SGPRBlocks: 2
; VGPRBlocks: 3
; NumSGPRsForWavesPerEU: 18
; NumVGPRsForWavesPerEU: 29
; Occupancy: 16
; WaveLimiterHint : 0
; COMPUTE_PGM_RSRC2:SCRATCH_EN: 0
; COMPUTE_PGM_RSRC2:USER_SGPR: 15
; COMPUTE_PGM_RSRC2:TRAP_HANDLER: 0
; COMPUTE_PGM_RSRC2:TGID_X_EN: 1
; COMPUTE_PGM_RSRC2:TGID_Y_EN: 0
; COMPUTE_PGM_RSRC2:TGID_Z_EN: 0
; COMPUTE_PGM_RSRC2:TIDIG_COMP_CNT: 0
	.section	.text._Z6kernelI14inclusive_scanILN6hipcub18BlockScanAlgorithmE1EEdLj64ELj4ELj100EEvPKT0_PS4_S4_,"axG",@progbits,_Z6kernelI14inclusive_scanILN6hipcub18BlockScanAlgorithmE1EEdLj64ELj4ELj100EEvPKT0_PS4_S4_,comdat
	.protected	_Z6kernelI14inclusive_scanILN6hipcub18BlockScanAlgorithmE1EEdLj64ELj4ELj100EEvPKT0_PS4_S4_ ; -- Begin function _Z6kernelI14inclusive_scanILN6hipcub18BlockScanAlgorithmE1EEdLj64ELj4ELj100EEvPKT0_PS4_S4_
	.globl	_Z6kernelI14inclusive_scanILN6hipcub18BlockScanAlgorithmE1EEdLj64ELj4ELj100EEvPKT0_PS4_S4_
	.p2align	8
	.type	_Z6kernelI14inclusive_scanILN6hipcub18BlockScanAlgorithmE1EEdLj64ELj4ELj100EEvPKT0_PS4_S4_,@function
_Z6kernelI14inclusive_scanILN6hipcub18BlockScanAlgorithmE1EEdLj64ELj4ELj100EEvPKT0_PS4_S4_: ; @_Z6kernelI14inclusive_scanILN6hipcub18BlockScanAlgorithmE1EEdLj64ELj4ELj100EEvPKT0_PS4_S4_
; %bb.0:
	s_clause 0x1
	s_load_b32 s2, s[0:1], 0x24
	s_load_b128 s[4:7], s[0:1], 0x0
	v_mov_b32_e32 v2, 0
	v_lshrrev_b32_e32 v9, 5, v0
	v_add_nc_u32_e32 v10, -1, v0
	v_lshrrev_b32_e32 v11, 4, v0
	v_mbcnt_lo_u32_b32 v22, -1, 0
	v_cmp_ne_u32_e64 s1, 0, v0
	v_add_lshl_u32 v21, v9, v0, 3
	v_lshlrev_b32_e32 v9, 1, v0
	v_lshrrev_b32_e32 v12, 5, v10
	v_and_b32_e32 v24, 15, v22
	v_and_b32_e32 v25, 16, v22
	s_movk_i32 s3, 0x64
	s_delay_alu instid0(VALU_DEP_3) | instskip(SKIP_2) | instid1(SALU_CYCLE_1)
	v_add_lshl_u32 v23, v12, v10, 3
	s_waitcnt lgkmcnt(0)
	s_and_b32 s0, s2, 0xffff
	s_mul_i32 s15, s15, s0
	v_cmp_eq_u32_e64 s0, 0, v0
	v_add_lshl_u32 v1, s15, v0, 2
	s_delay_alu instid0(VALU_DEP_1) | instskip(NEXT) | instid1(VALU_DEP_1)
	v_lshlrev_b64 v[13:14], 3, v[1:2]
	v_add_co_u32 v5, vcc_lo, s4, v13
	s_delay_alu instid0(VALU_DEP_2)
	v_add_co_ci_u32_e32 v6, vcc_lo, s5, v14, vcc_lo
	v_cmp_gt_u32_e32 vcc_lo, 32, v0
	v_add_lshl_u32 v0, v11, v9, 3
	s_clause 0x1
	global_load_b128 v[1:4], v[5:6], off offset:16
	global_load_b128 v[5:8], v[5:6], off
	s_branch .LBB14_2
.LBB14_1:                               ;   in Loop: Header=BB14_2 Depth=1
	s_or_b32 exec_lo, exec_lo, s2
	s_waitcnt lgkmcnt(0)
	v_add_f64 v[9:10], v[5:6], v[15:16]
	s_add_i32 s3, s3, -1
	s_delay_alu instid0(SALU_CYCLE_1) | instskip(NEXT) | instid1(VALU_DEP_1)
	s_cmp_lg_u32 s3, 0
	v_cndmask_b32_e64 v6, v10, v6, s0
	s_delay_alu instid0(VALU_DEP_2) | instskip(NEXT) | instid1(VALU_DEP_1)
	v_cndmask_b32_e64 v5, v9, v5, s0
	v_add_f64 v[7:8], v[7:8], v[5:6]
	s_delay_alu instid0(VALU_DEP_1) | instskip(NEXT) | instid1(VALU_DEP_1)
	v_add_f64 v[1:2], v[1:2], v[7:8]
	v_add_f64 v[3:4], v[3:4], v[1:2]
	s_cbranch_scc0 .LBB14_16
.LBB14_2:                               ; =>This Inner Loop Header: Depth=1
	s_waitcnt vmcnt(0)
	v_add_f64 v[9:10], v[5:6], v[7:8]
	s_delay_alu instid0(VALU_DEP_1) | instskip(NEXT) | instid1(VALU_DEP_1)
	v_add_f64 v[9:10], v[1:2], v[9:10]
	v_add_f64 v[15:16], v[3:4], v[9:10]
	ds_store_b64 v21, v[15:16]
	s_waitcnt lgkmcnt(0)
	s_barrier
	buffer_gl0_inv
	s_and_saveexec_b32 s4, vcc_lo
	s_cbranch_execz .LBB14_14
; %bb.3:                                ;   in Loop: Header=BB14_2 Depth=1
	ds_load_2addr_b64 v[9:12], v0 offset1:1
	s_mov_b32 s5, exec_lo
	s_waitcnt lgkmcnt(0)
	v_add_f64 v[17:18], v[9:10], v[11:12]
	s_delay_alu instid0(VALU_DEP_1) | instskip(NEXT) | instid1(VALU_DEP_2)
	v_mov_b32_dpp v19, v17 row_shr:1 row_mask:0xf bank_mask:0xf
	v_mov_b32_dpp v20, v18 row_shr:1 row_mask:0xf bank_mask:0xf
	v_cmpx_ne_u32_e32 0, v24
; %bb.4:                                ;   in Loop: Header=BB14_2 Depth=1
	s_delay_alu instid0(VALU_DEP_2)
	v_add_f64 v[17:18], v[17:18], v[19:20]
; %bb.5:                                ;   in Loop: Header=BB14_2 Depth=1
	s_or_b32 exec_lo, exec_lo, s5
	s_delay_alu instid0(VALU_DEP_1) | instskip(NEXT) | instid1(VALU_DEP_2)
	v_mov_b32_dpp v19, v17 row_shr:2 row_mask:0xf bank_mask:0xf
	v_mov_b32_dpp v20, v18 row_shr:2 row_mask:0xf bank_mask:0xf
	s_mov_b32 s5, exec_lo
	v_cmpx_lt_u32_e32 1, v24
; %bb.6:                                ;   in Loop: Header=BB14_2 Depth=1
	s_delay_alu instid0(VALU_DEP_2)
	v_add_f64 v[17:18], v[17:18], v[19:20]
; %bb.7:                                ;   in Loop: Header=BB14_2 Depth=1
	s_or_b32 exec_lo, exec_lo, s5
	s_delay_alu instid0(VALU_DEP_1) | instskip(NEXT) | instid1(VALU_DEP_2)
	v_mov_b32_dpp v19, v17 row_shr:4 row_mask:0xf bank_mask:0xf
	v_mov_b32_dpp v20, v18 row_shr:4 row_mask:0xf bank_mask:0xf
	s_mov_b32 s5, exec_lo
	v_cmpx_lt_u32_e32 3, v24
	;; [unrolled: 10-line block ×3, first 2 shown]
; %bb.10:                               ;   in Loop: Header=BB14_2 Depth=1
	s_delay_alu instid0(VALU_DEP_2)
	v_add_f64 v[17:18], v[17:18], v[19:20]
; %bb.11:                               ;   in Loop: Header=BB14_2 Depth=1
	s_or_b32 exec_lo, exec_lo, s5
	ds_swizzle_b32 v19, v17 offset:swizzle(BROADCAST,32,15)
	ds_swizzle_b32 v20, v18 offset:swizzle(BROADCAST,32,15)
	s_mov_b32 s5, exec_lo
	v_cmpx_ne_u32_e32 0, v25
	s_cbranch_execz .LBB14_13
; %bb.12:                               ;   in Loop: Header=BB14_2 Depth=1
	s_waitcnt lgkmcnt(0)
	v_add_f64 v[17:18], v[17:18], v[19:20]
.LBB14_13:                              ;   in Loop: Header=BB14_2 Depth=1
	s_or_b32 exec_lo, exec_lo, s5
	s_waitcnt lgkmcnt(1)
	v_add_nc_u32_e32 v19, -1, v22
	s_delay_alu instid0(VALU_DEP_1) | instskip(NEXT) | instid1(VALU_DEP_1)
	v_cmp_gt_i32_e64 s2, 0, v19
	v_cndmask_b32_e64 v19, v19, v22, s2
	s_delay_alu instid0(VALU_DEP_1) | instskip(SKIP_4) | instid1(VALU_DEP_1)
	v_lshlrev_b32_e32 v19, 2, v19
	ds_bpermute_b32 v17, v19, v17
	ds_bpermute_b32 v18, v19, v18
	s_waitcnt lgkmcnt(0)
	v_add_f64 v[9:10], v[9:10], v[17:18]
	v_cndmask_b32_e64 v10, v10, v16, s0
	s_delay_alu instid0(VALU_DEP_2) | instskip(NEXT) | instid1(VALU_DEP_1)
	v_cndmask_b32_e64 v9, v9, v15, s0
	v_add_f64 v[11:12], v[11:12], v[9:10]
	ds_store_2addr_b64 v0, v[9:10], v[11:12] offset1:1
.LBB14_14:                              ;   in Loop: Header=BB14_2 Depth=1
	s_or_b32 exec_lo, exec_lo, s4
	s_waitcnt lgkmcnt(0)
	s_barrier
	buffer_gl0_inv
	s_and_saveexec_b32 s2, s1
	s_cbranch_execz .LBB14_1
; %bb.15:                               ;   in Loop: Header=BB14_2 Depth=1
	ds_load_b64 v[15:16], v23
	s_branch .LBB14_1
.LBB14_16:
	v_add_co_u32 v9, vcc_lo, s6, v13
	v_add_co_ci_u32_e32 v10, vcc_lo, s7, v14, vcc_lo
	s_clause 0x1
	global_store_b128 v[9:10], v[5:8], off
	global_store_b128 v[9:10], v[1:4], off offset:16
	s_nop 0
	s_sendmsg sendmsg(MSG_DEALLOC_VGPRS)
	s_endpgm
	.section	.rodata,"a",@progbits
	.p2align	6, 0x0
	.amdhsa_kernel _Z6kernelI14inclusive_scanILN6hipcub18BlockScanAlgorithmE1EEdLj64ELj4ELj100EEvPKT0_PS4_S4_
		.amdhsa_group_segment_fixed_size 528
		.amdhsa_private_segment_fixed_size 0
		.amdhsa_kernarg_size 280
		.amdhsa_user_sgpr_count 15
		.amdhsa_user_sgpr_dispatch_ptr 0
		.amdhsa_user_sgpr_queue_ptr 0
		.amdhsa_user_sgpr_kernarg_segment_ptr 1
		.amdhsa_user_sgpr_dispatch_id 0
		.amdhsa_user_sgpr_private_segment_size 0
		.amdhsa_wavefront_size32 1
		.amdhsa_uses_dynamic_stack 0
		.amdhsa_enable_private_segment 0
		.amdhsa_system_sgpr_workgroup_id_x 1
		.amdhsa_system_sgpr_workgroup_id_y 0
		.amdhsa_system_sgpr_workgroup_id_z 0
		.amdhsa_system_sgpr_workgroup_info 0
		.amdhsa_system_vgpr_workitem_id 0
		.amdhsa_next_free_vgpr 26
		.amdhsa_next_free_sgpr 16
		.amdhsa_reserve_vcc 1
		.amdhsa_float_round_mode_32 0
		.amdhsa_float_round_mode_16_64 0
		.amdhsa_float_denorm_mode_32 3
		.amdhsa_float_denorm_mode_16_64 3
		.amdhsa_dx10_clamp 1
		.amdhsa_ieee_mode 1
		.amdhsa_fp16_overflow 0
		.amdhsa_workgroup_processor_mode 1
		.amdhsa_memory_ordered 1
		.amdhsa_forward_progress 0
		.amdhsa_shared_vgpr_count 0
		.amdhsa_exception_fp_ieee_invalid_op 0
		.amdhsa_exception_fp_denorm_src 0
		.amdhsa_exception_fp_ieee_div_zero 0
		.amdhsa_exception_fp_ieee_overflow 0
		.amdhsa_exception_fp_ieee_underflow 0
		.amdhsa_exception_fp_ieee_inexact 0
		.amdhsa_exception_int_div_zero 0
	.end_amdhsa_kernel
	.section	.text._Z6kernelI14inclusive_scanILN6hipcub18BlockScanAlgorithmE1EEdLj64ELj4ELj100EEvPKT0_PS4_S4_,"axG",@progbits,_Z6kernelI14inclusive_scanILN6hipcub18BlockScanAlgorithmE1EEdLj64ELj4ELj100EEvPKT0_PS4_S4_,comdat
.Lfunc_end14:
	.size	_Z6kernelI14inclusive_scanILN6hipcub18BlockScanAlgorithmE1EEdLj64ELj4ELj100EEvPKT0_PS4_S4_, .Lfunc_end14-_Z6kernelI14inclusive_scanILN6hipcub18BlockScanAlgorithmE1EEdLj64ELj4ELj100EEvPKT0_PS4_S4_
                                        ; -- End function
	.section	.AMDGPU.csdata,"",@progbits
; Kernel info:
; codeLenInByte = 756
; NumSgprs: 18
; NumVgprs: 26
; ScratchSize: 0
; MemoryBound: 0
; FloatMode: 240
; IeeeMode: 1
; LDSByteSize: 528 bytes/workgroup (compile time only)
; SGPRBlocks: 2
; VGPRBlocks: 3
; NumSGPRsForWavesPerEU: 18
; NumVGPRsForWavesPerEU: 26
; Occupancy: 16
; WaveLimiterHint : 0
; COMPUTE_PGM_RSRC2:SCRATCH_EN: 0
; COMPUTE_PGM_RSRC2:USER_SGPR: 15
; COMPUTE_PGM_RSRC2:TRAP_HANDLER: 0
; COMPUTE_PGM_RSRC2:TGID_X_EN: 1
; COMPUTE_PGM_RSRC2:TGID_Y_EN: 0
; COMPUTE_PGM_RSRC2:TGID_Z_EN: 0
; COMPUTE_PGM_RSRC2:TIDIG_COMP_CNT: 0
	.section	.text._Z6kernelI14inclusive_scanILN6hipcub18BlockScanAlgorithmE1EEdLj64ELj8ELj100EEvPKT0_PS4_S4_,"axG",@progbits,_Z6kernelI14inclusive_scanILN6hipcub18BlockScanAlgorithmE1EEdLj64ELj8ELj100EEvPKT0_PS4_S4_,comdat
	.protected	_Z6kernelI14inclusive_scanILN6hipcub18BlockScanAlgorithmE1EEdLj64ELj8ELj100EEvPKT0_PS4_S4_ ; -- Begin function _Z6kernelI14inclusive_scanILN6hipcub18BlockScanAlgorithmE1EEdLj64ELj8ELj100EEvPKT0_PS4_S4_
	.globl	_Z6kernelI14inclusive_scanILN6hipcub18BlockScanAlgorithmE1EEdLj64ELj8ELj100EEvPKT0_PS4_S4_
	.p2align	8
	.type	_Z6kernelI14inclusive_scanILN6hipcub18BlockScanAlgorithmE1EEdLj64ELj8ELj100EEvPKT0_PS4_S4_,@function
_Z6kernelI14inclusive_scanILN6hipcub18BlockScanAlgorithmE1EEdLj64ELj8ELj100EEvPKT0_PS4_S4_: ; @_Z6kernelI14inclusive_scanILN6hipcub18BlockScanAlgorithmE1EEdLj64ELj8ELj100EEvPKT0_PS4_S4_
; %bb.0:
	s_clause 0x1
	s_load_b32 s2, s[0:1], 0x24
	s_load_b128 s[4:7], s[0:1], 0x0
	v_mov_b32_e32 v2, 0
	v_lshrrev_b32_e32 v17, 5, v0
	v_add_nc_u32_e32 v18, -1, v0
	v_lshrrev_b32_e32 v19, 4, v0
	v_mbcnt_lo_u32_b32 v30, -1, 0
	v_cmp_ne_u32_e64 s1, 0, v0
	v_add_lshl_u32 v29, v17, v0, 3
	v_lshlrev_b32_e32 v17, 1, v0
	v_lshrrev_b32_e32 v20, 5, v18
	v_and_b32_e32 v32, 15, v30
	s_movk_i32 s3, 0x64
	s_delay_alu instid0(VALU_DEP_2) | instskip(SKIP_2) | instid1(SALU_CYCLE_1)
	v_add_lshl_u32 v31, v20, v18, 3
	s_waitcnt lgkmcnt(0)
	s_and_b32 s0, s2, 0xffff
	s_mul_i32 s15, s15, s0
	v_cmp_eq_u32_e64 s0, 0, v0
	v_add_lshl_u32 v1, s15, v0, 3
	s_delay_alu instid0(VALU_DEP_1) | instskip(NEXT) | instid1(VALU_DEP_1)
	v_lshlrev_b64 v[21:22], 3, v[1:2]
	v_add_co_u32 v13, vcc_lo, s4, v21
	s_delay_alu instid0(VALU_DEP_2)
	v_add_co_ci_u32_e32 v14, vcc_lo, s5, v22, vcc_lo
	v_cmp_gt_u32_e32 vcc_lo, 32, v0
	v_add_lshl_u32 v0, v19, v17, 3
	s_clause 0x3
	global_load_b128 v[1:4], v[13:14], off offset:48
	global_load_b128 v[5:8], v[13:14], off offset:32
	;; [unrolled: 1-line block ×3, first 2 shown]
	global_load_b128 v[13:16], v[13:14], off
	s_branch .LBB15_2
.LBB15_1:                               ;   in Loop: Header=BB15_2 Depth=1
	s_or_b32 exec_lo, exec_lo, s2
	s_waitcnt lgkmcnt(0)
	v_add_f64 v[17:18], v[13:14], v[23:24]
	s_add_i32 s3, s3, -1
	s_delay_alu instid0(SALU_CYCLE_1) | instskip(NEXT) | instid1(VALU_DEP_1)
	s_cmp_lg_u32 s3, 0
	v_cndmask_b32_e64 v14, v18, v14, s0
	s_delay_alu instid0(VALU_DEP_2) | instskip(NEXT) | instid1(VALU_DEP_1)
	v_cndmask_b32_e64 v13, v17, v13, s0
	v_add_f64 v[15:16], v[15:16], v[13:14]
	s_delay_alu instid0(VALU_DEP_1) | instskip(NEXT) | instid1(VALU_DEP_1)
	v_add_f64 v[9:10], v[9:10], v[15:16]
	v_add_f64 v[11:12], v[11:12], v[9:10]
	s_delay_alu instid0(VALU_DEP_1) | instskip(NEXT) | instid1(VALU_DEP_1)
	v_add_f64 v[5:6], v[5:6], v[11:12]
	;; [unrolled: 3-line block ×3, first 2 shown]
	v_add_f64 v[3:4], v[3:4], v[1:2]
	s_cbranch_scc0 .LBB15_16
.LBB15_2:                               ; =>This Inner Loop Header: Depth=1
	s_waitcnt vmcnt(0)
	v_add_f64 v[17:18], v[15:16], v[13:14]
	s_delay_alu instid0(VALU_DEP_1) | instskip(NEXT) | instid1(VALU_DEP_1)
	v_add_f64 v[17:18], v[9:10], v[17:18]
	v_add_f64 v[17:18], v[11:12], v[17:18]
	s_delay_alu instid0(VALU_DEP_1) | instskip(NEXT) | instid1(VALU_DEP_1)
	v_add_f64 v[17:18], v[5:6], v[17:18]
	;; [unrolled: 3-line block ×3, first 2 shown]
	v_add_f64 v[23:24], v[3:4], v[17:18]
	ds_store_b64 v29, v[23:24]
	s_waitcnt lgkmcnt(0)
	s_barrier
	buffer_gl0_inv
	s_and_saveexec_b32 s4, vcc_lo
	s_cbranch_execz .LBB15_14
; %bb.3:                                ;   in Loop: Header=BB15_2 Depth=1
	ds_load_2addr_b64 v[17:20], v0 offset1:1
	s_mov_b32 s5, exec_lo
	s_waitcnt lgkmcnt(0)
	v_add_f64 v[25:26], v[17:18], v[19:20]
	s_delay_alu instid0(VALU_DEP_1) | instskip(NEXT) | instid1(VALU_DEP_2)
	v_mov_b32_dpp v27, v25 row_shr:1 row_mask:0xf bank_mask:0xf
	v_mov_b32_dpp v28, v26 row_shr:1 row_mask:0xf bank_mask:0xf
	v_cmpx_ne_u32_e32 0, v32
; %bb.4:                                ;   in Loop: Header=BB15_2 Depth=1
	s_delay_alu instid0(VALU_DEP_2)
	v_add_f64 v[25:26], v[25:26], v[27:28]
; %bb.5:                                ;   in Loop: Header=BB15_2 Depth=1
	s_or_b32 exec_lo, exec_lo, s5
	s_delay_alu instid0(VALU_DEP_1) | instskip(NEXT) | instid1(VALU_DEP_2)
	v_mov_b32_dpp v27, v25 row_shr:2 row_mask:0xf bank_mask:0xf
	v_mov_b32_dpp v28, v26 row_shr:2 row_mask:0xf bank_mask:0xf
	s_mov_b32 s5, exec_lo
	v_cmpx_lt_u32_e32 1, v32
; %bb.6:                                ;   in Loop: Header=BB15_2 Depth=1
	s_delay_alu instid0(VALU_DEP_2)
	v_add_f64 v[25:26], v[25:26], v[27:28]
; %bb.7:                                ;   in Loop: Header=BB15_2 Depth=1
	s_or_b32 exec_lo, exec_lo, s5
	s_delay_alu instid0(VALU_DEP_1) | instskip(NEXT) | instid1(VALU_DEP_2)
	v_mov_b32_dpp v27, v25 row_shr:4 row_mask:0xf bank_mask:0xf
	v_mov_b32_dpp v28, v26 row_shr:4 row_mask:0xf bank_mask:0xf
	s_mov_b32 s5, exec_lo
	v_cmpx_lt_u32_e32 3, v32
	;; [unrolled: 10-line block ×3, first 2 shown]
; %bb.10:                               ;   in Loop: Header=BB15_2 Depth=1
	s_delay_alu instid0(VALU_DEP_2)
	v_add_f64 v[25:26], v[25:26], v[27:28]
; %bb.11:                               ;   in Loop: Header=BB15_2 Depth=1
	s_or_b32 exec_lo, exec_lo, s5
	ds_swizzle_b32 v27, v25 offset:swizzle(BROADCAST,32,15)
	ds_swizzle_b32 v28, v26 offset:swizzle(BROADCAST,32,15)
	v_and_b32_e32 v33, 16, v30
	s_mov_b32 s5, exec_lo
	s_delay_alu instid0(VALU_DEP_1)
	v_cmpx_ne_u32_e32 0, v33
	s_cbranch_execz .LBB15_13
; %bb.12:                               ;   in Loop: Header=BB15_2 Depth=1
	s_waitcnt lgkmcnt(0)
	v_add_f64 v[25:26], v[25:26], v[27:28]
.LBB15_13:                              ;   in Loop: Header=BB15_2 Depth=1
	s_or_b32 exec_lo, exec_lo, s5
	s_waitcnt lgkmcnt(1)
	v_add_nc_u32_e32 v27, -1, v30
	s_delay_alu instid0(VALU_DEP_1) | instskip(NEXT) | instid1(VALU_DEP_1)
	v_cmp_gt_i32_e64 s2, 0, v27
	v_cndmask_b32_e64 v27, v27, v30, s2
	s_delay_alu instid0(VALU_DEP_1) | instskip(SKIP_4) | instid1(VALU_DEP_1)
	v_lshlrev_b32_e32 v27, 2, v27
	ds_bpermute_b32 v25, v27, v25
	ds_bpermute_b32 v26, v27, v26
	s_waitcnt lgkmcnt(0)
	v_add_f64 v[17:18], v[17:18], v[25:26]
	v_cndmask_b32_e64 v18, v18, v24, s0
	s_delay_alu instid0(VALU_DEP_2) | instskip(NEXT) | instid1(VALU_DEP_1)
	v_cndmask_b32_e64 v17, v17, v23, s0
	v_add_f64 v[19:20], v[19:20], v[17:18]
	ds_store_2addr_b64 v0, v[17:18], v[19:20] offset1:1
.LBB15_14:                              ;   in Loop: Header=BB15_2 Depth=1
	s_or_b32 exec_lo, exec_lo, s4
	s_waitcnt lgkmcnt(0)
	s_barrier
	buffer_gl0_inv
	s_and_saveexec_b32 s2, s1
	s_cbranch_execz .LBB15_1
; %bb.15:                               ;   in Loop: Header=BB15_2 Depth=1
	ds_load_b64 v[23:24], v31
	s_branch .LBB15_1
.LBB15_16:
	v_add_co_u32 v17, vcc_lo, s6, v21
	v_add_co_ci_u32_e32 v18, vcc_lo, s7, v22, vcc_lo
	s_clause 0x3
	global_store_b128 v[17:18], v[13:16], off
	global_store_b128 v[17:18], v[9:12], off offset:16
	global_store_b128 v[17:18], v[5:8], off offset:32
	global_store_b128 v[17:18], v[1:4], off offset:48
	s_nop 0
	s_sendmsg sendmsg(MSG_DEALLOC_VGPRS)
	s_endpgm
	.section	.rodata,"a",@progbits
	.p2align	6, 0x0
	.amdhsa_kernel _Z6kernelI14inclusive_scanILN6hipcub18BlockScanAlgorithmE1EEdLj64ELj8ELj100EEvPKT0_PS4_S4_
		.amdhsa_group_segment_fixed_size 528
		.amdhsa_private_segment_fixed_size 0
		.amdhsa_kernarg_size 280
		.amdhsa_user_sgpr_count 15
		.amdhsa_user_sgpr_dispatch_ptr 0
		.amdhsa_user_sgpr_queue_ptr 0
		.amdhsa_user_sgpr_kernarg_segment_ptr 1
		.amdhsa_user_sgpr_dispatch_id 0
		.amdhsa_user_sgpr_private_segment_size 0
		.amdhsa_wavefront_size32 1
		.amdhsa_uses_dynamic_stack 0
		.amdhsa_enable_private_segment 0
		.amdhsa_system_sgpr_workgroup_id_x 1
		.amdhsa_system_sgpr_workgroup_id_y 0
		.amdhsa_system_sgpr_workgroup_id_z 0
		.amdhsa_system_sgpr_workgroup_info 0
		.amdhsa_system_vgpr_workitem_id 0
		.amdhsa_next_free_vgpr 34
		.amdhsa_next_free_sgpr 16
		.amdhsa_reserve_vcc 1
		.amdhsa_float_round_mode_32 0
		.amdhsa_float_round_mode_16_64 0
		.amdhsa_float_denorm_mode_32 3
		.amdhsa_float_denorm_mode_16_64 3
		.amdhsa_dx10_clamp 1
		.amdhsa_ieee_mode 1
		.amdhsa_fp16_overflow 0
		.amdhsa_workgroup_processor_mode 1
		.amdhsa_memory_ordered 1
		.amdhsa_forward_progress 0
		.amdhsa_shared_vgpr_count 0
		.amdhsa_exception_fp_ieee_invalid_op 0
		.amdhsa_exception_fp_denorm_src 0
		.amdhsa_exception_fp_ieee_div_zero 0
		.amdhsa_exception_fp_ieee_overflow 0
		.amdhsa_exception_fp_ieee_underflow 0
		.amdhsa_exception_fp_ieee_inexact 0
		.amdhsa_exception_int_div_zero 0
	.end_amdhsa_kernel
	.section	.text._Z6kernelI14inclusive_scanILN6hipcub18BlockScanAlgorithmE1EEdLj64ELj8ELj100EEvPKT0_PS4_S4_,"axG",@progbits,_Z6kernelI14inclusive_scanILN6hipcub18BlockScanAlgorithmE1EEdLj64ELj8ELj100EEvPKT0_PS4_S4_,comdat
.Lfunc_end15:
	.size	_Z6kernelI14inclusive_scanILN6hipcub18BlockScanAlgorithmE1EEdLj64ELj8ELj100EEvPKT0_PS4_S4_, .Lfunc_end15-_Z6kernelI14inclusive_scanILN6hipcub18BlockScanAlgorithmE1EEdLj64ELj8ELj100EEvPKT0_PS4_S4_
                                        ; -- End function
	.section	.AMDGPU.csdata,"",@progbits
; Kernel info:
; codeLenInByte = 872
; NumSgprs: 18
; NumVgprs: 34
; ScratchSize: 0
; MemoryBound: 0
; FloatMode: 240
; IeeeMode: 1
; LDSByteSize: 528 bytes/workgroup (compile time only)
; SGPRBlocks: 2
; VGPRBlocks: 4
; NumSGPRsForWavesPerEU: 18
; NumVGPRsForWavesPerEU: 34
; Occupancy: 16
; WaveLimiterHint : 0
; COMPUTE_PGM_RSRC2:SCRATCH_EN: 0
; COMPUTE_PGM_RSRC2:USER_SGPR: 15
; COMPUTE_PGM_RSRC2:TRAP_HANDLER: 0
; COMPUTE_PGM_RSRC2:TGID_X_EN: 1
; COMPUTE_PGM_RSRC2:TGID_Y_EN: 0
; COMPUTE_PGM_RSRC2:TGID_Z_EN: 0
; COMPUTE_PGM_RSRC2:TIDIG_COMP_CNT: 0
	.section	.text._Z6kernelI14inclusive_scanILN6hipcub18BlockScanAlgorithmE1EEdLj64ELj11ELj100EEvPKT0_PS4_S4_,"axG",@progbits,_Z6kernelI14inclusive_scanILN6hipcub18BlockScanAlgorithmE1EEdLj64ELj11ELj100EEvPKT0_PS4_S4_,comdat
	.protected	_Z6kernelI14inclusive_scanILN6hipcub18BlockScanAlgorithmE1EEdLj64ELj11ELj100EEvPKT0_PS4_S4_ ; -- Begin function _Z6kernelI14inclusive_scanILN6hipcub18BlockScanAlgorithmE1EEdLj64ELj11ELj100EEvPKT0_PS4_S4_
	.globl	_Z6kernelI14inclusive_scanILN6hipcub18BlockScanAlgorithmE1EEdLj64ELj11ELj100EEvPKT0_PS4_S4_
	.p2align	8
	.type	_Z6kernelI14inclusive_scanILN6hipcub18BlockScanAlgorithmE1EEdLj64ELj11ELj100EEvPKT0_PS4_S4_,@function
_Z6kernelI14inclusive_scanILN6hipcub18BlockScanAlgorithmE1EEdLj64ELj11ELj100EEvPKT0_PS4_S4_: ; @_Z6kernelI14inclusive_scanILN6hipcub18BlockScanAlgorithmE1EEdLj64ELj11ELj100EEvPKT0_PS4_S4_
; %bb.0:
	s_clause 0x1
	s_load_b32 s2, s[0:1], 0x24
	s_load_b128 s[4:7], s[0:1], 0x0
	v_cmp_eq_u32_e64 s0, 0, v0
	v_cmp_ne_u32_e64 s1, 0, v0
	v_mbcnt_lo_u32_b32 v57, -1, 0
	s_movk_i32 s3, 0x64
	s_waitcnt lgkmcnt(0)
	s_and_b32 s2, s2, 0xffff
	s_delay_alu instid0(SALU_CYCLE_1) | instskip(NEXT) | instid1(VALU_DEP_1)
	v_mad_u64_u32 v[1:2], null, s15, s2, v[0:1]
	v_mul_lo_u32 v1, v1, 11
	s_delay_alu instid0(VALU_DEP_1) | instskip(NEXT) | instid1(VALU_DEP_1)
	v_dual_mov_b32 v2, 0 :: v_dual_add_nc_u32 v3, 1, v1
	v_dual_mov_b32 v4, v2 :: v_dual_add_nc_u32 v5, 2, v1
	v_lshlrev_b64 v[18:19], 3, v[1:2]
	v_dual_mov_b32 v6, v2 :: v_dual_add_nc_u32 v7, 3, v1
	v_dual_mov_b32 v8, v2 :: v_dual_add_nc_u32 v9, 4, v1
	v_mov_b32_e32 v10, v2
	v_lshlrev_b64 v[20:21], 3, v[3:4]
	v_dual_mov_b32 v15, v2 :: v_dual_add_nc_u32 v14, 5, v1
	v_lshlrev_b64 v[16:17], 3, v[5:6]
	v_lshlrev_b64 v[12:13], 3, v[7:8]
	;; [unrolled: 1-line block ×3, first 2 shown]
	v_add_co_u32 v10, vcc_lo, s4, v18
	v_dual_mov_b32 v23, v2 :: v_dual_add_nc_u32 v22, 6, v1
	v_add_co_ci_u32_e32 v11, vcc_lo, s5, v19, vcc_lo
	v_lshlrev_b64 v[6:7], 3, v[14:15]
	v_add_co_u32 v14, vcc_lo, s4, v20
	v_add_co_ci_u32_e32 v15, vcc_lo, s5, v21, vcc_lo
	v_lshlrev_b64 v[4:5], 3, v[22:23]
	v_add_co_u32 v22, vcc_lo, s4, v16
	v_add_co_ci_u32_e32 v23, vcc_lo, s5, v17, vcc_lo
	v_add_co_u32 v24, vcc_lo, s4, v12
	v_dual_mov_b32 v33, v2 :: v_dual_add_nc_u32 v32, 7, v1
	v_add_co_ci_u32_e32 v25, vcc_lo, s5, v13, vcc_lo
	v_add_co_u32 v34, vcc_lo, s4, v8
	s_clause 0x3
	global_load_b64 v[30:31], v[10:11], off
	global_load_b64 v[28:29], v[14:15], off
	;; [unrolled: 1-line block ×4, first 2 shown]
	v_dual_mov_b32 v15, v2 :: v_dual_add_nc_u32 v14, 8, v1
	v_add_co_ci_u32_e32 v35, vcc_lo, s5, v9, vcc_lo
	v_add_co_u32 v36, vcc_lo, s4, v6
	v_lshlrev_b64 v[10:11], 3, v[32:33]
	v_dual_mov_b32 v23, v2 :: v_dual_add_nc_u32 v22, 9, v1
	v_add_co_ci_u32_e32 v37, vcc_lo, s5, v7, vcc_lo
	v_add_co_u32 v38, vcc_lo, s4, v4
	v_lshlrev_b64 v[14:15], 3, v[14:15]
	v_add_nc_u32_e32 v1, 10, v1
	v_add_co_ci_u32_e32 v39, vcc_lo, s5, v5, vcc_lo
	v_add_co_u32 v40, vcc_lo, s4, v10
	v_lshlrev_b64 v[22:23], 3, v[22:23]
	v_add_co_ci_u32_e32 v41, vcc_lo, s5, v11, vcc_lo
	v_add_co_u32 v48, vcc_lo, s4, v14
	v_lshlrev_b64 v[32:33], 3, v[1:2]
	v_add_co_ci_u32_e32 v49, vcc_lo, s5, v15, vcc_lo
	v_add_co_u32 v1, vcc_lo, s4, v22
	v_add_co_ci_u32_e32 v2, vcc_lo, s5, v23, vcc_lo
	s_delay_alu instid0(VALU_DEP_4)
	v_add_co_u32 v50, vcc_lo, s4, v32
	v_add_co_ci_u32_e32 v51, vcc_lo, s5, v33, vcc_lo
	s_clause 0x6
	global_load_b64 v[46:47], v[34:35], off
	global_load_b64 v[44:45], v[36:37], off
	;; [unrolled: 1-line block ×7, first 2 shown]
	v_lshrrev_b32_e32 v1, 5, v0
	v_add_nc_u32_e32 v2, -1, v0
	v_lshrrev_b32_e32 v3, 4, v0
	v_cmp_gt_u32_e32 vcc_lo, 32, v0
	s_delay_alu instid0(VALU_DEP_4) | instskip(SKIP_2) | instid1(VALU_DEP_2)
	v_add_lshl_u32 v54, v1, v0, 3
	v_lshlrev_b32_e32 v1, 1, v0
	v_lshrrev_b32_e32 v48, 5, v2
	v_add_lshl_u32 v55, v3, v1, 3
	s_delay_alu instid0(VALU_DEP_2)
	v_add_lshl_u32 v56, v48, v2, 3
	s_branch .LBB16_2
.LBB16_1:                               ;   in Loop: Header=BB16_2 Depth=1
	s_or_b32 exec_lo, exec_lo, s2
	s_waitcnt lgkmcnt(0)
	v_add_f64 v[0:1], v[30:31], v[48:49]
	s_add_i32 s3, s3, -1
	s_delay_alu instid0(SALU_CYCLE_1) | instskip(NEXT) | instid1(VALU_DEP_1)
	s_cmp_lg_u32 s3, 0
	v_cndmask_b32_e64 v31, v1, v31, s0
	s_delay_alu instid0(VALU_DEP_2) | instskip(NEXT) | instid1(VALU_DEP_1)
	v_cndmask_b32_e64 v30, v0, v30, s0
	v_add_f64 v[28:29], v[28:29], v[30:31]
	s_delay_alu instid0(VALU_DEP_1) | instskip(NEXT) | instid1(VALU_DEP_1)
	v_add_f64 v[26:27], v[26:27], v[28:29]
	v_add_f64 v[24:25], v[24:25], v[26:27]
	s_delay_alu instid0(VALU_DEP_1) | instskip(NEXT) | instid1(VALU_DEP_1)
	v_add_f64 v[46:47], v[46:47], v[24:25]
	;; [unrolled: 3-line block ×4, first 2 shown]
	v_add_f64 v[36:37], v[36:37], v[38:39]
	s_delay_alu instid0(VALU_DEP_1)
	v_add_f64 v[34:35], v[34:35], v[36:37]
	s_cbranch_scc0 .LBB16_16
.LBB16_2:                               ; =>This Inner Loop Header: Depth=1
	s_waitcnt vmcnt(9)
	v_add_f64 v[0:1], v[28:29], v[30:31]
	s_waitcnt vmcnt(8)
	s_delay_alu instid0(VALU_DEP_1) | instskip(SKIP_1) | instid1(VALU_DEP_1)
	v_add_f64 v[0:1], v[26:27], v[0:1]
	s_waitcnt vmcnt(7)
	v_add_f64 v[0:1], v[24:25], v[0:1]
	s_waitcnt vmcnt(6)
	s_delay_alu instid0(VALU_DEP_1) | instskip(SKIP_1) | instid1(VALU_DEP_1)
	v_add_f64 v[0:1], v[46:47], v[0:1]
	;; [unrolled: 5-line block ×4, first 2 shown]
	s_waitcnt vmcnt(1)
	v_add_f64 v[0:1], v[36:37], v[0:1]
	s_waitcnt vmcnt(0)
	s_delay_alu instid0(VALU_DEP_1)
	v_add_f64 v[48:49], v[34:35], v[0:1]
	ds_store_b64 v54, v[48:49]
	s_waitcnt lgkmcnt(0)
	s_barrier
	buffer_gl0_inv
	s_and_saveexec_b32 s4, vcc_lo
	s_cbranch_execz .LBB16_14
; %bb.3:                                ;   in Loop: Header=BB16_2 Depth=1
	ds_load_2addr_b64 v[0:3], v55 offset1:1
	v_and_b32_e32 v58, 15, v57
	s_mov_b32 s5, exec_lo
	s_waitcnt lgkmcnt(0)
	v_add_f64 v[50:51], v[0:1], v[2:3]
	s_delay_alu instid0(VALU_DEP_1) | instskip(NEXT) | instid1(VALU_DEP_2)
	v_mov_b32_dpp v52, v50 row_shr:1 row_mask:0xf bank_mask:0xf
	v_mov_b32_dpp v53, v51 row_shr:1 row_mask:0xf bank_mask:0xf
	v_cmpx_ne_u32_e32 0, v58
; %bb.4:                                ;   in Loop: Header=BB16_2 Depth=1
	s_delay_alu instid0(VALU_DEP_2)
	v_add_f64 v[50:51], v[50:51], v[52:53]
; %bb.5:                                ;   in Loop: Header=BB16_2 Depth=1
	s_or_b32 exec_lo, exec_lo, s5
	s_delay_alu instid0(VALU_DEP_1) | instskip(NEXT) | instid1(VALU_DEP_2)
	v_mov_b32_dpp v52, v50 row_shr:2 row_mask:0xf bank_mask:0xf
	v_mov_b32_dpp v53, v51 row_shr:2 row_mask:0xf bank_mask:0xf
	s_mov_b32 s5, exec_lo
	v_cmpx_lt_u32_e32 1, v58
; %bb.6:                                ;   in Loop: Header=BB16_2 Depth=1
	s_delay_alu instid0(VALU_DEP_2)
	v_add_f64 v[50:51], v[50:51], v[52:53]
; %bb.7:                                ;   in Loop: Header=BB16_2 Depth=1
	s_or_b32 exec_lo, exec_lo, s5
	s_delay_alu instid0(VALU_DEP_1) | instskip(NEXT) | instid1(VALU_DEP_2)
	v_mov_b32_dpp v52, v50 row_shr:4 row_mask:0xf bank_mask:0xf
	v_mov_b32_dpp v53, v51 row_shr:4 row_mask:0xf bank_mask:0xf
	s_mov_b32 s5, exec_lo
	v_cmpx_lt_u32_e32 3, v58
	;; [unrolled: 10-line block ×3, first 2 shown]
; %bb.10:                               ;   in Loop: Header=BB16_2 Depth=1
	s_delay_alu instid0(VALU_DEP_2)
	v_add_f64 v[50:51], v[50:51], v[52:53]
; %bb.11:                               ;   in Loop: Header=BB16_2 Depth=1
	s_or_b32 exec_lo, exec_lo, s5
	ds_swizzle_b32 v52, v50 offset:swizzle(BROADCAST,32,15)
	ds_swizzle_b32 v53, v51 offset:swizzle(BROADCAST,32,15)
	v_and_b32_e32 v58, 16, v57
	s_mov_b32 s5, exec_lo
	s_delay_alu instid0(VALU_DEP_1)
	v_cmpx_ne_u32_e32 0, v58
	s_cbranch_execz .LBB16_13
; %bb.12:                               ;   in Loop: Header=BB16_2 Depth=1
	s_waitcnt lgkmcnt(0)
	v_add_f64 v[50:51], v[50:51], v[52:53]
.LBB16_13:                              ;   in Loop: Header=BB16_2 Depth=1
	s_or_b32 exec_lo, exec_lo, s5
	s_waitcnt lgkmcnt(1)
	v_add_nc_u32_e32 v52, -1, v57
	s_delay_alu instid0(VALU_DEP_1) | instskip(NEXT) | instid1(VALU_DEP_1)
	v_cmp_gt_i32_e64 s2, 0, v52
	v_cndmask_b32_e64 v52, v52, v57, s2
	s_delay_alu instid0(VALU_DEP_1) | instskip(SKIP_4) | instid1(VALU_DEP_1)
	v_lshlrev_b32_e32 v52, 2, v52
	ds_bpermute_b32 v50, v52, v50
	ds_bpermute_b32 v51, v52, v51
	s_waitcnt lgkmcnt(0)
	v_add_f64 v[0:1], v[0:1], v[50:51]
	v_cndmask_b32_e64 v1, v1, v49, s0
	s_delay_alu instid0(VALU_DEP_2) | instskip(NEXT) | instid1(VALU_DEP_1)
	v_cndmask_b32_e64 v0, v0, v48, s0
	v_add_f64 v[2:3], v[2:3], v[0:1]
	ds_store_2addr_b64 v55, v[0:1], v[2:3] offset1:1
.LBB16_14:                              ;   in Loop: Header=BB16_2 Depth=1
	s_or_b32 exec_lo, exec_lo, s4
	s_waitcnt lgkmcnt(0)
	s_barrier
	buffer_gl0_inv
	s_and_saveexec_b32 s2, s1
	s_cbranch_execz .LBB16_1
; %bb.15:                               ;   in Loop: Header=BB16_2 Depth=1
	ds_load_b64 v[48:49], v56
	s_branch .LBB16_1
.LBB16_16:
	v_add_co_u32 v0, vcc_lo, s6, v18
	v_add_co_ci_u32_e32 v1, vcc_lo, s7, v19, vcc_lo
	v_add_co_u32 v2, vcc_lo, s6, v20
	v_add_co_ci_u32_e32 v3, vcc_lo, s7, v21, vcc_lo
	v_add_co_u32 v16, vcc_lo, s6, v16
	v_add_co_ci_u32_e32 v17, vcc_lo, s7, v17, vcc_lo
	v_add_co_u32 v12, vcc_lo, s6, v12
	v_add_co_ci_u32_e32 v13, vcc_lo, s7, v13, vcc_lo
	s_clause 0x3
	global_store_b64 v[0:1], v[30:31], off
	global_store_b64 v[2:3], v[28:29], off
	;; [unrolled: 1-line block ×4, first 2 shown]
	v_add_co_u32 v0, vcc_lo, s6, v8
	v_add_co_ci_u32_e32 v1, vcc_lo, s7, v9, vcc_lo
	v_add_co_u32 v2, vcc_lo, s6, v6
	v_add_co_ci_u32_e32 v3, vcc_lo, s7, v7, vcc_lo
	;; [unrolled: 2-line block ×7, first 2 shown]
	s_clause 0x6
	global_store_b64 v[0:1], v[46:47], off
	global_store_b64 v[2:3], v[44:45], off
	;; [unrolled: 1-line block ×7, first 2 shown]
	s_nop 0
	s_sendmsg sendmsg(MSG_DEALLOC_VGPRS)
	s_endpgm
	.section	.rodata,"a",@progbits
	.p2align	6, 0x0
	.amdhsa_kernel _Z6kernelI14inclusive_scanILN6hipcub18BlockScanAlgorithmE1EEdLj64ELj11ELj100EEvPKT0_PS4_S4_
		.amdhsa_group_segment_fixed_size 528
		.amdhsa_private_segment_fixed_size 0
		.amdhsa_kernarg_size 280
		.amdhsa_user_sgpr_count 15
		.amdhsa_user_sgpr_dispatch_ptr 0
		.amdhsa_user_sgpr_queue_ptr 0
		.amdhsa_user_sgpr_kernarg_segment_ptr 1
		.amdhsa_user_sgpr_dispatch_id 0
		.amdhsa_user_sgpr_private_segment_size 0
		.amdhsa_wavefront_size32 1
		.amdhsa_uses_dynamic_stack 0
		.amdhsa_enable_private_segment 0
		.amdhsa_system_sgpr_workgroup_id_x 1
		.amdhsa_system_sgpr_workgroup_id_y 0
		.amdhsa_system_sgpr_workgroup_id_z 0
		.amdhsa_system_sgpr_workgroup_info 0
		.amdhsa_system_vgpr_workitem_id 0
		.amdhsa_next_free_vgpr 59
		.amdhsa_next_free_sgpr 16
		.amdhsa_reserve_vcc 1
		.amdhsa_float_round_mode_32 0
		.amdhsa_float_round_mode_16_64 0
		.amdhsa_float_denorm_mode_32 3
		.amdhsa_float_denorm_mode_16_64 3
		.amdhsa_dx10_clamp 1
		.amdhsa_ieee_mode 1
		.amdhsa_fp16_overflow 0
		.amdhsa_workgroup_processor_mode 1
		.amdhsa_memory_ordered 1
		.amdhsa_forward_progress 0
		.amdhsa_shared_vgpr_count 0
		.amdhsa_exception_fp_ieee_invalid_op 0
		.amdhsa_exception_fp_denorm_src 0
		.amdhsa_exception_fp_ieee_div_zero 0
		.amdhsa_exception_fp_ieee_overflow 0
		.amdhsa_exception_fp_ieee_underflow 0
		.amdhsa_exception_fp_ieee_inexact 0
		.amdhsa_exception_int_div_zero 0
	.end_amdhsa_kernel
	.section	.text._Z6kernelI14inclusive_scanILN6hipcub18BlockScanAlgorithmE1EEdLj64ELj11ELj100EEvPKT0_PS4_S4_,"axG",@progbits,_Z6kernelI14inclusive_scanILN6hipcub18BlockScanAlgorithmE1EEdLj64ELj11ELj100EEvPKT0_PS4_S4_,comdat
.Lfunc_end16:
	.size	_Z6kernelI14inclusive_scanILN6hipcub18BlockScanAlgorithmE1EEdLj64ELj11ELj100EEvPKT0_PS4_S4_, .Lfunc_end16-_Z6kernelI14inclusive_scanILN6hipcub18BlockScanAlgorithmE1EEdLj64ELj11ELj100EEvPKT0_PS4_S4_
                                        ; -- End function
	.section	.AMDGPU.csdata,"",@progbits
; Kernel info:
; codeLenInByte = 1500
; NumSgprs: 18
; NumVgprs: 59
; ScratchSize: 0
; MemoryBound: 0
; FloatMode: 240
; IeeeMode: 1
; LDSByteSize: 528 bytes/workgroup (compile time only)
; SGPRBlocks: 2
; VGPRBlocks: 7
; NumSGPRsForWavesPerEU: 18
; NumVGPRsForWavesPerEU: 59
; Occupancy: 16
; WaveLimiterHint : 0
; COMPUTE_PGM_RSRC2:SCRATCH_EN: 0
; COMPUTE_PGM_RSRC2:USER_SGPR: 15
; COMPUTE_PGM_RSRC2:TRAP_HANDLER: 0
; COMPUTE_PGM_RSRC2:TGID_X_EN: 1
; COMPUTE_PGM_RSRC2:TGID_Y_EN: 0
; COMPUTE_PGM_RSRC2:TGID_Z_EN: 0
; COMPUTE_PGM_RSRC2:TIDIG_COMP_CNT: 0
	.section	.text._Z6kernelI14inclusive_scanILN6hipcub18BlockScanAlgorithmE1EEdLj64ELj16ELj100EEvPKT0_PS4_S4_,"axG",@progbits,_Z6kernelI14inclusive_scanILN6hipcub18BlockScanAlgorithmE1EEdLj64ELj16ELj100EEvPKT0_PS4_S4_,comdat
	.protected	_Z6kernelI14inclusive_scanILN6hipcub18BlockScanAlgorithmE1EEdLj64ELj16ELj100EEvPKT0_PS4_S4_ ; -- Begin function _Z6kernelI14inclusive_scanILN6hipcub18BlockScanAlgorithmE1EEdLj64ELj16ELj100EEvPKT0_PS4_S4_
	.globl	_Z6kernelI14inclusive_scanILN6hipcub18BlockScanAlgorithmE1EEdLj64ELj16ELj100EEvPKT0_PS4_S4_
	.p2align	8
	.type	_Z6kernelI14inclusive_scanILN6hipcub18BlockScanAlgorithmE1EEdLj64ELj16ELj100EEvPKT0_PS4_S4_,@function
_Z6kernelI14inclusive_scanILN6hipcub18BlockScanAlgorithmE1EEdLj64ELj16ELj100EEvPKT0_PS4_S4_: ; @_Z6kernelI14inclusive_scanILN6hipcub18BlockScanAlgorithmE1EEdLj64ELj16ELj100EEvPKT0_PS4_S4_
; %bb.0:
	s_clause 0x1
	s_load_b32 s2, s[0:1], 0x24
	s_load_b128 s[4:7], s[0:1], 0x0
	v_mov_b32_e32 v2, 0
	v_lshrrev_b32_e32 v33, 5, v0
	v_add_nc_u32_e32 v34, -1, v0
	v_lshrrev_b32_e32 v35, 4, v0
	v_cmp_ne_u32_e64 s1, 0, v0
	v_mbcnt_lo_u32_b32 v47, -1, 0
	v_add_lshl_u32 v45, v33, v0, 3
	v_lshlrev_b32_e32 v33, 1, v0
	v_lshrrev_b32_e32 v36, 5, v34
	s_movk_i32 s3, 0x64
	s_delay_alu instid0(VALU_DEP_1) | instskip(SKIP_2) | instid1(SALU_CYCLE_1)
	v_add_lshl_u32 v46, v36, v34, 3
	s_waitcnt lgkmcnt(0)
	s_and_b32 s0, s2, 0xffff
	s_mul_i32 s15, s15, s0
	v_cmp_eq_u32_e64 s0, 0, v0
	v_add_lshl_u32 v1, s15, v0, 4
	s_delay_alu instid0(VALU_DEP_1) | instskip(NEXT) | instid1(VALU_DEP_1)
	v_lshlrev_b64 v[37:38], 3, v[1:2]
	v_add_co_u32 v29, vcc_lo, s4, v37
	s_delay_alu instid0(VALU_DEP_2)
	v_add_co_ci_u32_e32 v30, vcc_lo, s5, v38, vcc_lo
	v_cmp_gt_u32_e32 vcc_lo, 32, v0
	v_add_lshl_u32 v0, v35, v33, 3
	s_clause 0x7
	global_load_b128 v[1:4], v[29:30], off offset:48
	global_load_b128 v[9:12], v[29:30], off offset:32
	;; [unrolled: 1-line block ×3, first 2 shown]
	global_load_b128 v[25:28], v[29:30], off
	global_load_b128 v[5:8], v[29:30], off offset:112
	global_load_b128 v[13:16], v[29:30], off offset:96
	;; [unrolled: 1-line block ×4, first 2 shown]
	s_branch .LBB17_2
.LBB17_1:                               ;   in Loop: Header=BB17_2 Depth=1
	s_or_b32 exec_lo, exec_lo, s2
	s_waitcnt lgkmcnt(0)
	v_add_f64 v[33:34], v[25:26], v[39:40]
	s_add_i32 s3, s3, -1
	s_delay_alu instid0(SALU_CYCLE_1) | instskip(NEXT) | instid1(VALU_DEP_1)
	s_cmp_lg_u32 s3, 0
	v_cndmask_b32_e64 v26, v34, v26, s0
	s_delay_alu instid0(VALU_DEP_2) | instskip(NEXT) | instid1(VALU_DEP_1)
	v_cndmask_b32_e64 v25, v33, v25, s0
	v_add_f64 v[27:28], v[27:28], v[25:26]
	s_delay_alu instid0(VALU_DEP_1) | instskip(NEXT) | instid1(VALU_DEP_1)
	v_add_f64 v[17:18], v[17:18], v[27:28]
	v_add_f64 v[19:20], v[19:20], v[17:18]
	s_delay_alu instid0(VALU_DEP_1) | instskip(NEXT) | instid1(VALU_DEP_1)
	v_add_f64 v[9:10], v[9:10], v[19:20]
	;; [unrolled: 3-line block ×7, first 2 shown]
	v_add_f64 v[7:8], v[7:8], v[5:6]
	s_cbranch_scc0 .LBB17_16
.LBB17_2:                               ; =>This Inner Loop Header: Depth=1
	s_waitcnt vmcnt(4)
	v_add_f64 v[33:34], v[27:28], v[25:26]
	s_delay_alu instid0(VALU_DEP_1) | instskip(NEXT) | instid1(VALU_DEP_1)
	v_add_f64 v[33:34], v[17:18], v[33:34]
	v_add_f64 v[33:34], v[19:20], v[33:34]
	s_delay_alu instid0(VALU_DEP_1) | instskip(NEXT) | instid1(VALU_DEP_1)
	v_add_f64 v[33:34], v[9:10], v[33:34]
	;; [unrolled: 3-line block ×3, first 2 shown]
	v_add_f64 v[33:34], v[3:4], v[33:34]
	s_waitcnt vmcnt(0)
	s_delay_alu instid0(VALU_DEP_1) | instskip(NEXT) | instid1(VALU_DEP_1)
	v_add_f64 v[33:34], v[29:30], v[33:34]
	v_add_f64 v[33:34], v[31:32], v[33:34]
	s_delay_alu instid0(VALU_DEP_1) | instskip(NEXT) | instid1(VALU_DEP_1)
	v_add_f64 v[33:34], v[21:22], v[33:34]
	v_add_f64 v[33:34], v[23:24], v[33:34]
	;; [unrolled: 3-line block ×4, first 2 shown]
	ds_store_b64 v45, v[39:40]
	s_waitcnt lgkmcnt(0)
	s_barrier
	buffer_gl0_inv
	s_and_saveexec_b32 s4, vcc_lo
	s_cbranch_execz .LBB17_14
; %bb.3:                                ;   in Loop: Header=BB17_2 Depth=1
	ds_load_2addr_b64 v[33:36], v0 offset1:1
	v_and_b32_e32 v48, 15, v47
	s_mov_b32 s5, exec_lo
	s_waitcnt lgkmcnt(0)
	v_add_f64 v[41:42], v[33:34], v[35:36]
	s_delay_alu instid0(VALU_DEP_1) | instskip(NEXT) | instid1(VALU_DEP_2)
	v_mov_b32_dpp v43, v41 row_shr:1 row_mask:0xf bank_mask:0xf
	v_mov_b32_dpp v44, v42 row_shr:1 row_mask:0xf bank_mask:0xf
	v_cmpx_ne_u32_e32 0, v48
; %bb.4:                                ;   in Loop: Header=BB17_2 Depth=1
	s_delay_alu instid0(VALU_DEP_2)
	v_add_f64 v[41:42], v[41:42], v[43:44]
; %bb.5:                                ;   in Loop: Header=BB17_2 Depth=1
	s_or_b32 exec_lo, exec_lo, s5
	s_delay_alu instid0(VALU_DEP_1) | instskip(NEXT) | instid1(VALU_DEP_2)
	v_mov_b32_dpp v43, v41 row_shr:2 row_mask:0xf bank_mask:0xf
	v_mov_b32_dpp v44, v42 row_shr:2 row_mask:0xf bank_mask:0xf
	s_mov_b32 s5, exec_lo
	v_cmpx_lt_u32_e32 1, v48
; %bb.6:                                ;   in Loop: Header=BB17_2 Depth=1
	s_delay_alu instid0(VALU_DEP_2)
	v_add_f64 v[41:42], v[41:42], v[43:44]
; %bb.7:                                ;   in Loop: Header=BB17_2 Depth=1
	s_or_b32 exec_lo, exec_lo, s5
	s_delay_alu instid0(VALU_DEP_1) | instskip(NEXT) | instid1(VALU_DEP_2)
	v_mov_b32_dpp v43, v41 row_shr:4 row_mask:0xf bank_mask:0xf
	v_mov_b32_dpp v44, v42 row_shr:4 row_mask:0xf bank_mask:0xf
	s_mov_b32 s5, exec_lo
	v_cmpx_lt_u32_e32 3, v48
	;; [unrolled: 10-line block ×3, first 2 shown]
; %bb.10:                               ;   in Loop: Header=BB17_2 Depth=1
	s_delay_alu instid0(VALU_DEP_2)
	v_add_f64 v[41:42], v[41:42], v[43:44]
; %bb.11:                               ;   in Loop: Header=BB17_2 Depth=1
	s_or_b32 exec_lo, exec_lo, s5
	ds_swizzle_b32 v43, v41 offset:swizzle(BROADCAST,32,15)
	ds_swizzle_b32 v44, v42 offset:swizzle(BROADCAST,32,15)
	v_and_b32_e32 v48, 16, v47
	s_mov_b32 s5, exec_lo
	s_delay_alu instid0(VALU_DEP_1)
	v_cmpx_ne_u32_e32 0, v48
	s_cbranch_execz .LBB17_13
; %bb.12:                               ;   in Loop: Header=BB17_2 Depth=1
	s_waitcnt lgkmcnt(0)
	v_add_f64 v[41:42], v[41:42], v[43:44]
.LBB17_13:                              ;   in Loop: Header=BB17_2 Depth=1
	s_or_b32 exec_lo, exec_lo, s5
	s_waitcnt lgkmcnt(1)
	v_add_nc_u32_e32 v43, -1, v47
	s_delay_alu instid0(VALU_DEP_1) | instskip(NEXT) | instid1(VALU_DEP_1)
	v_cmp_gt_i32_e64 s2, 0, v43
	v_cndmask_b32_e64 v43, v43, v47, s2
	s_delay_alu instid0(VALU_DEP_1) | instskip(SKIP_4) | instid1(VALU_DEP_1)
	v_lshlrev_b32_e32 v43, 2, v43
	ds_bpermute_b32 v41, v43, v41
	ds_bpermute_b32 v42, v43, v42
	s_waitcnt lgkmcnt(0)
	v_add_f64 v[33:34], v[33:34], v[41:42]
	v_cndmask_b32_e64 v34, v34, v40, s0
	s_delay_alu instid0(VALU_DEP_2) | instskip(NEXT) | instid1(VALU_DEP_1)
	v_cndmask_b32_e64 v33, v33, v39, s0
	v_add_f64 v[35:36], v[35:36], v[33:34]
	ds_store_2addr_b64 v0, v[33:34], v[35:36] offset1:1
.LBB17_14:                              ;   in Loop: Header=BB17_2 Depth=1
	s_or_b32 exec_lo, exec_lo, s4
	s_waitcnt lgkmcnt(0)
	s_barrier
	buffer_gl0_inv
	s_and_saveexec_b32 s2, s1
	s_cbranch_execz .LBB17_1
; %bb.15:                               ;   in Loop: Header=BB17_2 Depth=1
	ds_load_b64 v[39:40], v46
	s_branch .LBB17_1
.LBB17_16:
	v_add_co_u32 v33, vcc_lo, s6, v37
	v_add_co_ci_u32_e32 v34, vcc_lo, s7, v38, vcc_lo
	s_clause 0x7
	global_store_b128 v[33:34], v[25:28], off
	global_store_b128 v[33:34], v[17:20], off offset:16
	global_store_b128 v[33:34], v[9:12], off offset:32
	;; [unrolled: 1-line block ×7, first 2 shown]
	s_nop 0
	s_sendmsg sendmsg(MSG_DEALLOC_VGPRS)
	s_endpgm
	.section	.rodata,"a",@progbits
	.p2align	6, 0x0
	.amdhsa_kernel _Z6kernelI14inclusive_scanILN6hipcub18BlockScanAlgorithmE1EEdLj64ELj16ELj100EEvPKT0_PS4_S4_
		.amdhsa_group_segment_fixed_size 528
		.amdhsa_private_segment_fixed_size 0
		.amdhsa_kernarg_size 280
		.amdhsa_user_sgpr_count 15
		.amdhsa_user_sgpr_dispatch_ptr 0
		.amdhsa_user_sgpr_queue_ptr 0
		.amdhsa_user_sgpr_kernarg_segment_ptr 1
		.amdhsa_user_sgpr_dispatch_id 0
		.amdhsa_user_sgpr_private_segment_size 0
		.amdhsa_wavefront_size32 1
		.amdhsa_uses_dynamic_stack 0
		.amdhsa_enable_private_segment 0
		.amdhsa_system_sgpr_workgroup_id_x 1
		.amdhsa_system_sgpr_workgroup_id_y 0
		.amdhsa_system_sgpr_workgroup_id_z 0
		.amdhsa_system_sgpr_workgroup_info 0
		.amdhsa_system_vgpr_workitem_id 0
		.amdhsa_next_free_vgpr 49
		.amdhsa_next_free_sgpr 16
		.amdhsa_reserve_vcc 1
		.amdhsa_float_round_mode_32 0
		.amdhsa_float_round_mode_16_64 0
		.amdhsa_float_denorm_mode_32 3
		.amdhsa_float_denorm_mode_16_64 3
		.amdhsa_dx10_clamp 1
		.amdhsa_ieee_mode 1
		.amdhsa_fp16_overflow 0
		.amdhsa_workgroup_processor_mode 1
		.amdhsa_memory_ordered 1
		.amdhsa_forward_progress 0
		.amdhsa_shared_vgpr_count 0
		.amdhsa_exception_fp_ieee_invalid_op 0
		.amdhsa_exception_fp_denorm_src 0
		.amdhsa_exception_fp_ieee_div_zero 0
		.amdhsa_exception_fp_ieee_overflow 0
		.amdhsa_exception_fp_ieee_underflow 0
		.amdhsa_exception_fp_ieee_inexact 0
		.amdhsa_exception_int_div_zero 0
	.end_amdhsa_kernel
	.section	.text._Z6kernelI14inclusive_scanILN6hipcub18BlockScanAlgorithmE1EEdLj64ELj16ELj100EEvPKT0_PS4_S4_,"axG",@progbits,_Z6kernelI14inclusive_scanILN6hipcub18BlockScanAlgorithmE1EEdLj64ELj16ELj100EEvPKT0_PS4_S4_,comdat
.Lfunc_end17:
	.size	_Z6kernelI14inclusive_scanILN6hipcub18BlockScanAlgorithmE1EEdLj64ELj16ELj100EEvPKT0_PS4_S4_, .Lfunc_end17-_Z6kernelI14inclusive_scanILN6hipcub18BlockScanAlgorithmE1EEdLj64ELj16ELj100EEvPKT0_PS4_S4_
                                        ; -- End function
	.section	.AMDGPU.csdata,"",@progbits
; Kernel info:
; codeLenInByte = 1100
; NumSgprs: 18
; NumVgprs: 49
; ScratchSize: 0
; MemoryBound: 1
; FloatMode: 240
; IeeeMode: 1
; LDSByteSize: 528 bytes/workgroup (compile time only)
; SGPRBlocks: 2
; VGPRBlocks: 6
; NumSGPRsForWavesPerEU: 18
; NumVGPRsForWavesPerEU: 49
; Occupancy: 16
; WaveLimiterHint : 0
; COMPUTE_PGM_RSRC2:SCRATCH_EN: 0
; COMPUTE_PGM_RSRC2:USER_SGPR: 15
; COMPUTE_PGM_RSRC2:TRAP_HANDLER: 0
; COMPUTE_PGM_RSRC2:TGID_X_EN: 1
; COMPUTE_PGM_RSRC2:TGID_Y_EN: 0
; COMPUTE_PGM_RSRC2:TGID_Z_EN: 0
; COMPUTE_PGM_RSRC2:TIDIG_COMP_CNT: 0
	.section	.text._Z6kernelI14inclusive_scanILN6hipcub18BlockScanAlgorithmE1EEhLj64ELj1ELj100EEvPKT0_PS4_S4_,"axG",@progbits,_Z6kernelI14inclusive_scanILN6hipcub18BlockScanAlgorithmE1EEhLj64ELj1ELj100EEvPKT0_PS4_S4_,comdat
	.protected	_Z6kernelI14inclusive_scanILN6hipcub18BlockScanAlgorithmE1EEhLj64ELj1ELj100EEvPKT0_PS4_S4_ ; -- Begin function _Z6kernelI14inclusive_scanILN6hipcub18BlockScanAlgorithmE1EEhLj64ELj1ELj100EEvPKT0_PS4_S4_
	.globl	_Z6kernelI14inclusive_scanILN6hipcub18BlockScanAlgorithmE1EEhLj64ELj1ELj100EEvPKT0_PS4_S4_
	.p2align	8
	.type	_Z6kernelI14inclusive_scanILN6hipcub18BlockScanAlgorithmE1EEhLj64ELj1ELj100EEvPKT0_PS4_S4_,@function
_Z6kernelI14inclusive_scanILN6hipcub18BlockScanAlgorithmE1EEhLj64ELj1ELj100EEvPKT0_PS4_S4_: ; @_Z6kernelI14inclusive_scanILN6hipcub18BlockScanAlgorithmE1EEhLj64ELj1ELj100EEvPKT0_PS4_S4_
; %bb.0:
	s_clause 0x1
	s_load_b32 s4, s[0:1], 0x24
	s_load_b128 s[0:3], s[0:1], 0x0
	v_lshrrev_b32_e32 v4, 5, v0
	v_lshrrev_b32_e32 v5, 4, v0
	v_mbcnt_lo_u32_b32 v3, -1, 0
	v_cmp_gt_u32_e32 vcc_lo, 32, v0
	s_delay_alu instid0(VALU_DEP_4) | instskip(NEXT) | instid1(VALU_DEP_4)
	v_add_nc_u32_e32 v4, v4, v0
	v_lshl_add_u32 v5, v0, 1, v5
	s_delay_alu instid0(VALU_DEP_4) | instskip(SKIP_3) | instid1(SALU_CYCLE_1)
	v_and_b32_e32 v6, 16, v3
	v_add_nc_u32_e32 v7, -1, v3
	s_waitcnt lgkmcnt(0)
	s_and_b32 s4, s4, 0xffff
	v_mad_u64_u32 v[1:2], null, s15, s4, v[0:1]
	s_movk_i32 s4, 0x64
	global_load_u8 v2, v1, s[0:1]
	v_cmp_eq_u32_e64 s0, 0, v0
	v_and_b32_e32 v0, 15, v3
	s_branch .LBB18_2
.LBB18_1:                               ;   in Loop: Header=BB18_2 Depth=1
	s_or_b32 exec_lo, exec_lo, s5
	s_waitcnt lgkmcnt(0)
	s_barrier
	buffer_gl0_inv
	ds_load_u8 v2, v4
	s_add_i32 s4, s4, -1
	s_delay_alu instid0(SALU_CYCLE_1)
	s_cmp_lg_u32 s4, 0
	s_cbranch_scc0 .LBB18_4
.LBB18_2:                               ; =>This Inner Loop Header: Depth=1
	s_waitcnt vmcnt(0) lgkmcnt(0)
	ds_store_b8 v4, v2
	s_waitcnt lgkmcnt(0)
	s_barrier
	buffer_gl0_inv
	s_and_saveexec_b32 s5, vcc_lo
	s_cbranch_execz .LBB18_1
; %bb.3:                                ;   in Loop: Header=BB18_2 Depth=1
	ds_load_u8 v8, v5
	ds_load_u8 v9, v5 offset:1
	v_cmp_ne_u32_e64 s1, 0, v0
	s_waitcnt lgkmcnt(0)
	v_add_nc_u16 v10, v9, v8
	s_delay_alu instid0(VALU_DEP_1) | instskip(NEXT) | instid1(VALU_DEP_1)
	v_and_b32_e32 v11, 0xff, v10
	v_mov_b32_dpp v11, v11 row_shr:1 row_mask:0xf bank_mask:0xf
	s_delay_alu instid0(VALU_DEP_1) | instskip(SKIP_1) | instid1(VALU_DEP_2)
	v_cndmask_b32_e64 v11, 0, v11, s1
	v_cmp_lt_u32_e64 s1, 1, v0
	v_add_nc_u16 v10, v11, v10
	s_delay_alu instid0(VALU_DEP_1) | instskip(NEXT) | instid1(VALU_DEP_1)
	v_and_b32_e32 v11, 0xff, v10
	v_mov_b32_dpp v11, v11 row_shr:2 row_mask:0xf bank_mask:0xf
	s_delay_alu instid0(VALU_DEP_1) | instskip(SKIP_1) | instid1(VALU_DEP_2)
	v_cndmask_b32_e64 v11, 0, v11, s1
	v_cmp_lt_u32_e64 s1, 3, v0
	;; [unrolled: 7-line block ×3, first 2 shown]
	v_add_nc_u16 v10, v10, v11
	s_delay_alu instid0(VALU_DEP_1) | instskip(NEXT) | instid1(VALU_DEP_1)
	v_and_b32_e32 v11, 0xff, v10
	v_mov_b32_dpp v11, v11 row_shr:8 row_mask:0xf bank_mask:0xf
	s_delay_alu instid0(VALU_DEP_1) | instskip(SKIP_1) | instid1(VALU_DEP_2)
	v_cndmask_b32_e64 v11, 0, v11, s1
	v_cmp_ne_u32_e64 s1, 0, v6
	v_add_nc_u16 v10, v10, v11
	s_delay_alu instid0(VALU_DEP_1) | instskip(SKIP_4) | instid1(VALU_DEP_2)
	v_and_b32_e32 v11, 0xff, v10
	ds_swizzle_b32 v11, v11 offset:swizzle(BROADCAST,32,15)
	s_waitcnt lgkmcnt(0)
	v_cndmask_b32_e64 v11, 0, v11, s1
	v_cmp_gt_i32_e64 s1, 0, v7
	v_add_nc_u16 v10, v10, v11
	s_delay_alu instid0(VALU_DEP_2) | instskip(NEXT) | instid1(VALU_DEP_2)
	v_cndmask_b32_e64 v11, v7, v3, s1
	v_and_b32_e32 v10, 0xff, v10
	s_delay_alu instid0(VALU_DEP_2) | instskip(SKIP_3) | instid1(VALU_DEP_1)
	v_lshlrev_b32_e32 v11, 2, v11
	ds_bpermute_b32 v10, v11, v10
	s_waitcnt lgkmcnt(0)
	v_add_nc_u16 v8, v8, v10
	v_cndmask_b32_e64 v2, v8, v2, s0
	s_delay_alu instid0(VALU_DEP_1)
	v_add_nc_u16 v8, v2, v9
	ds_store_b8 v5, v2
	ds_store_b8 v5, v8 offset:1
	s_branch .LBB18_1
.LBB18_4:
	v_add_co_u32 v0, s0, s2, v1
	s_delay_alu instid0(VALU_DEP_1)
	v_add_co_ci_u32_e64 v1, null, s3, 0, s0
	s_waitcnt lgkmcnt(0)
	global_store_b8 v[0:1], v2, off
	s_nop 0
	s_sendmsg sendmsg(MSG_DEALLOC_VGPRS)
	s_endpgm
	.section	.rodata,"a",@progbits
	.p2align	6, 0x0
	.amdhsa_kernel _Z6kernelI14inclusive_scanILN6hipcub18BlockScanAlgorithmE1EEhLj64ELj1ELj100EEvPKT0_PS4_S4_
		.amdhsa_group_segment_fixed_size 66
		.amdhsa_private_segment_fixed_size 0
		.amdhsa_kernarg_size 280
		.amdhsa_user_sgpr_count 15
		.amdhsa_user_sgpr_dispatch_ptr 0
		.amdhsa_user_sgpr_queue_ptr 0
		.amdhsa_user_sgpr_kernarg_segment_ptr 1
		.amdhsa_user_sgpr_dispatch_id 0
		.amdhsa_user_sgpr_private_segment_size 0
		.amdhsa_wavefront_size32 1
		.amdhsa_uses_dynamic_stack 0
		.amdhsa_enable_private_segment 0
		.amdhsa_system_sgpr_workgroup_id_x 1
		.amdhsa_system_sgpr_workgroup_id_y 0
		.amdhsa_system_sgpr_workgroup_id_z 0
		.amdhsa_system_sgpr_workgroup_info 0
		.amdhsa_system_vgpr_workitem_id 0
		.amdhsa_next_free_vgpr 12
		.amdhsa_next_free_sgpr 16
		.amdhsa_reserve_vcc 1
		.amdhsa_float_round_mode_32 0
		.amdhsa_float_round_mode_16_64 0
		.amdhsa_float_denorm_mode_32 3
		.amdhsa_float_denorm_mode_16_64 3
		.amdhsa_dx10_clamp 1
		.amdhsa_ieee_mode 1
		.amdhsa_fp16_overflow 0
		.amdhsa_workgroup_processor_mode 1
		.amdhsa_memory_ordered 1
		.amdhsa_forward_progress 0
		.amdhsa_shared_vgpr_count 0
		.amdhsa_exception_fp_ieee_invalid_op 0
		.amdhsa_exception_fp_denorm_src 0
		.amdhsa_exception_fp_ieee_div_zero 0
		.amdhsa_exception_fp_ieee_overflow 0
		.amdhsa_exception_fp_ieee_underflow 0
		.amdhsa_exception_fp_ieee_inexact 0
		.amdhsa_exception_int_div_zero 0
	.end_amdhsa_kernel
	.section	.text._Z6kernelI14inclusive_scanILN6hipcub18BlockScanAlgorithmE1EEhLj64ELj1ELj100EEvPKT0_PS4_S4_,"axG",@progbits,_Z6kernelI14inclusive_scanILN6hipcub18BlockScanAlgorithmE1EEhLj64ELj1ELj100EEvPKT0_PS4_S4_,comdat
.Lfunc_end18:
	.size	_Z6kernelI14inclusive_scanILN6hipcub18BlockScanAlgorithmE1EEhLj64ELj1ELj100EEvPKT0_PS4_S4_, .Lfunc_end18-_Z6kernelI14inclusive_scanILN6hipcub18BlockScanAlgorithmE1EEhLj64ELj1ELj100EEvPKT0_PS4_S4_
                                        ; -- End function
	.section	.AMDGPU.csdata,"",@progbits
; Kernel info:
; codeLenInByte = 604
; NumSgprs: 18
; NumVgprs: 12
; ScratchSize: 0
; MemoryBound: 0
; FloatMode: 240
; IeeeMode: 1
; LDSByteSize: 66 bytes/workgroup (compile time only)
; SGPRBlocks: 2
; VGPRBlocks: 1
; NumSGPRsForWavesPerEU: 18
; NumVGPRsForWavesPerEU: 12
; Occupancy: 16
; WaveLimiterHint : 0
; COMPUTE_PGM_RSRC2:SCRATCH_EN: 0
; COMPUTE_PGM_RSRC2:USER_SGPR: 15
; COMPUTE_PGM_RSRC2:TRAP_HANDLER: 0
; COMPUTE_PGM_RSRC2:TGID_X_EN: 1
; COMPUTE_PGM_RSRC2:TGID_Y_EN: 0
; COMPUTE_PGM_RSRC2:TGID_Z_EN: 0
; COMPUTE_PGM_RSRC2:TIDIG_COMP_CNT: 0
	.section	.text._Z6kernelI14inclusive_scanILN6hipcub18BlockScanAlgorithmE1EEhLj64ELj3ELj100EEvPKT0_PS4_S4_,"axG",@progbits,_Z6kernelI14inclusive_scanILN6hipcub18BlockScanAlgorithmE1EEhLj64ELj3ELj100EEvPKT0_PS4_S4_,comdat
	.protected	_Z6kernelI14inclusive_scanILN6hipcub18BlockScanAlgorithmE1EEhLj64ELj3ELj100EEvPKT0_PS4_S4_ ; -- Begin function _Z6kernelI14inclusive_scanILN6hipcub18BlockScanAlgorithmE1EEhLj64ELj3ELj100EEvPKT0_PS4_S4_
	.globl	_Z6kernelI14inclusive_scanILN6hipcub18BlockScanAlgorithmE1EEhLj64ELj3ELj100EEvPKT0_PS4_S4_
	.p2align	8
	.type	_Z6kernelI14inclusive_scanILN6hipcub18BlockScanAlgorithmE1EEhLj64ELj3ELj100EEvPKT0_PS4_S4_,@function
_Z6kernelI14inclusive_scanILN6hipcub18BlockScanAlgorithmE1EEhLj64ELj3ELj100EEvPKT0_PS4_S4_: ; @_Z6kernelI14inclusive_scanILN6hipcub18BlockScanAlgorithmE1EEhLj64ELj3ELj100EEvPKT0_PS4_S4_
; %bb.0:
	s_clause 0x1
	s_load_b32 s2, s[0:1], 0x24
	s_load_b128 s[4:7], s[0:1], 0x0
	v_add_nc_u32_e32 v8, -1, v0
	v_mbcnt_lo_u32_b32 v4, -1, 0
	v_lshrrev_b32_e32 v7, 5, v0
	v_lshrrev_b32_e32 v10, 4, v0
	v_cmp_gt_u32_e32 vcc_lo, 32, v0
	v_lshrrev_b32_e32 v11, 5, v8
	v_cmp_ne_u32_e64 s1, 0, v0
	v_add_nc_u32_e32 v7, v7, v0
	s_movk_i32 s3, 0x64
	s_delay_alu instid0(VALU_DEP_3) | instskip(SKIP_2) | instid1(SALU_CYCLE_1)
	v_add_nc_u32_e32 v8, v11, v8
	s_waitcnt lgkmcnt(0)
	s_and_b32 s0, s2, 0xffff
	v_mad_u64_u32 v[1:2], null, s15, s0, v[0:1]
	v_cmp_eq_u32_e64 s0, 0, v0
	v_lshl_add_u32 v0, v0, 1, v10
	s_delay_alu instid0(VALU_DEP_3) | instskip(NEXT) | instid1(VALU_DEP_1)
	v_lshl_add_u32 v3, v1, 1, v1
	v_add_nc_u32_e32 v2, 1, v3
	v_add_nc_u32_e32 v1, 2, v3
	s_clause 0x2
	global_load_u8 v5, v2, s[4:5]
	global_load_u8 v6, v3, s[4:5]
	global_load_u8 v9, v1, s[4:5]
	s_waitcnt vmcnt(2)
	v_lshlrev_b16 v5, 8, v5
	s_waitcnt vmcnt(1)
	s_delay_alu instid0(VALU_DEP_1) | instskip(SKIP_1) | instid1(VALU_DEP_2)
	v_or_b32_e32 v6, v6, v5
	v_and_b32_e32 v5, 15, v4
	v_and_b32_e32 v12, 0xffff, v6
	;; [unrolled: 1-line block ×3, first 2 shown]
	s_waitcnt vmcnt(0)
	s_delay_alu instid0(VALU_DEP_2)
	v_lshl_or_b32 v10, v9, 16, v12
	v_add_nc_u32_e32 v9, -1, v4
	s_branch .LBB19_2
.LBB19_1:                               ;   in Loop: Header=BB19_2 Depth=1
	s_or_b32 exec_lo, exec_lo, s2
	s_waitcnt lgkmcnt(0)
	v_add_nc_u16 v13, v13, v10
	s_add_i32 s3, s3, -1
	s_delay_alu instid0(SALU_CYCLE_1) | instskip(NEXT) | instid1(VALU_DEP_1)
	s_cmp_lg_u32 s3, 0
	v_add_nc_u16 v12, v13, v12
	v_and_b32_e32 v10, 0xff, v13
	s_delay_alu instid0(VALU_DEP_2) | instskip(SKIP_1) | instid1(VALU_DEP_2)
	v_lshlrev_b16 v14, 8, v12
	v_add_nc_u16 v11, v12, v11
	v_or_b32_e32 v10, v10, v14
	s_delay_alu instid0(VALU_DEP_2) | instskip(NEXT) | instid1(VALU_DEP_2)
	v_and_b32_e32 v14, 0xff, v11
	v_and_b32_e32 v10, 0xffff, v10
	s_delay_alu instid0(VALU_DEP_2) | instskip(NEXT) | instid1(VALU_DEP_1)
	v_lshlrev_b32_e32 v14, 16, v14
	v_or_b32_e32 v10, v10, v14
	s_cbranch_scc0 .LBB19_6
.LBB19_2:                               ; =>This Inner Loop Header: Depth=1
	s_delay_alu instid0(VALU_DEP_1) | instskip(SKIP_1) | instid1(VALU_DEP_2)
	v_lshrrev_b32_e32 v12, 8, v10
	v_lshrrev_b32_e32 v11, 16, v10
	v_add_nc_u16 v13, v12, v10
	s_delay_alu instid0(VALU_DEP_1)
	v_add_nc_u16 v13, v13, v11
	ds_store_b8 v7, v13
	s_waitcnt lgkmcnt(0)
	s_barrier
	buffer_gl0_inv
	s_and_saveexec_b32 s4, vcc_lo
	s_cbranch_execz .LBB19_4
; %bb.3:                                ;   in Loop: Header=BB19_2 Depth=1
	ds_load_u8 v14, v0
	ds_load_u8 v15, v0 offset:1
	v_cmp_ne_u32_e64 s2, 0, v5
	s_waitcnt lgkmcnt(0)
	v_add_nc_u16 v16, v15, v14
	s_delay_alu instid0(VALU_DEP_1) | instskip(NEXT) | instid1(VALU_DEP_1)
	v_and_b32_e32 v17, 0xff, v16
	v_mov_b32_dpp v17, v17 row_shr:1 row_mask:0xf bank_mask:0xf
	s_delay_alu instid0(VALU_DEP_1) | instskip(SKIP_1) | instid1(VALU_DEP_2)
	v_cndmask_b32_e64 v17, 0, v17, s2
	v_cmp_lt_u32_e64 s2, 1, v5
	v_add_nc_u16 v16, v17, v16
	s_delay_alu instid0(VALU_DEP_1) | instskip(NEXT) | instid1(VALU_DEP_1)
	v_and_b32_e32 v17, 0xff, v16
	v_mov_b32_dpp v17, v17 row_shr:2 row_mask:0xf bank_mask:0xf
	s_delay_alu instid0(VALU_DEP_1) | instskip(SKIP_1) | instid1(VALU_DEP_2)
	v_cndmask_b32_e64 v17, 0, v17, s2
	v_cmp_lt_u32_e64 s2, 3, v5
	;; [unrolled: 7-line block ×3, first 2 shown]
	v_add_nc_u16 v16, v16, v17
	s_delay_alu instid0(VALU_DEP_1) | instskip(NEXT) | instid1(VALU_DEP_1)
	v_and_b32_e32 v17, 0xff, v16
	v_mov_b32_dpp v17, v17 row_shr:8 row_mask:0xf bank_mask:0xf
	s_delay_alu instid0(VALU_DEP_1) | instskip(SKIP_1) | instid1(VALU_DEP_2)
	v_cndmask_b32_e64 v17, 0, v17, s2
	v_cmp_ne_u32_e64 s2, 0, v6
	v_add_nc_u16 v16, v16, v17
	s_delay_alu instid0(VALU_DEP_1) | instskip(SKIP_4) | instid1(VALU_DEP_2)
	v_and_b32_e32 v17, 0xff, v16
	ds_swizzle_b32 v17, v17 offset:swizzle(BROADCAST,32,15)
	s_waitcnt lgkmcnt(0)
	v_cndmask_b32_e64 v17, 0, v17, s2
	v_cmp_gt_i32_e64 s2, 0, v9
	v_add_nc_u16 v16, v16, v17
	s_delay_alu instid0(VALU_DEP_2) | instskip(NEXT) | instid1(VALU_DEP_2)
	v_cndmask_b32_e64 v17, v9, v4, s2
	v_and_b32_e32 v16, 0xff, v16
	s_delay_alu instid0(VALU_DEP_2) | instskip(SKIP_3) | instid1(VALU_DEP_1)
	v_lshlrev_b32_e32 v17, 2, v17
	ds_bpermute_b32 v16, v17, v16
	s_waitcnt lgkmcnt(0)
	v_add_nc_u16 v14, v14, v16
	v_cndmask_b32_e64 v13, v14, v13, s0
	s_delay_alu instid0(VALU_DEP_1)
	v_add_nc_u16 v14, v13, v15
	ds_store_b8 v0, v13
	ds_store_b8 v0, v14 offset:1
.LBB19_4:                               ;   in Loop: Header=BB19_2 Depth=1
	s_or_b32 exec_lo, exec_lo, s4
	v_mov_b32_e32 v13, 0
	s_waitcnt lgkmcnt(0)
	s_barrier
	buffer_gl0_inv
	s_and_saveexec_b32 s2, s1
	s_cbranch_execz .LBB19_1
; %bb.5:                                ;   in Loop: Header=BB19_2 Depth=1
	ds_load_u8 v13, v8
	s_branch .LBB19_1
.LBB19_6:
	v_add_co_u32 v3, s0, s6, v3
	s_delay_alu instid0(VALU_DEP_1) | instskip(SKIP_1) | instid1(VALU_DEP_1)
	v_add_co_ci_u32_e64 v4, null, s7, 0, s0
	v_add_co_u32 v5, s0, s6, v2
	v_add_co_ci_u32_e64 v6, null, s7, 0, s0
	v_add_co_u32 v0, s0, s6, v1
	s_delay_alu instid0(VALU_DEP_1)
	v_add_co_ci_u32_e64 v1, null, s7, 0, s0
	s_clause 0x2
	global_store_b8 v[3:4], v13, off
	global_store_b8 v[5:6], v12, off
	;; [unrolled: 1-line block ×3, first 2 shown]
	s_nop 0
	s_sendmsg sendmsg(MSG_DEALLOC_VGPRS)
	s_endpgm
	.section	.rodata,"a",@progbits
	.p2align	6, 0x0
	.amdhsa_kernel _Z6kernelI14inclusive_scanILN6hipcub18BlockScanAlgorithmE1EEhLj64ELj3ELj100EEvPKT0_PS4_S4_
		.amdhsa_group_segment_fixed_size 66
		.amdhsa_private_segment_fixed_size 0
		.amdhsa_kernarg_size 280
		.amdhsa_user_sgpr_count 15
		.amdhsa_user_sgpr_dispatch_ptr 0
		.amdhsa_user_sgpr_queue_ptr 0
		.amdhsa_user_sgpr_kernarg_segment_ptr 1
		.amdhsa_user_sgpr_dispatch_id 0
		.amdhsa_user_sgpr_private_segment_size 0
		.amdhsa_wavefront_size32 1
		.amdhsa_uses_dynamic_stack 0
		.amdhsa_enable_private_segment 0
		.amdhsa_system_sgpr_workgroup_id_x 1
		.amdhsa_system_sgpr_workgroup_id_y 0
		.amdhsa_system_sgpr_workgroup_id_z 0
		.amdhsa_system_sgpr_workgroup_info 0
		.amdhsa_system_vgpr_workitem_id 0
		.amdhsa_next_free_vgpr 18
		.amdhsa_next_free_sgpr 16
		.amdhsa_reserve_vcc 1
		.amdhsa_float_round_mode_32 0
		.amdhsa_float_round_mode_16_64 0
		.amdhsa_float_denorm_mode_32 3
		.amdhsa_float_denorm_mode_16_64 3
		.amdhsa_dx10_clamp 1
		.amdhsa_ieee_mode 1
		.amdhsa_fp16_overflow 0
		.amdhsa_workgroup_processor_mode 1
		.amdhsa_memory_ordered 1
		.amdhsa_forward_progress 0
		.amdhsa_shared_vgpr_count 0
		.amdhsa_exception_fp_ieee_invalid_op 0
		.amdhsa_exception_fp_denorm_src 0
		.amdhsa_exception_fp_ieee_div_zero 0
		.amdhsa_exception_fp_ieee_overflow 0
		.amdhsa_exception_fp_ieee_underflow 0
		.amdhsa_exception_fp_ieee_inexact 0
		.amdhsa_exception_int_div_zero 0
	.end_amdhsa_kernel
	.section	.text._Z6kernelI14inclusive_scanILN6hipcub18BlockScanAlgorithmE1EEhLj64ELj3ELj100EEvPKT0_PS4_S4_,"axG",@progbits,_Z6kernelI14inclusive_scanILN6hipcub18BlockScanAlgorithmE1EEhLj64ELj3ELj100EEvPKT0_PS4_S4_,comdat
.Lfunc_end19:
	.size	_Z6kernelI14inclusive_scanILN6hipcub18BlockScanAlgorithmE1EEhLj64ELj3ELj100EEvPKT0_PS4_S4_, .Lfunc_end19-_Z6kernelI14inclusive_scanILN6hipcub18BlockScanAlgorithmE1EEhLj64ELj3ELj100EEvPKT0_PS4_S4_
                                        ; -- End function
	.section	.AMDGPU.csdata,"",@progbits
; Kernel info:
; codeLenInByte = 888
; NumSgprs: 18
; NumVgprs: 18
; ScratchSize: 0
; MemoryBound: 0
; FloatMode: 240
; IeeeMode: 1
; LDSByteSize: 66 bytes/workgroup (compile time only)
; SGPRBlocks: 2
; VGPRBlocks: 2
; NumSGPRsForWavesPerEU: 18
; NumVGPRsForWavesPerEU: 18
; Occupancy: 16
; WaveLimiterHint : 0
; COMPUTE_PGM_RSRC2:SCRATCH_EN: 0
; COMPUTE_PGM_RSRC2:USER_SGPR: 15
; COMPUTE_PGM_RSRC2:TRAP_HANDLER: 0
; COMPUTE_PGM_RSRC2:TGID_X_EN: 1
; COMPUTE_PGM_RSRC2:TGID_Y_EN: 0
; COMPUTE_PGM_RSRC2:TGID_Z_EN: 0
; COMPUTE_PGM_RSRC2:TIDIG_COMP_CNT: 0
	.section	.text._Z6kernelI14inclusive_scanILN6hipcub18BlockScanAlgorithmE1EEhLj64ELj4ELj100EEvPKT0_PS4_S4_,"axG",@progbits,_Z6kernelI14inclusive_scanILN6hipcub18BlockScanAlgorithmE1EEhLj64ELj4ELj100EEvPKT0_PS4_S4_,comdat
	.protected	_Z6kernelI14inclusive_scanILN6hipcub18BlockScanAlgorithmE1EEhLj64ELj4ELj100EEvPKT0_PS4_S4_ ; -- Begin function _Z6kernelI14inclusive_scanILN6hipcub18BlockScanAlgorithmE1EEhLj64ELj4ELj100EEvPKT0_PS4_S4_
	.globl	_Z6kernelI14inclusive_scanILN6hipcub18BlockScanAlgorithmE1EEhLj64ELj4ELj100EEvPKT0_PS4_S4_
	.p2align	8
	.type	_Z6kernelI14inclusive_scanILN6hipcub18BlockScanAlgorithmE1EEhLj64ELj4ELj100EEvPKT0_PS4_S4_,@function
_Z6kernelI14inclusive_scanILN6hipcub18BlockScanAlgorithmE1EEhLj64ELj4ELj100EEvPKT0_PS4_S4_: ; @_Z6kernelI14inclusive_scanILN6hipcub18BlockScanAlgorithmE1EEhLj64ELj4ELj100EEvPKT0_PS4_S4_
; %bb.0:
	s_clause 0x1
	s_load_b32 s2, s[0:1], 0x24
	s_load_b128 s[4:7], s[0:1], 0x0
	v_add_nc_u32_e32 v5, -1, v0
	v_lshrrev_b32_e32 v3, 5, v0
	v_lshrrev_b32_e32 v6, 4, v0
	v_mbcnt_lo_u32_b32 v4, -1, 0
	v_cmp_gt_u32_e32 vcc_lo, 32, v0
	v_lshrrev_b32_e32 v7, 5, v5
	v_add_nc_u32_e32 v3, v3, v0
	v_cmp_ne_u32_e64 s1, 0, v0
	v_add_nc_u32_e32 v8, -1, v4
	s_movk_i32 s3, 0x64
	v_add_nc_u32_e32 v5, v7, v5
	v_and_b32_e32 v7, 16, v4
	s_waitcnt lgkmcnt(0)
	s_and_b32 s0, s2, 0xffff
	s_delay_alu instid0(SALU_CYCLE_1)
	s_mul_i32 s15, s15, s0
	v_cmp_eq_u32_e64 s0, 0, v0
	v_add_lshl_u32 v1, s15, v0, 2
	v_lshl_add_u32 v0, v0, 1, v6
	v_and_b32_e32 v6, 15, v4
	global_load_b32 v2, v1, s[4:5]
	s_branch .LBB20_2
.LBB20_1:                               ;   in Loop: Header=BB20_2 Depth=1
	s_or_b32 exec_lo, exec_lo, s2
	s_waitcnt lgkmcnt(0)
	v_add_nc_u16 v2, v12, v2
	s_add_i32 s3, s3, -1
	s_delay_alu instid0(SALU_CYCLE_1) | instskip(NEXT) | instid1(VALU_DEP_1)
	s_cmp_lg_u32 s3, 0
	v_add_nc_u16 v10, v2, v10
	v_and_b32_e32 v2, 0xff, v2
	s_delay_alu instid0(VALU_DEP_2) | instskip(SKIP_1) | instid1(VALU_DEP_2)
	v_add_nc_u16 v9, v10, v9
	v_lshlrev_b16 v10, 8, v10
	v_add_nc_u16 v11, v9, v11
	v_and_b32_e32 v9, 0xff, v9
	s_delay_alu instid0(VALU_DEP_3) | instskip(NEXT) | instid1(VALU_DEP_3)
	v_or_b32_e32 v2, v2, v10
	v_lshlrev_b16 v11, 8, v11
	s_delay_alu instid0(VALU_DEP_2) | instskip(NEXT) | instid1(VALU_DEP_2)
	v_and_b32_e32 v2, 0xffff, v2
	v_or_b32_e32 v9, v9, v11
	s_delay_alu instid0(VALU_DEP_1) | instskip(NEXT) | instid1(VALU_DEP_1)
	v_lshlrev_b32_e32 v9, 16, v9
	v_or_b32_e32 v2, v2, v9
	s_cbranch_scc0 .LBB20_6
.LBB20_2:                               ; =>This Inner Loop Header: Depth=1
	s_waitcnt vmcnt(0)
	s_delay_alu instid0(VALU_DEP_1) | instskip(SKIP_2) | instid1(VALU_DEP_3)
	v_lshrrev_b32_e32 v10, 8, v2
	v_lshrrev_b32_e32 v9, 16, v2
	;; [unrolled: 1-line block ×3, first 2 shown]
	v_add_nc_u16 v12, v10, v2
	s_delay_alu instid0(VALU_DEP_1) | instskip(NEXT) | instid1(VALU_DEP_1)
	v_add_nc_u16 v12, v12, v9
	v_add_nc_u16 v12, v12, v11
	ds_store_b8 v3, v12
	s_waitcnt lgkmcnt(0)
	s_barrier
	buffer_gl0_inv
	s_and_saveexec_b32 s4, vcc_lo
	s_cbranch_execz .LBB20_4
; %bb.3:                                ;   in Loop: Header=BB20_2 Depth=1
	ds_load_u8 v13, v0
	ds_load_u8 v14, v0 offset:1
	v_cmp_ne_u32_e64 s2, 0, v6
	s_waitcnt lgkmcnt(0)
	v_add_nc_u16 v15, v14, v13
	s_delay_alu instid0(VALU_DEP_1) | instskip(NEXT) | instid1(VALU_DEP_1)
	v_and_b32_e32 v16, 0xff, v15
	v_mov_b32_dpp v16, v16 row_shr:1 row_mask:0xf bank_mask:0xf
	s_delay_alu instid0(VALU_DEP_1) | instskip(SKIP_1) | instid1(VALU_DEP_2)
	v_cndmask_b32_e64 v16, 0, v16, s2
	v_cmp_lt_u32_e64 s2, 1, v6
	v_add_nc_u16 v15, v16, v15
	s_delay_alu instid0(VALU_DEP_1) | instskip(NEXT) | instid1(VALU_DEP_1)
	v_and_b32_e32 v16, 0xff, v15
	v_mov_b32_dpp v16, v16 row_shr:2 row_mask:0xf bank_mask:0xf
	s_delay_alu instid0(VALU_DEP_1) | instskip(SKIP_1) | instid1(VALU_DEP_2)
	v_cndmask_b32_e64 v16, 0, v16, s2
	v_cmp_lt_u32_e64 s2, 3, v6
	;; [unrolled: 7-line block ×3, first 2 shown]
	v_add_nc_u16 v15, v15, v16
	s_delay_alu instid0(VALU_DEP_1) | instskip(NEXT) | instid1(VALU_DEP_1)
	v_and_b32_e32 v16, 0xff, v15
	v_mov_b32_dpp v16, v16 row_shr:8 row_mask:0xf bank_mask:0xf
	s_delay_alu instid0(VALU_DEP_1) | instskip(SKIP_1) | instid1(VALU_DEP_2)
	v_cndmask_b32_e64 v16, 0, v16, s2
	v_cmp_ne_u32_e64 s2, 0, v7
	v_add_nc_u16 v15, v15, v16
	s_delay_alu instid0(VALU_DEP_1) | instskip(SKIP_4) | instid1(VALU_DEP_2)
	v_and_b32_e32 v16, 0xff, v15
	ds_swizzle_b32 v16, v16 offset:swizzle(BROADCAST,32,15)
	s_waitcnt lgkmcnt(0)
	v_cndmask_b32_e64 v16, 0, v16, s2
	v_cmp_gt_i32_e64 s2, 0, v8
	v_add_nc_u16 v15, v15, v16
	s_delay_alu instid0(VALU_DEP_2) | instskip(NEXT) | instid1(VALU_DEP_2)
	v_cndmask_b32_e64 v16, v8, v4, s2
	v_and_b32_e32 v15, 0xff, v15
	s_delay_alu instid0(VALU_DEP_2) | instskip(SKIP_3) | instid1(VALU_DEP_1)
	v_lshlrev_b32_e32 v16, 2, v16
	ds_bpermute_b32 v15, v16, v15
	s_waitcnt lgkmcnt(0)
	v_add_nc_u16 v13, v13, v15
	v_cndmask_b32_e64 v12, v13, v12, s0
	s_delay_alu instid0(VALU_DEP_1)
	v_add_nc_u16 v13, v12, v14
	ds_store_b8 v0, v12
	ds_store_b8 v0, v13 offset:1
.LBB20_4:                               ;   in Loop: Header=BB20_2 Depth=1
	s_or_b32 exec_lo, exec_lo, s4
	v_mov_b32_e32 v12, 0
	s_waitcnt lgkmcnt(0)
	s_barrier
	buffer_gl0_inv
	s_and_saveexec_b32 s2, s1
	s_cbranch_execz .LBB20_1
; %bb.5:                                ;   in Loop: Header=BB20_2 Depth=1
	ds_load_u8 v12, v5
	s_branch .LBB20_1
.LBB20_6:
	v_add_co_u32 v0, s0, s6, v1
	s_delay_alu instid0(VALU_DEP_1)
	v_add_co_ci_u32_e64 v1, null, s7, 0, s0
	global_store_b32 v[0:1], v2, off
	s_nop 0
	s_sendmsg sendmsg(MSG_DEALLOC_VGPRS)
	s_endpgm
	.section	.rodata,"a",@progbits
	.p2align	6, 0x0
	.amdhsa_kernel _Z6kernelI14inclusive_scanILN6hipcub18BlockScanAlgorithmE1EEhLj64ELj4ELj100EEvPKT0_PS4_S4_
		.amdhsa_group_segment_fixed_size 66
		.amdhsa_private_segment_fixed_size 0
		.amdhsa_kernarg_size 280
		.amdhsa_user_sgpr_count 15
		.amdhsa_user_sgpr_dispatch_ptr 0
		.amdhsa_user_sgpr_queue_ptr 0
		.amdhsa_user_sgpr_kernarg_segment_ptr 1
		.amdhsa_user_sgpr_dispatch_id 0
		.amdhsa_user_sgpr_private_segment_size 0
		.amdhsa_wavefront_size32 1
		.amdhsa_uses_dynamic_stack 0
		.amdhsa_enable_private_segment 0
		.amdhsa_system_sgpr_workgroup_id_x 1
		.amdhsa_system_sgpr_workgroup_id_y 0
		.amdhsa_system_sgpr_workgroup_id_z 0
		.amdhsa_system_sgpr_workgroup_info 0
		.amdhsa_system_vgpr_workitem_id 0
		.amdhsa_next_free_vgpr 17
		.amdhsa_next_free_sgpr 16
		.amdhsa_reserve_vcc 1
		.amdhsa_float_round_mode_32 0
		.amdhsa_float_round_mode_16_64 0
		.amdhsa_float_denorm_mode_32 3
		.amdhsa_float_denorm_mode_16_64 3
		.amdhsa_dx10_clamp 1
		.amdhsa_ieee_mode 1
		.amdhsa_fp16_overflow 0
		.amdhsa_workgroup_processor_mode 1
		.amdhsa_memory_ordered 1
		.amdhsa_forward_progress 0
		.amdhsa_shared_vgpr_count 0
		.amdhsa_exception_fp_ieee_invalid_op 0
		.amdhsa_exception_fp_denorm_src 0
		.amdhsa_exception_fp_ieee_div_zero 0
		.amdhsa_exception_fp_ieee_overflow 0
		.amdhsa_exception_fp_ieee_underflow 0
		.amdhsa_exception_fp_ieee_inexact 0
		.amdhsa_exception_int_div_zero 0
	.end_amdhsa_kernel
	.section	.text._Z6kernelI14inclusive_scanILN6hipcub18BlockScanAlgorithmE1EEhLj64ELj4ELj100EEvPKT0_PS4_S4_,"axG",@progbits,_Z6kernelI14inclusive_scanILN6hipcub18BlockScanAlgorithmE1EEhLj64ELj4ELj100EEvPKT0_PS4_S4_,comdat
.Lfunc_end20:
	.size	_Z6kernelI14inclusive_scanILN6hipcub18BlockScanAlgorithmE1EEhLj64ELj4ELj100EEvPKT0_PS4_S4_, .Lfunc_end20-_Z6kernelI14inclusive_scanILN6hipcub18BlockScanAlgorithmE1EEhLj64ELj4ELj100EEvPKT0_PS4_S4_
                                        ; -- End function
	.section	.AMDGPU.csdata,"",@progbits
; Kernel info:
; codeLenInByte = 788
; NumSgprs: 18
; NumVgprs: 17
; ScratchSize: 0
; MemoryBound: 0
; FloatMode: 240
; IeeeMode: 1
; LDSByteSize: 66 bytes/workgroup (compile time only)
; SGPRBlocks: 2
; VGPRBlocks: 2
; NumSGPRsForWavesPerEU: 18
; NumVGPRsForWavesPerEU: 17
; Occupancy: 16
; WaveLimiterHint : 0
; COMPUTE_PGM_RSRC2:SCRATCH_EN: 0
; COMPUTE_PGM_RSRC2:USER_SGPR: 15
; COMPUTE_PGM_RSRC2:TRAP_HANDLER: 0
; COMPUTE_PGM_RSRC2:TGID_X_EN: 1
; COMPUTE_PGM_RSRC2:TGID_Y_EN: 0
; COMPUTE_PGM_RSRC2:TGID_Z_EN: 0
; COMPUTE_PGM_RSRC2:TIDIG_COMP_CNT: 0
	.section	.text._Z6kernelI14inclusive_scanILN6hipcub18BlockScanAlgorithmE1EEhLj64ELj8ELj100EEvPKT0_PS4_S4_,"axG",@progbits,_Z6kernelI14inclusive_scanILN6hipcub18BlockScanAlgorithmE1EEhLj64ELj8ELj100EEvPKT0_PS4_S4_,comdat
	.protected	_Z6kernelI14inclusive_scanILN6hipcub18BlockScanAlgorithmE1EEhLj64ELj8ELj100EEvPKT0_PS4_S4_ ; -- Begin function _Z6kernelI14inclusive_scanILN6hipcub18BlockScanAlgorithmE1EEhLj64ELj8ELj100EEvPKT0_PS4_S4_
	.globl	_Z6kernelI14inclusive_scanILN6hipcub18BlockScanAlgorithmE1EEhLj64ELj8ELj100EEvPKT0_PS4_S4_
	.p2align	8
	.type	_Z6kernelI14inclusive_scanILN6hipcub18BlockScanAlgorithmE1EEhLj64ELj8ELj100EEvPKT0_PS4_S4_,@function
_Z6kernelI14inclusive_scanILN6hipcub18BlockScanAlgorithmE1EEhLj64ELj8ELj100EEvPKT0_PS4_S4_: ; @_Z6kernelI14inclusive_scanILN6hipcub18BlockScanAlgorithmE1EEhLj64ELj8ELj100EEvPKT0_PS4_S4_
; %bb.0:
	s_clause 0x1
	s_load_b32 s2, s[0:1], 0x24
	s_load_b128 s[4:7], s[0:1], 0x0
	v_add_nc_u32_e32 v6, -1, v0
	v_lshrrev_b32_e32 v4, 5, v0
	v_lshrrev_b32_e32 v7, 4, v0
	v_mbcnt_lo_u32_b32 v5, -1, 0
	v_cmp_gt_u32_e32 vcc_lo, 32, v0
	v_lshrrev_b32_e32 v8, 5, v6
	v_add_nc_u32_e32 v4, v4, v0
	v_cmp_ne_u32_e64 s1, 0, v0
	v_add_nc_u32_e32 v9, -1, v5
	s_movk_i32 s3, 0x64
	v_add_nc_u32_e32 v6, v8, v6
	v_and_b32_e32 v8, 16, v5
	s_waitcnt lgkmcnt(0)
	s_and_b32 s0, s2, 0xffff
	s_delay_alu instid0(SALU_CYCLE_1)
	s_mul_i32 s15, s15, s0
	v_cmp_eq_u32_e64 s0, 0, v0
	v_add_lshl_u32 v3, s15, v0, 3
	v_lshl_add_u32 v0, v0, 1, v7
	v_and_b32_e32 v7, 15, v5
	global_load_b64 v[1:2], v3, s[4:5]
	s_branch .LBB21_2
.LBB21_1:                               ;   in Loop: Header=BB21_2 Depth=1
	s_or_b32 exec_lo, exec_lo, s2
	s_waitcnt lgkmcnt(0)
	v_add_nc_u16 v1, v16, v1
	s_add_i32 s3, s3, -1
	s_delay_alu instid0(SALU_CYCLE_1) | instskip(NEXT) | instid1(VALU_DEP_1)
	s_cmp_lg_u32 s3, 0
	v_add_nc_u16 v10, v1, v10
	v_and_b32_e32 v1, 0xff, v1
	s_delay_alu instid0(VALU_DEP_2) | instskip(SKIP_1) | instid1(VALU_DEP_2)
	v_add_nc_u16 v11, v10, v11
	v_lshlrev_b16 v10, 8, v10
	v_add_nc_u16 v12, v11, v12
	v_and_b32_e32 v11, 0xff, v11
	s_delay_alu instid0(VALU_DEP_3) | instskip(NEXT) | instid1(VALU_DEP_3)
	v_or_b32_e32 v1, v1, v10
	v_add_nc_u16 v2, v12, v2
	v_lshlrev_b16 v12, 8, v12
	s_delay_alu instid0(VALU_DEP_3) | instskip(NEXT) | instid1(VALU_DEP_3)
	v_and_b32_e32 v10, 0xffff, v1
	v_add_nc_u16 v14, v2, v14
	v_and_b32_e32 v2, 0xff, v2
	s_delay_alu instid0(VALU_DEP_4) | instskip(NEXT) | instid1(VALU_DEP_3)
	v_or_b32_e32 v11, v11, v12
	v_add_nc_u16 v15, v14, v15
	v_lshlrev_b16 v14, 8, v14
	s_delay_alu instid0(VALU_DEP_3) | instskip(NEXT) | instid1(VALU_DEP_3)
	v_lshlrev_b32_e32 v11, 16, v11
	v_add_nc_u16 v13, v15, v13
	v_and_b32_e32 v15, 0xff, v15
	s_delay_alu instid0(VALU_DEP_4) | instskip(NEXT) | instid1(VALU_DEP_4)
	v_or_b32_e32 v2, v2, v14
	v_or_b32_e32 v1, v10, v11
	s_delay_alu instid0(VALU_DEP_4) | instskip(NEXT) | instid1(VALU_DEP_3)
	v_lshlrev_b16 v13, 8, v13
	v_and_b32_e32 v12, 0xffff, v2
	s_delay_alu instid0(VALU_DEP_2) | instskip(NEXT) | instid1(VALU_DEP_1)
	v_or_b32_e32 v13, v15, v13
	v_lshlrev_b32_e32 v13, 16, v13
	s_delay_alu instid0(VALU_DEP_1)
	v_or_b32_e32 v2, v12, v13
	s_cbranch_scc0 .LBB21_6
.LBB21_2:                               ; =>This Inner Loop Header: Depth=1
	s_waitcnt vmcnt(0)
	v_lshrrev_b32_e32 v10, 8, v1
	v_lshrrev_b32_e32 v11, 16, v1
	;; [unrolled: 1-line block ×5, first 2 shown]
	v_add_nc_u16 v13, v10, v1
	s_delay_alu instid0(VALU_DEP_1) | instskip(NEXT) | instid1(VALU_DEP_1)
	v_add_nc_u16 v13, v13, v11
	v_add_nc_u16 v13, v13, v12
	s_delay_alu instid0(VALU_DEP_1) | instskip(NEXT) | instid1(VALU_DEP_1)
	v_add_nc_u16 v13, v13, v2
	v_add_nc_u16 v16, v13, v14
	v_lshrrev_b32_e32 v13, 24, v2
	s_delay_alu instid0(VALU_DEP_2) | instskip(NEXT) | instid1(VALU_DEP_1)
	v_add_nc_u16 v16, v16, v15
	v_add_nc_u16 v16, v16, v13
	ds_store_b8 v4, v16
	s_waitcnt lgkmcnt(0)
	s_barrier
	buffer_gl0_inv
	s_and_saveexec_b32 s4, vcc_lo
	s_cbranch_execz .LBB21_4
; %bb.3:                                ;   in Loop: Header=BB21_2 Depth=1
	ds_load_u8 v17, v0
	ds_load_u8 v18, v0 offset:1
	v_cmp_ne_u32_e64 s2, 0, v7
	s_waitcnt lgkmcnt(0)
	v_add_nc_u16 v19, v18, v17
	s_delay_alu instid0(VALU_DEP_1) | instskip(NEXT) | instid1(VALU_DEP_1)
	v_and_b32_e32 v20, 0xff, v19
	v_mov_b32_dpp v20, v20 row_shr:1 row_mask:0xf bank_mask:0xf
	s_delay_alu instid0(VALU_DEP_1) | instskip(SKIP_1) | instid1(VALU_DEP_2)
	v_cndmask_b32_e64 v20, 0, v20, s2
	v_cmp_lt_u32_e64 s2, 1, v7
	v_add_nc_u16 v19, v20, v19
	s_delay_alu instid0(VALU_DEP_1) | instskip(NEXT) | instid1(VALU_DEP_1)
	v_and_b32_e32 v20, 0xff, v19
	v_mov_b32_dpp v20, v20 row_shr:2 row_mask:0xf bank_mask:0xf
	s_delay_alu instid0(VALU_DEP_1) | instskip(SKIP_1) | instid1(VALU_DEP_2)
	v_cndmask_b32_e64 v20, 0, v20, s2
	v_cmp_lt_u32_e64 s2, 3, v7
	;; [unrolled: 7-line block ×3, first 2 shown]
	v_add_nc_u16 v19, v19, v20
	s_delay_alu instid0(VALU_DEP_1) | instskip(NEXT) | instid1(VALU_DEP_1)
	v_and_b32_e32 v20, 0xff, v19
	v_mov_b32_dpp v20, v20 row_shr:8 row_mask:0xf bank_mask:0xf
	s_delay_alu instid0(VALU_DEP_1) | instskip(SKIP_1) | instid1(VALU_DEP_2)
	v_cndmask_b32_e64 v20, 0, v20, s2
	v_cmp_ne_u32_e64 s2, 0, v8
	v_add_nc_u16 v19, v19, v20
	s_delay_alu instid0(VALU_DEP_1) | instskip(SKIP_4) | instid1(VALU_DEP_2)
	v_and_b32_e32 v20, 0xff, v19
	ds_swizzle_b32 v20, v20 offset:swizzle(BROADCAST,32,15)
	s_waitcnt lgkmcnt(0)
	v_cndmask_b32_e64 v20, 0, v20, s2
	v_cmp_gt_i32_e64 s2, 0, v9
	v_add_nc_u16 v19, v19, v20
	s_delay_alu instid0(VALU_DEP_2) | instskip(NEXT) | instid1(VALU_DEP_2)
	v_cndmask_b32_e64 v20, v9, v5, s2
	v_and_b32_e32 v19, 0xff, v19
	s_delay_alu instid0(VALU_DEP_2) | instskip(SKIP_3) | instid1(VALU_DEP_1)
	v_lshlrev_b32_e32 v20, 2, v20
	ds_bpermute_b32 v19, v20, v19
	s_waitcnt lgkmcnt(0)
	v_add_nc_u16 v17, v17, v19
	v_cndmask_b32_e64 v16, v17, v16, s0
	s_delay_alu instid0(VALU_DEP_1)
	v_add_nc_u16 v17, v16, v18
	ds_store_b8 v0, v16
	ds_store_b8 v0, v17 offset:1
.LBB21_4:                               ;   in Loop: Header=BB21_2 Depth=1
	s_or_b32 exec_lo, exec_lo, s4
	v_mov_b32_e32 v16, 0
	s_waitcnt lgkmcnt(0)
	s_barrier
	buffer_gl0_inv
	s_and_saveexec_b32 s2, s1
	s_cbranch_execz .LBB21_1
; %bb.5:                                ;   in Loop: Header=BB21_2 Depth=1
	ds_load_u8 v16, v6
	s_branch .LBB21_1
.LBB21_6:
	v_add_co_u32 v0, s0, s6, v3
	s_delay_alu instid0(VALU_DEP_1)
	v_add_co_ci_u32_e64 v1, null, s7, 0, s0
	v_or_b32_e32 v3, v12, v13
	v_or_b32_e32 v2, v10, v11
	global_store_b64 v[0:1], v[2:3], off
	s_nop 0
	s_sendmsg sendmsg(MSG_DEALLOC_VGPRS)
	s_endpgm
	.section	.rodata,"a",@progbits
	.p2align	6, 0x0
	.amdhsa_kernel _Z6kernelI14inclusive_scanILN6hipcub18BlockScanAlgorithmE1EEhLj64ELj8ELj100EEvPKT0_PS4_S4_
		.amdhsa_group_segment_fixed_size 66
		.amdhsa_private_segment_fixed_size 0
		.amdhsa_kernarg_size 280
		.amdhsa_user_sgpr_count 15
		.amdhsa_user_sgpr_dispatch_ptr 0
		.amdhsa_user_sgpr_queue_ptr 0
		.amdhsa_user_sgpr_kernarg_segment_ptr 1
		.amdhsa_user_sgpr_dispatch_id 0
		.amdhsa_user_sgpr_private_segment_size 0
		.amdhsa_wavefront_size32 1
		.amdhsa_uses_dynamic_stack 0
		.amdhsa_enable_private_segment 0
		.amdhsa_system_sgpr_workgroup_id_x 1
		.amdhsa_system_sgpr_workgroup_id_y 0
		.amdhsa_system_sgpr_workgroup_id_z 0
		.amdhsa_system_sgpr_workgroup_info 0
		.amdhsa_system_vgpr_workitem_id 0
		.amdhsa_next_free_vgpr 21
		.amdhsa_next_free_sgpr 16
		.amdhsa_reserve_vcc 1
		.amdhsa_float_round_mode_32 0
		.amdhsa_float_round_mode_16_64 0
		.amdhsa_float_denorm_mode_32 3
		.amdhsa_float_denorm_mode_16_64 3
		.amdhsa_dx10_clamp 1
		.amdhsa_ieee_mode 1
		.amdhsa_fp16_overflow 0
		.amdhsa_workgroup_processor_mode 1
		.amdhsa_memory_ordered 1
		.amdhsa_forward_progress 0
		.amdhsa_shared_vgpr_count 0
		.amdhsa_exception_fp_ieee_invalid_op 0
		.amdhsa_exception_fp_denorm_src 0
		.amdhsa_exception_fp_ieee_div_zero 0
		.amdhsa_exception_fp_ieee_overflow 0
		.amdhsa_exception_fp_ieee_underflow 0
		.amdhsa_exception_fp_ieee_inexact 0
		.amdhsa_exception_int_div_zero 0
	.end_amdhsa_kernel
	.section	.text._Z6kernelI14inclusive_scanILN6hipcub18BlockScanAlgorithmE1EEhLj64ELj8ELj100EEvPKT0_PS4_S4_,"axG",@progbits,_Z6kernelI14inclusive_scanILN6hipcub18BlockScanAlgorithmE1EEhLj64ELj8ELj100EEvPKT0_PS4_S4_,comdat
.Lfunc_end21:
	.size	_Z6kernelI14inclusive_scanILN6hipcub18BlockScanAlgorithmE1EEhLj64ELj8ELj100EEvPKT0_PS4_S4_, .Lfunc_end21-_Z6kernelI14inclusive_scanILN6hipcub18BlockScanAlgorithmE1EEhLj64ELj8ELj100EEvPKT0_PS4_S4_
                                        ; -- End function
	.section	.AMDGPU.csdata,"",@progbits
; Kernel info:
; codeLenInByte = 952
; NumSgprs: 18
; NumVgprs: 21
; ScratchSize: 0
; MemoryBound: 0
; FloatMode: 240
; IeeeMode: 1
; LDSByteSize: 66 bytes/workgroup (compile time only)
; SGPRBlocks: 2
; VGPRBlocks: 2
; NumSGPRsForWavesPerEU: 18
; NumVGPRsForWavesPerEU: 21
; Occupancy: 16
; WaveLimiterHint : 0
; COMPUTE_PGM_RSRC2:SCRATCH_EN: 0
; COMPUTE_PGM_RSRC2:USER_SGPR: 15
; COMPUTE_PGM_RSRC2:TRAP_HANDLER: 0
; COMPUTE_PGM_RSRC2:TGID_X_EN: 1
; COMPUTE_PGM_RSRC2:TGID_Y_EN: 0
; COMPUTE_PGM_RSRC2:TGID_Z_EN: 0
; COMPUTE_PGM_RSRC2:TIDIG_COMP_CNT: 0
	.section	.text._Z6kernelI14inclusive_scanILN6hipcub18BlockScanAlgorithmE1EEhLj64ELj11ELj100EEvPKT0_PS4_S4_,"axG",@progbits,_Z6kernelI14inclusive_scanILN6hipcub18BlockScanAlgorithmE1EEhLj64ELj11ELj100EEvPKT0_PS4_S4_,comdat
	.protected	_Z6kernelI14inclusive_scanILN6hipcub18BlockScanAlgorithmE1EEhLj64ELj11ELj100EEvPKT0_PS4_S4_ ; -- Begin function _Z6kernelI14inclusive_scanILN6hipcub18BlockScanAlgorithmE1EEhLj64ELj11ELj100EEvPKT0_PS4_S4_
	.globl	_Z6kernelI14inclusive_scanILN6hipcub18BlockScanAlgorithmE1EEhLj64ELj11ELj100EEvPKT0_PS4_S4_
	.p2align	8
	.type	_Z6kernelI14inclusive_scanILN6hipcub18BlockScanAlgorithmE1EEhLj64ELj11ELj100EEvPKT0_PS4_S4_,@function
_Z6kernelI14inclusive_scanILN6hipcub18BlockScanAlgorithmE1EEhLj64ELj11ELj100EEvPKT0_PS4_S4_: ; @_Z6kernelI14inclusive_scanILN6hipcub18BlockScanAlgorithmE1EEhLj64ELj11ELj100EEvPKT0_PS4_S4_
; %bb.0:
	s_clause 0x1
	s_load_b32 s2, s[0:1], 0x24
	s_load_b128 s[4:7], s[0:1], 0x0
	v_add_nc_u32_e32 v27, -1, v0
	v_mbcnt_lo_u32_b32 v15, -1, 0
	v_lshrrev_b32_e32 v25, 5, v0
	v_lshrrev_b32_e32 v26, 4, v0
	v_cmp_gt_u32_e32 vcc_lo, 32, v0
	v_cmp_eq_u32_e64 s0, 0, v0
	v_cmp_ne_u32_e64 s1, 0, v0
	v_and_b32_e32 v16, 15, v15
	s_movk_i32 s3, 0x64
	s_waitcnt lgkmcnt(0)
	s_and_b32 s2, s2, 0xffff
	s_delay_alu instid0(SALU_CYCLE_1) | instskip(NEXT) | instid1(VALU_DEP_1)
	v_mad_u64_u32 v[1:2], null, s15, s2, v[0:1]
	v_mul_lo_u32 v14, v1, 11
	s_delay_alu instid0(VALU_DEP_1)
	v_add_nc_u32_e32 v13, 1, v14
	v_add_nc_u32_e32 v11, 3, v14
	v_add_nc_u32_e32 v7, 5, v14
	v_add_nc_u32_e32 v4, 7, v14
	v_add_nc_u32_e32 v12, 2, v14
	v_add_nc_u32_e32 v10, 4, v14
	v_add_nc_u32_e32 v9, 6, v14
	s_clause 0x7
	global_load_u8 v17, v13, s[4:5]
	global_load_u8 v18, v11, s[4:5]
	;; [unrolled: 1-line block ×8, first 2 shown]
	v_add_nc_u32_e32 v8, 8, v14
	v_add_nc_u32_e32 v6, 9, v14
	;; [unrolled: 1-line block ×3, first 2 shown]
	s_clause 0x2
	global_load_u8 v2, v8, s[4:5]
	global_load_u8 v3, v6, s[4:5]
	;; [unrolled: 1-line block ×3, first 2 shown]
	s_waitcnt vmcnt(10)
	v_lshlrev_b16 v28, 8, v17
	s_waitcnt vmcnt(9)
	v_lshlrev_b16 v18, 8, v18
	;; [unrolled: 2-line block ×4, first 2 shown]
	v_and_b32_e32 v17, 16, v15
	s_waitcnt vmcnt(6)
	v_or_b32_e32 v21, v21, v28
	s_waitcnt vmcnt(5)
	v_or_b32_e32 v18, v22, v18
	;; [unrolled: 2-line block ×4, first 2 shown]
	v_lshrrev_b32_e32 v22, 5, v27
	v_and_b32_e32 v21, 0xffff, v21
	v_lshlrev_b32_e32 v23, 16, v18
	v_and_b32_e32 v24, 0xffff, v19
	v_lshlrev_b32_e32 v20, 16, v20
	v_add_nc_u32_e32 v18, v25, v0
	v_lshl_add_u32 v0, v0, 1, v26
	v_add_nc_u32_e32 v19, v22, v27
	v_or_b32_e32 v22, v21, v23
	v_or_b32_e32 v21, v24, v20
	v_add_nc_u32_e32 v20, -1, v15
	s_branch .LBB22_2
.LBB22_1:                               ;   in Loop: Header=BB22_2 Depth=1
	s_or_b32 exec_lo, exec_lo, s2
	s_waitcnt lgkmcnt(0)
	v_add_nc_u16 v23, v23, v22
	s_add_i32 s3, s3, -1
	s_delay_alu instid0(SALU_CYCLE_1) | instskip(NEXT) | instid1(VALU_DEP_1)
	s_cmp_lg_u32 s3, 0
	v_add_nc_u16 v24, v23, v24
	s_delay_alu instid0(VALU_DEP_1) | instskip(SKIP_1) | instid1(VALU_DEP_2)
	v_add_nc_u16 v25, v24, v25
	v_lshlrev_b16 v22, 8, v24
	v_add_nc_u16 v26, v25, v26
	v_and_b32_e32 v31, 0xff, v25
	s_delay_alu instid0(VALU_DEP_2) | instskip(SKIP_2) | instid1(VALU_DEP_3)
	v_add_nc_u16 v27, v26, v21
	v_and_b32_e32 v21, 0xff, v23
	v_lshlrev_b16 v32, 8, v26
	v_add_nc_u16 v28, v27, v28
	v_and_b32_e32 v33, 0xff, v27
	s_delay_alu instid0(VALU_DEP_4) | instskip(NEXT) | instid1(VALU_DEP_4)
	v_or_b32_e32 v21, v21, v22
	v_or_b32_e32 v22, v31, v32
	s_delay_alu instid0(VALU_DEP_4) | instskip(SKIP_1) | instid1(VALU_DEP_4)
	v_add_nc_u16 v29, v28, v29
	v_lshlrev_b16 v34, 8, v28
	v_and_b32_e32 v21, 0xffff, v21
	s_delay_alu instid0(VALU_DEP_4) | instskip(NEXT) | instid1(VALU_DEP_4)
	v_lshlrev_b32_e32 v22, 16, v22
	v_add_nc_u16 v30, v29, v30
	v_and_b32_e32 v35, 0xff, v29
	v_or_b32_e32 v31, v33, v34
	s_delay_alu instid0(VALU_DEP_4) | instskip(NEXT) | instid1(VALU_DEP_4)
	v_or_b32_e32 v22, v21, v22
	v_lshlrev_b16 v36, 8, v30
	v_add_nc_u16 v2, v30, v2
	s_delay_alu instid0(VALU_DEP_4) | instskip(NEXT) | instid1(VALU_DEP_3)
	v_and_b32_e32 v31, 0xffff, v31
	v_or_b32_e32 v32, v35, v36
	s_delay_alu instid0(VALU_DEP_3) | instskip(NEXT) | instid1(VALU_DEP_2)
	v_add_nc_u16 v3, v2, v3
	v_lshlrev_b32_e32 v32, 16, v32
	s_delay_alu instid0(VALU_DEP_2) | instskip(NEXT) | instid1(VALU_DEP_2)
	v_add_nc_u16 v1, v3, v1
	v_or_b32_e32 v21, v31, v32
	s_cbranch_scc0 .LBB22_6
.LBB22_2:                               ; =>This Inner Loop Header: Depth=1
	s_delay_alu instid0(VALU_DEP_3)
	v_lshrrev_b32_e32 v24, 8, v22
	v_lshrrev_b32_e32 v25, 16, v22
	;; [unrolled: 1-line block ×5, first 2 shown]
	v_add_nc_u16 v23, v24, v22
	v_lshrrev_b32_e32 v30, 24, v21
	s_delay_alu instid0(VALU_DEP_2) | instskip(NEXT) | instid1(VALU_DEP_1)
	v_add_nc_u16 v23, v23, v25
	v_add_nc_u16 v23, v23, v26
	s_delay_alu instid0(VALU_DEP_1) | instskip(NEXT) | instid1(VALU_DEP_1)
	v_add_nc_u16 v23, v23, v21
	v_add_nc_u16 v23, v23, v28
	s_delay_alu instid0(VALU_DEP_1) | instskip(NEXT) | instid1(VALU_DEP_1)
	v_add_nc_u16 v23, v23, v29
	v_add_nc_u16 v23, v23, v30
	s_waitcnt vmcnt(2)
	s_delay_alu instid0(VALU_DEP_1) | instskip(SKIP_1) | instid1(VALU_DEP_1)
	v_add_nc_u16 v23, v23, v2
	s_waitcnt vmcnt(1)
	v_add_nc_u16 v23, v23, v3
	s_waitcnt vmcnt(0)
	s_delay_alu instid0(VALU_DEP_1)
	v_add_nc_u16 v23, v23, v1
	ds_store_b8 v18, v23
	s_waitcnt lgkmcnt(0)
	s_barrier
	buffer_gl0_inv
	s_and_saveexec_b32 s4, vcc_lo
	s_cbranch_execz .LBB22_4
; %bb.3:                                ;   in Loop: Header=BB22_2 Depth=1
	ds_load_u8 v27, v0
	ds_load_u8 v31, v0 offset:1
	v_cmp_ne_u32_e64 s2, 0, v16
	s_waitcnt lgkmcnt(0)
	v_add_nc_u16 v32, v31, v27
	s_delay_alu instid0(VALU_DEP_1) | instskip(NEXT) | instid1(VALU_DEP_1)
	v_and_b32_e32 v33, 0xff, v32
	v_mov_b32_dpp v33, v33 row_shr:1 row_mask:0xf bank_mask:0xf
	s_delay_alu instid0(VALU_DEP_1) | instskip(SKIP_1) | instid1(VALU_DEP_2)
	v_cndmask_b32_e64 v33, 0, v33, s2
	v_cmp_lt_u32_e64 s2, 1, v16
	v_add_nc_u16 v32, v33, v32
	s_delay_alu instid0(VALU_DEP_1) | instskip(NEXT) | instid1(VALU_DEP_1)
	v_and_b32_e32 v33, 0xff, v32
	v_mov_b32_dpp v33, v33 row_shr:2 row_mask:0xf bank_mask:0xf
	s_delay_alu instid0(VALU_DEP_1) | instskip(SKIP_1) | instid1(VALU_DEP_2)
	v_cndmask_b32_e64 v33, 0, v33, s2
	v_cmp_lt_u32_e64 s2, 3, v16
	;; [unrolled: 7-line block ×3, first 2 shown]
	v_add_nc_u16 v32, v32, v33
	s_delay_alu instid0(VALU_DEP_1) | instskip(NEXT) | instid1(VALU_DEP_1)
	v_and_b32_e32 v33, 0xff, v32
	v_mov_b32_dpp v33, v33 row_shr:8 row_mask:0xf bank_mask:0xf
	s_delay_alu instid0(VALU_DEP_1) | instskip(SKIP_1) | instid1(VALU_DEP_2)
	v_cndmask_b32_e64 v33, 0, v33, s2
	v_cmp_ne_u32_e64 s2, 0, v17
	v_add_nc_u16 v32, v32, v33
	s_delay_alu instid0(VALU_DEP_1) | instskip(SKIP_4) | instid1(VALU_DEP_2)
	v_and_b32_e32 v33, 0xff, v32
	ds_swizzle_b32 v33, v33 offset:swizzle(BROADCAST,32,15)
	s_waitcnt lgkmcnt(0)
	v_cndmask_b32_e64 v33, 0, v33, s2
	v_cmp_gt_i32_e64 s2, 0, v20
	v_add_nc_u16 v32, v32, v33
	s_delay_alu instid0(VALU_DEP_2) | instskip(NEXT) | instid1(VALU_DEP_2)
	v_cndmask_b32_e64 v33, v20, v15, s2
	v_and_b32_e32 v32, 0xff, v32
	s_delay_alu instid0(VALU_DEP_2) | instskip(SKIP_3) | instid1(VALU_DEP_1)
	v_lshlrev_b32_e32 v33, 2, v33
	ds_bpermute_b32 v32, v33, v32
	s_waitcnt lgkmcnt(0)
	v_add_nc_u16 v27, v27, v32
	v_cndmask_b32_e64 v23, v27, v23, s0
	s_delay_alu instid0(VALU_DEP_1)
	v_add_nc_u16 v27, v23, v31
	ds_store_b8 v0, v23
	ds_store_b8 v0, v27 offset:1
.LBB22_4:                               ;   in Loop: Header=BB22_2 Depth=1
	s_or_b32 exec_lo, exec_lo, s4
	v_mov_b32_e32 v23, 0
	s_waitcnt lgkmcnt(0)
	s_barrier
	buffer_gl0_inv
	s_and_saveexec_b32 s2, s1
	s_cbranch_execz .LBB22_1
; %bb.5:                                ;   in Loop: Header=BB22_2 Depth=1
	ds_load_u8 v23, v19
	s_branch .LBB22_1
.LBB22_6:
	v_add_co_u32 v14, s0, s6, v14
	s_delay_alu instid0(VALU_DEP_1) | instskip(SKIP_1) | instid1(VALU_DEP_1)
	v_add_co_ci_u32_e64 v15, null, s7, 0, s0
	v_add_co_u32 v16, s0, s6, v13
	v_add_co_ci_u32_e64 v17, null, s7, 0, s0
	v_add_co_u32 v12, s0, s6, v12
	s_delay_alu instid0(VALU_DEP_1) | instskip(SKIP_1) | instid1(VALU_DEP_1)
	v_add_co_ci_u32_e64 v13, null, s7, 0, s0
	v_add_co_u32 v18, s0, s6, v11
	v_add_co_ci_u32_e64 v19, null, s7, 0, s0
	;; [unrolled: 5-line block ×5, first 2 shown]
	v_add_co_u32 v4, s0, s6, v5
	s_delay_alu instid0(VALU_DEP_1)
	v_add_co_ci_u32_e64 v5, null, s7, 0, s0
	s_clause 0xa
	global_store_b8 v[14:15], v23, off
	global_store_b8 v[16:17], v24, off
	;; [unrolled: 1-line block ×11, first 2 shown]
	s_nop 0
	s_sendmsg sendmsg(MSG_DEALLOC_VGPRS)
	s_endpgm
	.section	.rodata,"a",@progbits
	.p2align	6, 0x0
	.amdhsa_kernel _Z6kernelI14inclusive_scanILN6hipcub18BlockScanAlgorithmE1EEhLj64ELj11ELj100EEvPKT0_PS4_S4_
		.amdhsa_group_segment_fixed_size 66
		.amdhsa_private_segment_fixed_size 0
		.amdhsa_kernarg_size 280
		.amdhsa_user_sgpr_count 15
		.amdhsa_user_sgpr_dispatch_ptr 0
		.amdhsa_user_sgpr_queue_ptr 0
		.amdhsa_user_sgpr_kernarg_segment_ptr 1
		.amdhsa_user_sgpr_dispatch_id 0
		.amdhsa_user_sgpr_private_segment_size 0
		.amdhsa_wavefront_size32 1
		.amdhsa_uses_dynamic_stack 0
		.amdhsa_enable_private_segment 0
		.amdhsa_system_sgpr_workgroup_id_x 1
		.amdhsa_system_sgpr_workgroup_id_y 0
		.amdhsa_system_sgpr_workgroup_id_z 0
		.amdhsa_system_sgpr_workgroup_info 0
		.amdhsa_system_vgpr_workitem_id 0
		.amdhsa_next_free_vgpr 37
		.amdhsa_next_free_sgpr 16
		.amdhsa_reserve_vcc 1
		.amdhsa_float_round_mode_32 0
		.amdhsa_float_round_mode_16_64 0
		.amdhsa_float_denorm_mode_32 3
		.amdhsa_float_denorm_mode_16_64 3
		.amdhsa_dx10_clamp 1
		.amdhsa_ieee_mode 1
		.amdhsa_fp16_overflow 0
		.amdhsa_workgroup_processor_mode 1
		.amdhsa_memory_ordered 1
		.amdhsa_forward_progress 0
		.amdhsa_shared_vgpr_count 0
		.amdhsa_exception_fp_ieee_invalid_op 0
		.amdhsa_exception_fp_denorm_src 0
		.amdhsa_exception_fp_ieee_div_zero 0
		.amdhsa_exception_fp_ieee_overflow 0
		.amdhsa_exception_fp_ieee_underflow 0
		.amdhsa_exception_fp_ieee_inexact 0
		.amdhsa_exception_int_div_zero 0
	.end_amdhsa_kernel
	.section	.text._Z6kernelI14inclusive_scanILN6hipcub18BlockScanAlgorithmE1EEhLj64ELj11ELj100EEvPKT0_PS4_S4_,"axG",@progbits,_Z6kernelI14inclusive_scanILN6hipcub18BlockScanAlgorithmE1EEhLj64ELj11ELj100EEvPKT0_PS4_S4_,comdat
.Lfunc_end22:
	.size	_Z6kernelI14inclusive_scanILN6hipcub18BlockScanAlgorithmE1EEhLj64ELj11ELj100EEvPKT0_PS4_S4_, .Lfunc_end22-_Z6kernelI14inclusive_scanILN6hipcub18BlockScanAlgorithmE1EEhLj64ELj11ELj100EEvPKT0_PS4_S4_
                                        ; -- End function
	.section	.AMDGPU.csdata,"",@progbits
; Kernel info:
; codeLenInByte = 1524
; NumSgprs: 18
; NumVgprs: 37
; ScratchSize: 0
; MemoryBound: 0
; FloatMode: 240
; IeeeMode: 1
; LDSByteSize: 66 bytes/workgroup (compile time only)
; SGPRBlocks: 2
; VGPRBlocks: 4
; NumSGPRsForWavesPerEU: 18
; NumVGPRsForWavesPerEU: 37
; Occupancy: 16
; WaveLimiterHint : 0
; COMPUTE_PGM_RSRC2:SCRATCH_EN: 0
; COMPUTE_PGM_RSRC2:USER_SGPR: 15
; COMPUTE_PGM_RSRC2:TRAP_HANDLER: 0
; COMPUTE_PGM_RSRC2:TGID_X_EN: 1
; COMPUTE_PGM_RSRC2:TGID_Y_EN: 0
; COMPUTE_PGM_RSRC2:TGID_Z_EN: 0
; COMPUTE_PGM_RSRC2:TIDIG_COMP_CNT: 0
	.section	.text._Z6kernelI14inclusive_scanILN6hipcub18BlockScanAlgorithmE1EEhLj64ELj16ELj100EEvPKT0_PS4_S4_,"axG",@progbits,_Z6kernelI14inclusive_scanILN6hipcub18BlockScanAlgorithmE1EEhLj64ELj16ELj100EEvPKT0_PS4_S4_,comdat
	.protected	_Z6kernelI14inclusive_scanILN6hipcub18BlockScanAlgorithmE1EEhLj64ELj16ELj100EEvPKT0_PS4_S4_ ; -- Begin function _Z6kernelI14inclusive_scanILN6hipcub18BlockScanAlgorithmE1EEhLj64ELj16ELj100EEvPKT0_PS4_S4_
	.globl	_Z6kernelI14inclusive_scanILN6hipcub18BlockScanAlgorithmE1EEhLj64ELj16ELj100EEvPKT0_PS4_S4_
	.p2align	8
	.type	_Z6kernelI14inclusive_scanILN6hipcub18BlockScanAlgorithmE1EEhLj64ELj16ELj100EEvPKT0_PS4_S4_,@function
_Z6kernelI14inclusive_scanILN6hipcub18BlockScanAlgorithmE1EEhLj64ELj16ELj100EEvPKT0_PS4_S4_: ; @_Z6kernelI14inclusive_scanILN6hipcub18BlockScanAlgorithmE1EEhLj64ELj16ELj100EEvPKT0_PS4_S4_
; %bb.0:
	s_clause 0x1
	s_load_b32 s2, s[0:1], 0x24
	s_load_b128 s[4:7], s[0:1], 0x0
	v_add_nc_u32_e32 v8, -1, v0
	v_lshrrev_b32_e32 v6, 5, v0
	v_lshrrev_b32_e32 v9, 4, v0
	v_mbcnt_lo_u32_b32 v7, -1, 0
	v_cmp_gt_u32_e32 vcc_lo, 32, v0
	v_lshrrev_b32_e32 v10, 5, v8
	v_add_nc_u32_e32 v6, v6, v0
	v_cmp_ne_u32_e64 s1, 0, v0
	v_add_nc_u32_e32 v11, -1, v7
	s_movk_i32 s3, 0x64
	v_add_nc_u32_e32 v8, v10, v8
	v_and_b32_e32 v10, 16, v7
	s_waitcnt lgkmcnt(0)
	s_and_b32 s0, s2, 0xffff
	s_delay_alu instid0(SALU_CYCLE_1)
	s_mul_i32 s15, s15, s0
	v_cmp_eq_u32_e64 s0, 0, v0
	v_add_lshl_u32 v5, s15, v0, 4
	v_lshl_add_u32 v0, v0, 1, v9
	v_and_b32_e32 v9, 15, v7
	global_load_b128 v[1:4], v5, s[4:5]
	s_branch .LBB23_2
.LBB23_1:                               ;   in Loop: Header=BB23_2 Depth=1
	s_or_b32 exec_lo, exec_lo, s2
	s_waitcnt lgkmcnt(0)
	v_add_nc_u16 v1, v24, v1
	s_add_i32 s3, s3, -1
	s_delay_alu instid0(SALU_CYCLE_1) | instskip(NEXT) | instid1(VALU_DEP_1)
	s_cmp_lg_u32 s3, 0
	v_add_nc_u16 v15, v1, v15
	v_and_b32_e32 v1, 0xff, v1
	s_delay_alu instid0(VALU_DEP_2) | instskip(SKIP_1) | instid1(VALU_DEP_2)
	v_add_nc_u16 v16, v15, v16
	v_lshlrev_b16 v15, 8, v15
	v_add_nc_u16 v17, v16, v17
	v_and_b32_e32 v16, 0xff, v16
	s_delay_alu instid0(VALU_DEP_3) | instskip(NEXT) | instid1(VALU_DEP_3)
	v_or_b32_e32 v1, v1, v15
	v_add_nc_u16 v2, v17, v2
	v_lshlrev_b16 v17, 8, v17
	s_delay_alu instid0(VALU_DEP_2) | instskip(SKIP_1) | instid1(VALU_DEP_3)
	v_add_nc_u16 v18, v2, v18
	v_and_b32_e32 v2, 0xff, v2
	v_or_b32_e32 v15, v16, v17
	s_delay_alu instid0(VALU_DEP_3) | instskip(SKIP_1) | instid1(VALU_DEP_3)
	v_add_nc_u16 v19, v18, v19
	v_lshlrev_b16 v18, 8, v18
	v_lshlrev_b32_e32 v15, 16, v15
	s_delay_alu instid0(VALU_DEP_3) | instskip(NEXT) | instid1(VALU_DEP_3)
	v_add_nc_u16 v21, v19, v21
	v_or_b32_e32 v2, v2, v18
	s_delay_alu instid0(VALU_DEP_2) | instskip(NEXT) | instid1(VALU_DEP_2)
	v_add_nc_u16 v3, v21, v3
	v_and_b32_e32 v16, 0xffff, v2
	s_delay_alu instid0(VALU_DEP_2) | instskip(SKIP_1) | instid1(VALU_DEP_2)
	v_add_nc_u16 v22, v3, v22
	v_and_b32_e32 v3, 0xff, v3
	v_add_nc_u16 v23, v22, v23
	v_lshlrev_b16 v18, 8, v22
	s_delay_alu instid0(VALU_DEP_2) | instskip(NEXT) | instid1(VALU_DEP_2)
	v_add_nc_u16 v20, v23, v20
	v_or_b32_e32 v3, v3, v18
	s_delay_alu instid0(VALU_DEP_2) | instskip(SKIP_1) | instid1(VALU_DEP_2)
	v_add_nc_u16 v4, v20, v4
	v_lshlrev_b16 v20, 8, v20
	v_add_nc_u16 v17, v4, v14
	v_and_b32_e32 v14, 0xffff, v1
	v_and_b32_e32 v1, 0xff, v19
	;; [unrolled: 1-line block ×4, first 2 shown]
	v_add_nc_u16 v2, v17, v13
	v_lshlrev_b16 v13, 8, v21
	v_lshlrev_b16 v17, 8, v17
	v_or_b32_e32 v18, v19, v20
	s_delay_alu instid0(VALU_DEP_4)
	v_add_nc_u16 v12, v2, v12
	v_and_b32_e32 v2, 0xff, v2
	v_or_b32_e32 v1, v1, v13
	v_or_b32_e32 v4, v4, v17
	v_and_b32_e32 v13, 0xffff, v3
	v_lshlrev_b16 v12, 8, v12
	v_lshlrev_b32_e32 v17, 16, v18
	s_delay_alu instid0(VALU_DEP_4) | instskip(NEXT) | instid1(VALU_DEP_3)
	v_and_b32_e32 v18, 0xffff, v4
	v_or_b32_e32 v2, v2, v12
	v_lshlrev_b32_e32 v12, 16, v1
	v_or_b32_e32 v1, v14, v15
	v_or_b32_e32 v3, v13, v17
	s_delay_alu instid0(VALU_DEP_4) | instskip(NEXT) | instid1(VALU_DEP_4)
	v_lshlrev_b32_e32 v19, 16, v2
	v_or_b32_e32 v2, v16, v12
	s_delay_alu instid0(VALU_DEP_2)
	v_or_b32_e32 v4, v18, v19
	s_cbranch_scc0 .LBB23_6
.LBB23_2:                               ; =>This Inner Loop Header: Depth=1
	s_waitcnt vmcnt(0)
	v_lshrrev_b32_e32 v15, 8, v1
	v_lshrrev_b32_e32 v16, 16, v1
	;; [unrolled: 1-line block ×5, first 2 shown]
	v_add_nc_u16 v12, v15, v1
	v_lshrrev_b32_e32 v21, 24, v2
	v_lshrrev_b32_e32 v22, 8, v3
	;; [unrolled: 1-line block ×4, first 2 shown]
	v_add_nc_u16 v12, v12, v16
	v_lshrrev_b32_e32 v14, 8, v4
	v_lshrrev_b32_e32 v13, 16, v4
	s_delay_alu instid0(VALU_DEP_3) | instskip(NEXT) | instid1(VALU_DEP_1)
	v_add_nc_u16 v12, v12, v17
	v_add_nc_u16 v12, v12, v2
	s_delay_alu instid0(VALU_DEP_1) | instskip(NEXT) | instid1(VALU_DEP_1)
	v_add_nc_u16 v12, v12, v18
	v_add_nc_u16 v12, v12, v19
	s_delay_alu instid0(VALU_DEP_1) | instskip(NEXT) | instid1(VALU_DEP_1)
	;; [unrolled: 3-line block ×4, first 2 shown]
	v_add_nc_u16 v12, v12, v20
	v_add_nc_u16 v12, v12, v4
	s_delay_alu instid0(VALU_DEP_1) | instskip(SKIP_1) | instid1(VALU_DEP_2)
	v_add_nc_u16 v24, v12, v14
	v_lshrrev_b32_e32 v12, 24, v4
	v_add_nc_u16 v24, v24, v13
	s_delay_alu instid0(VALU_DEP_1)
	v_add_nc_u16 v24, v24, v12
	ds_store_b8 v6, v24
	s_waitcnt lgkmcnt(0)
	s_barrier
	buffer_gl0_inv
	s_and_saveexec_b32 s4, vcc_lo
	s_cbranch_execz .LBB23_4
; %bb.3:                                ;   in Loop: Header=BB23_2 Depth=1
	ds_load_u8 v25, v0
	ds_load_u8 v26, v0 offset:1
	v_cmp_ne_u32_e64 s2, 0, v9
	s_waitcnt lgkmcnt(0)
	v_add_nc_u16 v27, v26, v25
	s_delay_alu instid0(VALU_DEP_1) | instskip(NEXT) | instid1(VALU_DEP_1)
	v_and_b32_e32 v28, 0xff, v27
	v_mov_b32_dpp v28, v28 row_shr:1 row_mask:0xf bank_mask:0xf
	s_delay_alu instid0(VALU_DEP_1) | instskip(SKIP_1) | instid1(VALU_DEP_2)
	v_cndmask_b32_e64 v28, 0, v28, s2
	v_cmp_lt_u32_e64 s2, 1, v9
	v_add_nc_u16 v27, v28, v27
	s_delay_alu instid0(VALU_DEP_1) | instskip(NEXT) | instid1(VALU_DEP_1)
	v_and_b32_e32 v28, 0xff, v27
	v_mov_b32_dpp v28, v28 row_shr:2 row_mask:0xf bank_mask:0xf
	s_delay_alu instid0(VALU_DEP_1) | instskip(SKIP_1) | instid1(VALU_DEP_2)
	v_cndmask_b32_e64 v28, 0, v28, s2
	v_cmp_lt_u32_e64 s2, 3, v9
	;; [unrolled: 7-line block ×3, first 2 shown]
	v_add_nc_u16 v27, v27, v28
	s_delay_alu instid0(VALU_DEP_1) | instskip(NEXT) | instid1(VALU_DEP_1)
	v_and_b32_e32 v28, 0xff, v27
	v_mov_b32_dpp v28, v28 row_shr:8 row_mask:0xf bank_mask:0xf
	s_delay_alu instid0(VALU_DEP_1) | instskip(SKIP_1) | instid1(VALU_DEP_2)
	v_cndmask_b32_e64 v28, 0, v28, s2
	v_cmp_ne_u32_e64 s2, 0, v10
	v_add_nc_u16 v27, v27, v28
	s_delay_alu instid0(VALU_DEP_1) | instskip(SKIP_4) | instid1(VALU_DEP_2)
	v_and_b32_e32 v28, 0xff, v27
	ds_swizzle_b32 v28, v28 offset:swizzle(BROADCAST,32,15)
	s_waitcnt lgkmcnt(0)
	v_cndmask_b32_e64 v28, 0, v28, s2
	v_cmp_gt_i32_e64 s2, 0, v11
	v_add_nc_u16 v27, v27, v28
	s_delay_alu instid0(VALU_DEP_2) | instskip(NEXT) | instid1(VALU_DEP_2)
	v_cndmask_b32_e64 v28, v11, v7, s2
	v_and_b32_e32 v27, 0xff, v27
	s_delay_alu instid0(VALU_DEP_2) | instskip(SKIP_3) | instid1(VALU_DEP_1)
	v_lshlrev_b32_e32 v28, 2, v28
	ds_bpermute_b32 v27, v28, v27
	s_waitcnt lgkmcnt(0)
	v_add_nc_u16 v25, v25, v27
	v_cndmask_b32_e64 v24, v25, v24, s0
	s_delay_alu instid0(VALU_DEP_1)
	v_add_nc_u16 v25, v24, v26
	ds_store_b8 v0, v24
	ds_store_b8 v0, v25 offset:1
.LBB23_4:                               ;   in Loop: Header=BB23_2 Depth=1
	s_or_b32 exec_lo, exec_lo, s4
	v_mov_b32_e32 v24, 0
	s_waitcnt lgkmcnt(0)
	s_barrier
	buffer_gl0_inv
	s_and_saveexec_b32 s2, s1
	s_cbranch_execz .LBB23_1
; %bb.5:                                ;   in Loop: Header=BB23_2 Depth=1
	ds_load_u8 v24, v8
	s_branch .LBB23_1
.LBB23_6:
	v_add_co_u32 v4, s0, s6, v5
	s_delay_alu instid0(VALU_DEP_1)
	v_add_co_ci_u32_e64 v5, null, s7, 0, s0
	v_or_b32_e32 v3, v18, v19
	v_or_b32_e32 v2, v13, v17
	;; [unrolled: 1-line block ×4, first 2 shown]
	global_store_b128 v[4:5], v[0:3], off
	s_nop 0
	s_sendmsg sendmsg(MSG_DEALLOC_VGPRS)
	s_endpgm
	.section	.rodata,"a",@progbits
	.p2align	6, 0x0
	.amdhsa_kernel _Z6kernelI14inclusive_scanILN6hipcub18BlockScanAlgorithmE1EEhLj64ELj16ELj100EEvPKT0_PS4_S4_
		.amdhsa_group_segment_fixed_size 66
		.amdhsa_private_segment_fixed_size 0
		.amdhsa_kernarg_size 280
		.amdhsa_user_sgpr_count 15
		.amdhsa_user_sgpr_dispatch_ptr 0
		.amdhsa_user_sgpr_queue_ptr 0
		.amdhsa_user_sgpr_kernarg_segment_ptr 1
		.amdhsa_user_sgpr_dispatch_id 0
		.amdhsa_user_sgpr_private_segment_size 0
		.amdhsa_wavefront_size32 1
		.amdhsa_uses_dynamic_stack 0
		.amdhsa_enable_private_segment 0
		.amdhsa_system_sgpr_workgroup_id_x 1
		.amdhsa_system_sgpr_workgroup_id_y 0
		.amdhsa_system_sgpr_workgroup_id_z 0
		.amdhsa_system_sgpr_workgroup_info 0
		.amdhsa_system_vgpr_workitem_id 0
		.amdhsa_next_free_vgpr 29
		.amdhsa_next_free_sgpr 16
		.amdhsa_reserve_vcc 1
		.amdhsa_float_round_mode_32 0
		.amdhsa_float_round_mode_16_64 0
		.amdhsa_float_denorm_mode_32 3
		.amdhsa_float_denorm_mode_16_64 3
		.amdhsa_dx10_clamp 1
		.amdhsa_ieee_mode 1
		.amdhsa_fp16_overflow 0
		.amdhsa_workgroup_processor_mode 1
		.amdhsa_memory_ordered 1
		.amdhsa_forward_progress 0
		.amdhsa_shared_vgpr_count 0
		.amdhsa_exception_fp_ieee_invalid_op 0
		.amdhsa_exception_fp_denorm_src 0
		.amdhsa_exception_fp_ieee_div_zero 0
		.amdhsa_exception_fp_ieee_overflow 0
		.amdhsa_exception_fp_ieee_underflow 0
		.amdhsa_exception_fp_ieee_inexact 0
		.amdhsa_exception_int_div_zero 0
	.end_amdhsa_kernel
	.section	.text._Z6kernelI14inclusive_scanILN6hipcub18BlockScanAlgorithmE1EEhLj64ELj16ELj100EEvPKT0_PS4_S4_,"axG",@progbits,_Z6kernelI14inclusive_scanILN6hipcub18BlockScanAlgorithmE1EEhLj64ELj16ELj100EEvPKT0_PS4_S4_,comdat
.Lfunc_end23:
	.size	_Z6kernelI14inclusive_scanILN6hipcub18BlockScanAlgorithmE1EEhLj64ELj16ELj100EEvPKT0_PS4_S4_, .Lfunc_end23-_Z6kernelI14inclusive_scanILN6hipcub18BlockScanAlgorithmE1EEhLj64ELj16ELj100EEvPKT0_PS4_S4_
                                        ; -- End function
	.section	.AMDGPU.csdata,"",@progbits
; Kernel info:
; codeLenInByte = 1256
; NumSgprs: 18
; NumVgprs: 29
; ScratchSize: 0
; MemoryBound: 0
; FloatMode: 240
; IeeeMode: 1
; LDSByteSize: 66 bytes/workgroup (compile time only)
; SGPRBlocks: 2
; VGPRBlocks: 3
; NumSGPRsForWavesPerEU: 18
; NumVGPRsForWavesPerEU: 29
; Occupancy: 16
; WaveLimiterHint : 0
; COMPUTE_PGM_RSRC2:SCRATCH_EN: 0
; COMPUTE_PGM_RSRC2:USER_SGPR: 15
; COMPUTE_PGM_RSRC2:TRAP_HANDLER: 0
; COMPUTE_PGM_RSRC2:TGID_X_EN: 1
; COMPUTE_PGM_RSRC2:TGID_Y_EN: 0
; COMPUTE_PGM_RSRC2:TGID_Z_EN: 0
; COMPUTE_PGM_RSRC2:TIDIG_COMP_CNT: 0
	.section	.text._Z6kernelI14inclusive_scanILN6hipcub18BlockScanAlgorithmE1EEiLj256ELj1ELj100EEvPKT0_PS4_S4_,"axG",@progbits,_Z6kernelI14inclusive_scanILN6hipcub18BlockScanAlgorithmE1EEiLj256ELj1ELj100EEvPKT0_PS4_S4_,comdat
	.protected	_Z6kernelI14inclusive_scanILN6hipcub18BlockScanAlgorithmE1EEiLj256ELj1ELj100EEvPKT0_PS4_S4_ ; -- Begin function _Z6kernelI14inclusive_scanILN6hipcub18BlockScanAlgorithmE1EEiLj256ELj1ELj100EEvPKT0_PS4_S4_
	.globl	_Z6kernelI14inclusive_scanILN6hipcub18BlockScanAlgorithmE1EEiLj256ELj1ELj100EEvPKT0_PS4_S4_
	.p2align	8
	.type	_Z6kernelI14inclusive_scanILN6hipcub18BlockScanAlgorithmE1EEiLj256ELj1ELj100EEvPKT0_PS4_S4_,@function
_Z6kernelI14inclusive_scanILN6hipcub18BlockScanAlgorithmE1EEiLj256ELj1ELj100EEvPKT0_PS4_S4_: ; @_Z6kernelI14inclusive_scanILN6hipcub18BlockScanAlgorithmE1EEiLj256ELj1ELj100EEvPKT0_PS4_S4_
; %bb.0:
	s_clause 0x1
	s_load_b32 s4, s[0:1], 0x24
	s_load_b128 s[0:3], s[0:1], 0x0
	v_lshrrev_b32_e32 v6, 2, v0
	v_lshlrev_b32_e32 v5, 3, v0
	s_delay_alu instid0(VALU_DEP_1) | instskip(SKIP_2) | instid1(SALU_CYCLE_1)
	v_add_lshl_u32 v5, v6, v5, 2
	s_waitcnt lgkmcnt(0)
	s_and_b32 s4, s4, 0xffff
	v_mad_u64_u32 v[1:2], null, s15, s4, v[0:1]
	v_mov_b32_e32 v2, 0
	s_movk_i32 s4, 0x64
	s_delay_alu instid0(VALU_DEP_1) | instskip(NEXT) | instid1(VALU_DEP_1)
	v_lshlrev_b64 v[1:2], 2, v[1:2]
	v_add_co_u32 v3, vcc_lo, s0, v1
	s_delay_alu instid0(VALU_DEP_2)
	v_add_co_ci_u32_e32 v4, vcc_lo, s1, v2, vcc_lo
	v_cmp_gt_u32_e32 vcc_lo, 32, v0
	v_cmp_eq_u32_e64 s0, 0, v0
	global_load_b32 v8, v[3:4], off
	v_lshrrev_b32_e32 v4, 5, v0
	v_mbcnt_lo_u32_b32 v3, -1, 0
	s_delay_alu instid0(VALU_DEP_2) | instskip(NEXT) | instid1(VALU_DEP_2)
	v_add_lshl_u32 v4, v4, v0, 2
	v_and_b32_e32 v0, 15, v3
	v_bfe_i32 v6, v3, 4, 1
	v_add_nc_u32_e32 v7, -1, v3
	s_branch .LBB24_2
.LBB24_1:                               ;   in Loop: Header=BB24_2 Depth=1
	s_or_b32 exec_lo, exec_lo, s5
	s_waitcnt lgkmcnt(0)
	s_barrier
	buffer_gl0_inv
	ds_load_b32 v8, v4
	s_add_i32 s4, s4, -1
	s_delay_alu instid0(SALU_CYCLE_1)
	s_cmp_lg_u32 s4, 0
	s_cbranch_scc0 .LBB24_4
.LBB24_2:                               ; =>This Inner Loop Header: Depth=1
	s_waitcnt vmcnt(0) lgkmcnt(0)
	ds_store_b32 v4, v8
	s_waitcnt lgkmcnt(0)
	s_barrier
	buffer_gl0_inv
	s_and_saveexec_b32 s5, vcc_lo
	s_cbranch_execz .LBB24_1
; %bb.3:                                ;   in Loop: Header=BB24_2 Depth=1
	ds_load_2addr_b32 v[9:10], v5 offset1:1
	ds_load_2addr_b32 v[11:12], v5 offset0:2 offset1:3
	ds_load_2addr_b32 v[13:14], v5 offset0:4 offset1:5
	;; [unrolled: 1-line block ×3, first 2 shown]
	v_cmp_ne_u32_e64 s1, 0, v0
	s_waitcnt lgkmcnt(3)
	v_add_nc_u32_e32 v17, v10, v9
	s_waitcnt lgkmcnt(2)
	s_delay_alu instid0(VALU_DEP_1) | instskip(SKIP_1) | instid1(VALU_DEP_1)
	v_add3_u32 v17, v17, v11, v12
	s_waitcnt lgkmcnt(1)
	v_add3_u32 v17, v17, v13, v14
	s_waitcnt lgkmcnt(0)
	s_delay_alu instid0(VALU_DEP_1) | instskip(NEXT) | instid1(VALU_DEP_1)
	v_add3_u32 v17, v17, v15, v16
	v_mov_b32_dpp v18, v17 row_shr:1 row_mask:0xf bank_mask:0xf
	s_delay_alu instid0(VALU_DEP_1) | instskip(SKIP_1) | instid1(VALU_DEP_2)
	v_cndmask_b32_e64 v18, 0, v18, s1
	v_cmp_lt_u32_e64 s1, 1, v0
	v_add_nc_u32_e32 v17, v18, v17
	s_delay_alu instid0(VALU_DEP_1) | instskip(NEXT) | instid1(VALU_DEP_1)
	v_mov_b32_dpp v18, v17 row_shr:2 row_mask:0xf bank_mask:0xf
	v_cndmask_b32_e64 v18, 0, v18, s1
	v_cmp_lt_u32_e64 s1, 3, v0
	s_delay_alu instid0(VALU_DEP_2) | instskip(NEXT) | instid1(VALU_DEP_1)
	v_add_nc_u32_e32 v17, v17, v18
	v_mov_b32_dpp v18, v17 row_shr:4 row_mask:0xf bank_mask:0xf
	s_delay_alu instid0(VALU_DEP_1) | instskip(SKIP_1) | instid1(VALU_DEP_2)
	v_cndmask_b32_e64 v18, 0, v18, s1
	v_cmp_lt_u32_e64 s1, 7, v0
	v_add_nc_u32_e32 v17, v17, v18
	s_delay_alu instid0(VALU_DEP_1) | instskip(NEXT) | instid1(VALU_DEP_1)
	v_mov_b32_dpp v18, v17 row_shr:8 row_mask:0xf bank_mask:0xf
	v_cndmask_b32_e64 v18, 0, v18, s1
	v_cmp_gt_i32_e64 s1, 0, v7
	s_delay_alu instid0(VALU_DEP_2) | instskip(NEXT) | instid1(VALU_DEP_2)
	v_add_nc_u32_e32 v17, v17, v18
	v_cndmask_b32_e64 v19, v7, v3, s1
	ds_swizzle_b32 v18, v17 offset:swizzle(BROADCAST,32,15)
	s_waitcnt lgkmcnt(0)
	v_and_b32_e32 v18, v6, v18
	s_delay_alu instid0(VALU_DEP_1) | instskip(SKIP_4) | instid1(VALU_DEP_1)
	v_add_nc_u32_e32 v17, v17, v18
	v_lshlrev_b32_e32 v18, 2, v19
	ds_bpermute_b32 v17, v18, v17
	s_waitcnt lgkmcnt(0)
	v_add_nc_u32_e32 v9, v17, v9
	v_cndmask_b32_e64 v8, v9, v8, s0
	s_delay_alu instid0(VALU_DEP_1) | instskip(NEXT) | instid1(VALU_DEP_1)
	v_add_nc_u32_e32 v9, v8, v10
	v_add_nc_u32_e32 v10, v9, v11
	s_delay_alu instid0(VALU_DEP_1) | instskip(NEXT) | instid1(VALU_DEP_1)
	v_add_nc_u32_e32 v11, v10, v12
	v_add_nc_u32_e32 v12, v11, v13
	;; [unrolled: 3-line block ×3, first 2 shown]
	s_delay_alu instid0(VALU_DEP_1)
	v_add_nc_u32_e32 v15, v14, v16
	ds_store_2addr_b32 v5, v8, v9 offset1:1
	ds_store_2addr_b32 v5, v10, v11 offset0:2 offset1:3
	ds_store_2addr_b32 v5, v12, v13 offset0:4 offset1:5
	;; [unrolled: 1-line block ×3, first 2 shown]
	s_branch .LBB24_1
.LBB24_4:
	v_add_co_u32 v0, vcc_lo, s2, v1
	v_add_co_ci_u32_e32 v1, vcc_lo, s3, v2, vcc_lo
	s_waitcnt lgkmcnt(0)
	global_store_b32 v[0:1], v8, off
	s_nop 0
	s_sendmsg sendmsg(MSG_DEALLOC_VGPRS)
	s_endpgm
	.section	.rodata,"a",@progbits
	.p2align	6, 0x0
	.amdhsa_kernel _Z6kernelI14inclusive_scanILN6hipcub18BlockScanAlgorithmE1EEiLj256ELj1ELj100EEvPKT0_PS4_S4_
		.amdhsa_group_segment_fixed_size 1056
		.amdhsa_private_segment_fixed_size 0
		.amdhsa_kernarg_size 280
		.amdhsa_user_sgpr_count 15
		.amdhsa_user_sgpr_dispatch_ptr 0
		.amdhsa_user_sgpr_queue_ptr 0
		.amdhsa_user_sgpr_kernarg_segment_ptr 1
		.amdhsa_user_sgpr_dispatch_id 0
		.amdhsa_user_sgpr_private_segment_size 0
		.amdhsa_wavefront_size32 1
		.amdhsa_uses_dynamic_stack 0
		.amdhsa_enable_private_segment 0
		.amdhsa_system_sgpr_workgroup_id_x 1
		.amdhsa_system_sgpr_workgroup_id_y 0
		.amdhsa_system_sgpr_workgroup_id_z 0
		.amdhsa_system_sgpr_workgroup_info 0
		.amdhsa_system_vgpr_workitem_id 0
		.amdhsa_next_free_vgpr 20
		.amdhsa_next_free_sgpr 16
		.amdhsa_reserve_vcc 1
		.amdhsa_float_round_mode_32 0
		.amdhsa_float_round_mode_16_64 0
		.amdhsa_float_denorm_mode_32 3
		.amdhsa_float_denorm_mode_16_64 3
		.amdhsa_dx10_clamp 1
		.amdhsa_ieee_mode 1
		.amdhsa_fp16_overflow 0
		.amdhsa_workgroup_processor_mode 1
		.amdhsa_memory_ordered 1
		.amdhsa_forward_progress 0
		.amdhsa_shared_vgpr_count 0
		.amdhsa_exception_fp_ieee_invalid_op 0
		.amdhsa_exception_fp_denorm_src 0
		.amdhsa_exception_fp_ieee_div_zero 0
		.amdhsa_exception_fp_ieee_overflow 0
		.amdhsa_exception_fp_ieee_underflow 0
		.amdhsa_exception_fp_ieee_inexact 0
		.amdhsa_exception_int_div_zero 0
	.end_amdhsa_kernel
	.section	.text._Z6kernelI14inclusive_scanILN6hipcub18BlockScanAlgorithmE1EEiLj256ELj1ELj100EEvPKT0_PS4_S4_,"axG",@progbits,_Z6kernelI14inclusive_scanILN6hipcub18BlockScanAlgorithmE1EEiLj256ELj1ELj100EEvPKT0_PS4_S4_,comdat
.Lfunc_end24:
	.size	_Z6kernelI14inclusive_scanILN6hipcub18BlockScanAlgorithmE1EEiLj256ELj1ELj100EEvPKT0_PS4_S4_, .Lfunc_end24-_Z6kernelI14inclusive_scanILN6hipcub18BlockScanAlgorithmE1EEiLj256ELj1ELj100EEvPKT0_PS4_S4_
                                        ; -- End function
	.section	.AMDGPU.csdata,"",@progbits
; Kernel info:
; codeLenInByte = 644
; NumSgprs: 18
; NumVgprs: 20
; ScratchSize: 0
; MemoryBound: 0
; FloatMode: 240
; IeeeMode: 1
; LDSByteSize: 1056 bytes/workgroup (compile time only)
; SGPRBlocks: 2
; VGPRBlocks: 2
; NumSGPRsForWavesPerEU: 18
; NumVGPRsForWavesPerEU: 20
; Occupancy: 16
; WaveLimiterHint : 0
; COMPUTE_PGM_RSRC2:SCRATCH_EN: 0
; COMPUTE_PGM_RSRC2:USER_SGPR: 15
; COMPUTE_PGM_RSRC2:TRAP_HANDLER: 0
; COMPUTE_PGM_RSRC2:TGID_X_EN: 1
; COMPUTE_PGM_RSRC2:TGID_Y_EN: 0
; COMPUTE_PGM_RSRC2:TGID_Z_EN: 0
; COMPUTE_PGM_RSRC2:TIDIG_COMP_CNT: 0
	.section	.text._Z6kernelI14inclusive_scanILN6hipcub18BlockScanAlgorithmE1EEiLj256ELj3ELj100EEvPKT0_PS4_S4_,"axG",@progbits,_Z6kernelI14inclusive_scanILN6hipcub18BlockScanAlgorithmE1EEiLj256ELj3ELj100EEvPKT0_PS4_S4_,comdat
	.protected	_Z6kernelI14inclusive_scanILN6hipcub18BlockScanAlgorithmE1EEiLj256ELj3ELj100EEvPKT0_PS4_S4_ ; -- Begin function _Z6kernelI14inclusive_scanILN6hipcub18BlockScanAlgorithmE1EEiLj256ELj3ELj100EEvPKT0_PS4_S4_
	.globl	_Z6kernelI14inclusive_scanILN6hipcub18BlockScanAlgorithmE1EEiLj256ELj3ELj100EEvPKT0_PS4_S4_
	.p2align	8
	.type	_Z6kernelI14inclusive_scanILN6hipcub18BlockScanAlgorithmE1EEiLj256ELj3ELj100EEvPKT0_PS4_S4_,@function
_Z6kernelI14inclusive_scanILN6hipcub18BlockScanAlgorithmE1EEiLj256ELj3ELj100EEvPKT0_PS4_S4_: ; @_Z6kernelI14inclusive_scanILN6hipcub18BlockScanAlgorithmE1EEiLj256ELj3ELj100EEvPKT0_PS4_S4_
; %bb.0:
	s_clause 0x1
	s_load_b32 s2, s[0:1], 0x24
	s_load_b128 s[4:7], s[0:1], 0x0
	v_lshlrev_b32_e32 v13, 3, v0
	v_lshrrev_b32_e32 v14, 2, v0
	v_cmp_eq_u32_e64 s0, 0, v0
	v_cmp_ne_u32_e64 s1, 0, v0
	s_movk_i32 s3, 0x64
	s_waitcnt lgkmcnt(0)
	s_and_b32 s2, s2, 0xffff
	s_delay_alu instid0(SALU_CYCLE_1) | instskip(NEXT) | instid1(VALU_DEP_1)
	v_mad_u64_u32 v[1:2], null, s15, s2, v[0:1]
	v_lshl_add_u32 v3, v1, 1, v1
	s_delay_alu instid0(VALU_DEP_1) | instskip(NEXT) | instid1(VALU_DEP_1)
	v_dual_mov_b32 v4, 0 :: v_dual_add_nc_u32 v5, 1, v3
	v_mov_b32_e32 v6, v4
	v_lshlrev_b64 v[1:2], 2, v[3:4]
	v_add_nc_u32_e32 v3, 2, v3
	s_delay_alu instid0(VALU_DEP_3) | instskip(NEXT) | instid1(VALU_DEP_2)
	v_lshlrev_b64 v[5:6], 2, v[5:6]
	v_lshlrev_b64 v[3:4], 2, v[3:4]
	s_delay_alu instid0(VALU_DEP_4) | instskip(SKIP_1) | instid1(VALU_DEP_4)
	v_add_co_u32 v7, vcc_lo, s4, v1
	v_add_co_ci_u32_e32 v8, vcc_lo, s5, v2, vcc_lo
	v_add_co_u32 v9, vcc_lo, s4, v5
	v_add_co_ci_u32_e32 v10, vcc_lo, s5, v6, vcc_lo
	v_add_co_u32 v11, vcc_lo, s4, v3
	v_add_co_ci_u32_e32 v12, vcc_lo, s5, v4, vcc_lo
	s_clause 0x2
	global_load_b32 v7, v[7:8], off
	global_load_b32 v8, v[9:10], off
	;; [unrolled: 1-line block ×3, first 2 shown]
	v_add_nc_u32_e32 v12, -1, v0
	v_lshrrev_b32_e32 v10, 5, v0
	v_mbcnt_lo_u32_b32 v11, -1, 0
	v_cmp_gt_u32_e32 vcc_lo, 32, v0
	s_delay_alu instid0(VALU_DEP_4) | instskip(NEXT) | instid1(VALU_DEP_4)
	v_lshrrev_b32_e32 v15, 5, v12
	v_add_lshl_u32 v10, v10, v0, 2
	v_add_lshl_u32 v0, v14, v13, 2
	v_and_b32_e32 v13, 15, v11
	v_bfe_i32 v14, v11, 4, 1
	v_add_lshl_u32 v12, v15, v12, 2
	v_add_nc_u32_e32 v15, -1, v11
	s_branch .LBB25_2
.LBB25_1:                               ;   in Loop: Header=BB25_2 Depth=1
	s_or_b32 exec_lo, exec_lo, s2
	s_waitcnt lgkmcnt(0)
	v_add_nc_u32_e32 v7, v16, v7
	s_add_i32 s3, s3, -1
	s_delay_alu instid0(SALU_CYCLE_1) | instskip(NEXT) | instid1(VALU_DEP_1)
	s_cmp_lg_u32 s3, 0
	v_add_nc_u32_e32 v8, v7, v8
	s_delay_alu instid0(VALU_DEP_1)
	v_add_nc_u32_e32 v9, v8, v9
	s_cbranch_scc0 .LBB25_6
.LBB25_2:                               ; =>This Inner Loop Header: Depth=1
	s_waitcnt vmcnt(0)
	s_delay_alu instid0(VALU_DEP_1)
	v_add3_u32 v16, v8, v7, v9
	ds_store_b32 v10, v16
	s_waitcnt lgkmcnt(0)
	s_barrier
	buffer_gl0_inv
	s_and_saveexec_b32 s4, vcc_lo
	s_cbranch_execz .LBB25_4
; %bb.3:                                ;   in Loop: Header=BB25_2 Depth=1
	ds_load_2addr_b32 v[17:18], v0 offset1:1
	ds_load_2addr_b32 v[19:20], v0 offset0:2 offset1:3
	ds_load_2addr_b32 v[21:22], v0 offset0:4 offset1:5
	;; [unrolled: 1-line block ×3, first 2 shown]
	v_cmp_ne_u32_e64 s2, 0, v13
	s_waitcnt lgkmcnt(3)
	v_add_nc_u32_e32 v25, v18, v17
	s_waitcnt lgkmcnt(2)
	s_delay_alu instid0(VALU_DEP_1) | instskip(SKIP_1) | instid1(VALU_DEP_1)
	v_add3_u32 v25, v25, v19, v20
	s_waitcnt lgkmcnt(1)
	v_add3_u32 v25, v25, v21, v22
	s_waitcnt lgkmcnt(0)
	s_delay_alu instid0(VALU_DEP_1) | instskip(NEXT) | instid1(VALU_DEP_1)
	v_add3_u32 v25, v25, v23, v24
	v_mov_b32_dpp v26, v25 row_shr:1 row_mask:0xf bank_mask:0xf
	s_delay_alu instid0(VALU_DEP_1) | instskip(SKIP_1) | instid1(VALU_DEP_2)
	v_cndmask_b32_e64 v26, 0, v26, s2
	v_cmp_lt_u32_e64 s2, 1, v13
	v_add_nc_u32_e32 v25, v26, v25
	s_delay_alu instid0(VALU_DEP_1) | instskip(NEXT) | instid1(VALU_DEP_1)
	v_mov_b32_dpp v26, v25 row_shr:2 row_mask:0xf bank_mask:0xf
	v_cndmask_b32_e64 v26, 0, v26, s2
	v_cmp_lt_u32_e64 s2, 3, v13
	s_delay_alu instid0(VALU_DEP_2) | instskip(NEXT) | instid1(VALU_DEP_1)
	v_add_nc_u32_e32 v25, v25, v26
	v_mov_b32_dpp v26, v25 row_shr:4 row_mask:0xf bank_mask:0xf
	s_delay_alu instid0(VALU_DEP_1) | instskip(SKIP_1) | instid1(VALU_DEP_2)
	v_cndmask_b32_e64 v26, 0, v26, s2
	v_cmp_lt_u32_e64 s2, 7, v13
	v_add_nc_u32_e32 v25, v25, v26
	s_delay_alu instid0(VALU_DEP_1) | instskip(NEXT) | instid1(VALU_DEP_1)
	v_mov_b32_dpp v26, v25 row_shr:8 row_mask:0xf bank_mask:0xf
	v_cndmask_b32_e64 v26, 0, v26, s2
	v_cmp_gt_i32_e64 s2, 0, v15
	s_delay_alu instid0(VALU_DEP_2) | instskip(NEXT) | instid1(VALU_DEP_2)
	v_add_nc_u32_e32 v25, v25, v26
	v_cndmask_b32_e64 v27, v15, v11, s2
	ds_swizzle_b32 v26, v25 offset:swizzle(BROADCAST,32,15)
	s_waitcnt lgkmcnt(0)
	v_and_b32_e32 v26, v14, v26
	s_delay_alu instid0(VALU_DEP_1) | instskip(SKIP_4) | instid1(VALU_DEP_1)
	v_add_nc_u32_e32 v25, v25, v26
	v_lshlrev_b32_e32 v26, 2, v27
	ds_bpermute_b32 v25, v26, v25
	s_waitcnt lgkmcnt(0)
	v_add_nc_u32_e32 v17, v25, v17
	v_cndmask_b32_e64 v16, v17, v16, s0
	s_delay_alu instid0(VALU_DEP_1) | instskip(NEXT) | instid1(VALU_DEP_1)
	v_add_nc_u32_e32 v17, v16, v18
	v_add_nc_u32_e32 v18, v17, v19
	s_delay_alu instid0(VALU_DEP_1) | instskip(NEXT) | instid1(VALU_DEP_1)
	v_add_nc_u32_e32 v19, v18, v20
	v_add_nc_u32_e32 v20, v19, v21
	;; [unrolled: 3-line block ×3, first 2 shown]
	s_delay_alu instid0(VALU_DEP_1)
	v_add_nc_u32_e32 v23, v22, v24
	ds_store_2addr_b32 v0, v16, v17 offset1:1
	ds_store_2addr_b32 v0, v18, v19 offset0:2 offset1:3
	ds_store_2addr_b32 v0, v20, v21 offset0:4 offset1:5
	;; [unrolled: 1-line block ×3, first 2 shown]
.LBB25_4:                               ;   in Loop: Header=BB25_2 Depth=1
	s_or_b32 exec_lo, exec_lo, s4
	v_mov_b32_e32 v16, 0
	s_waitcnt lgkmcnt(0)
	s_barrier
	buffer_gl0_inv
	s_and_saveexec_b32 s2, s1
	s_cbranch_execz .LBB25_1
; %bb.5:                                ;   in Loop: Header=BB25_2 Depth=1
	ds_load_b32 v16, v12
	s_branch .LBB25_1
.LBB25_6:
	v_add_co_u32 v0, vcc_lo, s6, v1
	v_add_co_ci_u32_e32 v1, vcc_lo, s7, v2, vcc_lo
	v_add_co_u32 v5, vcc_lo, s6, v5
	v_add_co_ci_u32_e32 v6, vcc_lo, s7, v6, vcc_lo
	;; [unrolled: 2-line block ×3, first 2 shown]
	s_clause 0x2
	global_store_b32 v[0:1], v7, off
	global_store_b32 v[5:6], v8, off
	;; [unrolled: 1-line block ×3, first 2 shown]
	s_nop 0
	s_sendmsg sendmsg(MSG_DEALLOC_VGPRS)
	s_endpgm
	.section	.rodata,"a",@progbits
	.p2align	6, 0x0
	.amdhsa_kernel _Z6kernelI14inclusive_scanILN6hipcub18BlockScanAlgorithmE1EEiLj256ELj3ELj100EEvPKT0_PS4_S4_
		.amdhsa_group_segment_fixed_size 1056
		.amdhsa_private_segment_fixed_size 0
		.amdhsa_kernarg_size 280
		.amdhsa_user_sgpr_count 15
		.amdhsa_user_sgpr_dispatch_ptr 0
		.amdhsa_user_sgpr_queue_ptr 0
		.amdhsa_user_sgpr_kernarg_segment_ptr 1
		.amdhsa_user_sgpr_dispatch_id 0
		.amdhsa_user_sgpr_private_segment_size 0
		.amdhsa_wavefront_size32 1
		.amdhsa_uses_dynamic_stack 0
		.amdhsa_enable_private_segment 0
		.amdhsa_system_sgpr_workgroup_id_x 1
		.amdhsa_system_sgpr_workgroup_id_y 0
		.amdhsa_system_sgpr_workgroup_id_z 0
		.amdhsa_system_sgpr_workgroup_info 0
		.amdhsa_system_vgpr_workitem_id 0
		.amdhsa_next_free_vgpr 28
		.amdhsa_next_free_sgpr 16
		.amdhsa_reserve_vcc 1
		.amdhsa_float_round_mode_32 0
		.amdhsa_float_round_mode_16_64 0
		.amdhsa_float_denorm_mode_32 3
		.amdhsa_float_denorm_mode_16_64 3
		.amdhsa_dx10_clamp 1
		.amdhsa_ieee_mode 1
		.amdhsa_fp16_overflow 0
		.amdhsa_workgroup_processor_mode 1
		.amdhsa_memory_ordered 1
		.amdhsa_forward_progress 0
		.amdhsa_shared_vgpr_count 0
		.amdhsa_exception_fp_ieee_invalid_op 0
		.amdhsa_exception_fp_denorm_src 0
		.amdhsa_exception_fp_ieee_div_zero 0
		.amdhsa_exception_fp_ieee_overflow 0
		.amdhsa_exception_fp_ieee_underflow 0
		.amdhsa_exception_fp_ieee_inexact 0
		.amdhsa_exception_int_div_zero 0
	.end_amdhsa_kernel
	.section	.text._Z6kernelI14inclusive_scanILN6hipcub18BlockScanAlgorithmE1EEiLj256ELj3ELj100EEvPKT0_PS4_S4_,"axG",@progbits,_Z6kernelI14inclusive_scanILN6hipcub18BlockScanAlgorithmE1EEiLj256ELj3ELj100EEvPKT0_PS4_S4_,comdat
.Lfunc_end25:
	.size	_Z6kernelI14inclusive_scanILN6hipcub18BlockScanAlgorithmE1EEiLj256ELj3ELj100EEvPKT0_PS4_S4_, .Lfunc_end25-_Z6kernelI14inclusive_scanILN6hipcub18BlockScanAlgorithmE1EEiLj256ELj3ELj100EEvPKT0_PS4_S4_
                                        ; -- End function
	.section	.AMDGPU.csdata,"",@progbits
; Kernel info:
; codeLenInByte = 840
; NumSgprs: 18
; NumVgprs: 28
; ScratchSize: 0
; MemoryBound: 0
; FloatMode: 240
; IeeeMode: 1
; LDSByteSize: 1056 bytes/workgroup (compile time only)
; SGPRBlocks: 2
; VGPRBlocks: 3
; NumSGPRsForWavesPerEU: 18
; NumVGPRsForWavesPerEU: 28
; Occupancy: 16
; WaveLimiterHint : 0
; COMPUTE_PGM_RSRC2:SCRATCH_EN: 0
; COMPUTE_PGM_RSRC2:USER_SGPR: 15
; COMPUTE_PGM_RSRC2:TRAP_HANDLER: 0
; COMPUTE_PGM_RSRC2:TGID_X_EN: 1
; COMPUTE_PGM_RSRC2:TGID_Y_EN: 0
; COMPUTE_PGM_RSRC2:TGID_Z_EN: 0
; COMPUTE_PGM_RSRC2:TIDIG_COMP_CNT: 0
	.section	.text._Z6kernelI14inclusive_scanILN6hipcub18BlockScanAlgorithmE1EEiLj256ELj4ELj100EEvPKT0_PS4_S4_,"axG",@progbits,_Z6kernelI14inclusive_scanILN6hipcub18BlockScanAlgorithmE1EEiLj256ELj4ELj100EEvPKT0_PS4_S4_,comdat
	.protected	_Z6kernelI14inclusive_scanILN6hipcub18BlockScanAlgorithmE1EEiLj256ELj4ELj100EEvPKT0_PS4_S4_ ; -- Begin function _Z6kernelI14inclusive_scanILN6hipcub18BlockScanAlgorithmE1EEiLj256ELj4ELj100EEvPKT0_PS4_S4_
	.globl	_Z6kernelI14inclusive_scanILN6hipcub18BlockScanAlgorithmE1EEiLj256ELj4ELj100EEvPKT0_PS4_S4_
	.p2align	8
	.type	_Z6kernelI14inclusive_scanILN6hipcub18BlockScanAlgorithmE1EEiLj256ELj4ELj100EEvPKT0_PS4_S4_,@function
_Z6kernelI14inclusive_scanILN6hipcub18BlockScanAlgorithmE1EEiLj256ELj4ELj100EEvPKT0_PS4_S4_: ; @_Z6kernelI14inclusive_scanILN6hipcub18BlockScanAlgorithmE1EEiLj256ELj4ELj100EEvPKT0_PS4_S4_
; %bb.0:
	s_clause 0x1
	s_load_b32 s2, s[0:1], 0x24
	s_load_b128 s[4:7], s[0:1], 0x0
	v_dual_mov_b32 v2, 0 :: v_dual_add_nc_u32 v9, -1, v0
	v_lshrrev_b32_e32 v7, 5, v0
	v_lshlrev_b32_e32 v10, 3, v0
	v_lshrrev_b32_e32 v11, 2, v0
	v_mbcnt_lo_u32_b32 v8, -1, 0
	v_lshrrev_b32_e32 v12, 5, v9
	v_add_lshl_u32 v7, v7, v0, 2
	v_cmp_ne_u32_e64 s1, 0, v0
	s_movk_i32 s3, 0x64
	s_delay_alu instid0(VALU_DEP_3) | instskip(SKIP_3) | instid1(SALU_CYCLE_1)
	v_add_lshl_u32 v9, v12, v9, 2
	v_add_nc_u32_e32 v12, -1, v8
	s_waitcnt lgkmcnt(0)
	s_and_b32 s0, s2, 0xffff
	s_mul_i32 s15, s15, s0
	v_cmp_eq_u32_e64 s0, 0, v0
	v_add_lshl_u32 v1, s15, v0, 2
	s_delay_alu instid0(VALU_DEP_1) | instskip(NEXT) | instid1(VALU_DEP_1)
	v_lshlrev_b64 v[5:6], 2, v[1:2]
	v_add_co_u32 v1, vcc_lo, s4, v5
	s_delay_alu instid0(VALU_DEP_2)
	v_add_co_ci_u32_e32 v2, vcc_lo, s5, v6, vcc_lo
	v_cmp_gt_u32_e32 vcc_lo, 32, v0
	v_add_lshl_u32 v0, v11, v10, 2
	v_and_b32_e32 v10, 15, v8
	global_load_b128 v[1:4], v[1:2], off
	v_bfe_i32 v11, v8, 4, 1
	s_branch .LBB26_2
.LBB26_1:                               ;   in Loop: Header=BB26_2 Depth=1
	s_or_b32 exec_lo, exec_lo, s2
	s_waitcnt lgkmcnt(0)
	v_add_nc_u32_e32 v1, v13, v1
	s_add_i32 s3, s3, -1
	s_delay_alu instid0(SALU_CYCLE_1) | instskip(NEXT) | instid1(VALU_DEP_1)
	s_cmp_lg_u32 s3, 0
	v_add_nc_u32_e32 v2, v1, v2
	s_delay_alu instid0(VALU_DEP_1) | instskip(NEXT) | instid1(VALU_DEP_1)
	v_add_nc_u32_e32 v3, v2, v3
	v_add_nc_u32_e32 v4, v3, v4
	s_cbranch_scc0 .LBB26_6
.LBB26_2:                               ; =>This Inner Loop Header: Depth=1
	s_waitcnt vmcnt(0)
	v_add_nc_u32_e32 v13, v2, v1
	s_delay_alu instid0(VALU_DEP_1)
	v_add3_u32 v13, v13, v3, v4
	ds_store_b32 v7, v13
	s_waitcnt lgkmcnt(0)
	s_barrier
	buffer_gl0_inv
	s_and_saveexec_b32 s4, vcc_lo
	s_cbranch_execz .LBB26_4
; %bb.3:                                ;   in Loop: Header=BB26_2 Depth=1
	ds_load_2addr_b32 v[14:15], v0 offset1:1
	ds_load_2addr_b32 v[16:17], v0 offset0:2 offset1:3
	ds_load_2addr_b32 v[18:19], v0 offset0:4 offset1:5
	;; [unrolled: 1-line block ×3, first 2 shown]
	v_cmp_ne_u32_e64 s2, 0, v10
	s_waitcnt lgkmcnt(3)
	v_add_nc_u32_e32 v22, v15, v14
	s_waitcnt lgkmcnt(2)
	s_delay_alu instid0(VALU_DEP_1) | instskip(SKIP_1) | instid1(VALU_DEP_1)
	v_add3_u32 v22, v22, v16, v17
	s_waitcnt lgkmcnt(1)
	v_add3_u32 v22, v22, v18, v19
	s_waitcnt lgkmcnt(0)
	s_delay_alu instid0(VALU_DEP_1) | instskip(NEXT) | instid1(VALU_DEP_1)
	v_add3_u32 v22, v22, v20, v21
	v_mov_b32_dpp v23, v22 row_shr:1 row_mask:0xf bank_mask:0xf
	s_delay_alu instid0(VALU_DEP_1) | instskip(SKIP_1) | instid1(VALU_DEP_2)
	v_cndmask_b32_e64 v23, 0, v23, s2
	v_cmp_lt_u32_e64 s2, 1, v10
	v_add_nc_u32_e32 v22, v23, v22
	s_delay_alu instid0(VALU_DEP_1) | instskip(NEXT) | instid1(VALU_DEP_1)
	v_mov_b32_dpp v23, v22 row_shr:2 row_mask:0xf bank_mask:0xf
	v_cndmask_b32_e64 v23, 0, v23, s2
	v_cmp_lt_u32_e64 s2, 3, v10
	s_delay_alu instid0(VALU_DEP_2) | instskip(NEXT) | instid1(VALU_DEP_1)
	v_add_nc_u32_e32 v22, v22, v23
	v_mov_b32_dpp v23, v22 row_shr:4 row_mask:0xf bank_mask:0xf
	s_delay_alu instid0(VALU_DEP_1) | instskip(SKIP_1) | instid1(VALU_DEP_2)
	v_cndmask_b32_e64 v23, 0, v23, s2
	v_cmp_lt_u32_e64 s2, 7, v10
	v_add_nc_u32_e32 v22, v22, v23
	s_delay_alu instid0(VALU_DEP_1) | instskip(NEXT) | instid1(VALU_DEP_1)
	v_mov_b32_dpp v23, v22 row_shr:8 row_mask:0xf bank_mask:0xf
	v_cndmask_b32_e64 v23, 0, v23, s2
	v_cmp_gt_i32_e64 s2, 0, v12
	s_delay_alu instid0(VALU_DEP_2) | instskip(NEXT) | instid1(VALU_DEP_2)
	v_add_nc_u32_e32 v22, v22, v23
	v_cndmask_b32_e64 v24, v12, v8, s2
	ds_swizzle_b32 v23, v22 offset:swizzle(BROADCAST,32,15)
	s_waitcnt lgkmcnt(0)
	v_and_b32_e32 v23, v11, v23
	s_delay_alu instid0(VALU_DEP_1) | instskip(SKIP_4) | instid1(VALU_DEP_1)
	v_add_nc_u32_e32 v22, v22, v23
	v_lshlrev_b32_e32 v23, 2, v24
	ds_bpermute_b32 v22, v23, v22
	s_waitcnt lgkmcnt(0)
	v_add_nc_u32_e32 v14, v22, v14
	v_cndmask_b32_e64 v13, v14, v13, s0
	s_delay_alu instid0(VALU_DEP_1) | instskip(NEXT) | instid1(VALU_DEP_1)
	v_add_nc_u32_e32 v14, v13, v15
	v_add_nc_u32_e32 v15, v14, v16
	s_delay_alu instid0(VALU_DEP_1) | instskip(NEXT) | instid1(VALU_DEP_1)
	v_add_nc_u32_e32 v16, v15, v17
	v_add_nc_u32_e32 v17, v16, v18
	;; [unrolled: 3-line block ×3, first 2 shown]
	s_delay_alu instid0(VALU_DEP_1)
	v_add_nc_u32_e32 v20, v19, v21
	ds_store_2addr_b32 v0, v13, v14 offset1:1
	ds_store_2addr_b32 v0, v15, v16 offset0:2 offset1:3
	ds_store_2addr_b32 v0, v17, v18 offset0:4 offset1:5
	;; [unrolled: 1-line block ×3, first 2 shown]
.LBB26_4:                               ;   in Loop: Header=BB26_2 Depth=1
	s_or_b32 exec_lo, exec_lo, s4
	v_mov_b32_e32 v13, 0
	s_waitcnt lgkmcnt(0)
	s_barrier
	buffer_gl0_inv
	s_and_saveexec_b32 s2, s1
	s_cbranch_execz .LBB26_1
; %bb.5:                                ;   in Loop: Header=BB26_2 Depth=1
	ds_load_b32 v13, v9
	s_branch .LBB26_1
.LBB26_6:
	v_add_co_u32 v5, vcc_lo, s6, v5
	v_add_co_ci_u32_e32 v6, vcc_lo, s7, v6, vcc_lo
	global_store_b128 v[5:6], v[1:4], off
	s_nop 0
	s_sendmsg sendmsg(MSG_DEALLOC_VGPRS)
	s_endpgm
	.section	.rodata,"a",@progbits
	.p2align	6, 0x0
	.amdhsa_kernel _Z6kernelI14inclusive_scanILN6hipcub18BlockScanAlgorithmE1EEiLj256ELj4ELj100EEvPKT0_PS4_S4_
		.amdhsa_group_segment_fixed_size 1056
		.amdhsa_private_segment_fixed_size 0
		.amdhsa_kernarg_size 280
		.amdhsa_user_sgpr_count 15
		.amdhsa_user_sgpr_dispatch_ptr 0
		.amdhsa_user_sgpr_queue_ptr 0
		.amdhsa_user_sgpr_kernarg_segment_ptr 1
		.amdhsa_user_sgpr_dispatch_id 0
		.amdhsa_user_sgpr_private_segment_size 0
		.amdhsa_wavefront_size32 1
		.amdhsa_uses_dynamic_stack 0
		.amdhsa_enable_private_segment 0
		.amdhsa_system_sgpr_workgroup_id_x 1
		.amdhsa_system_sgpr_workgroup_id_y 0
		.amdhsa_system_sgpr_workgroup_id_z 0
		.amdhsa_system_sgpr_workgroup_info 0
		.amdhsa_system_vgpr_workitem_id 0
		.amdhsa_next_free_vgpr 25
		.amdhsa_next_free_sgpr 16
		.amdhsa_reserve_vcc 1
		.amdhsa_float_round_mode_32 0
		.amdhsa_float_round_mode_16_64 0
		.amdhsa_float_denorm_mode_32 3
		.amdhsa_float_denorm_mode_16_64 3
		.amdhsa_dx10_clamp 1
		.amdhsa_ieee_mode 1
		.amdhsa_fp16_overflow 0
		.amdhsa_workgroup_processor_mode 1
		.amdhsa_memory_ordered 1
		.amdhsa_forward_progress 0
		.amdhsa_shared_vgpr_count 0
		.amdhsa_exception_fp_ieee_invalid_op 0
		.amdhsa_exception_fp_denorm_src 0
		.amdhsa_exception_fp_ieee_div_zero 0
		.amdhsa_exception_fp_ieee_overflow 0
		.amdhsa_exception_fp_ieee_underflow 0
		.amdhsa_exception_fp_ieee_inexact 0
		.amdhsa_exception_int_div_zero 0
	.end_amdhsa_kernel
	.section	.text._Z6kernelI14inclusive_scanILN6hipcub18BlockScanAlgorithmE1EEiLj256ELj4ELj100EEvPKT0_PS4_S4_,"axG",@progbits,_Z6kernelI14inclusive_scanILN6hipcub18BlockScanAlgorithmE1EEiLj256ELj4ELj100EEvPKT0_PS4_S4_,comdat
.Lfunc_end26:
	.size	_Z6kernelI14inclusive_scanILN6hipcub18BlockScanAlgorithmE1EEiLj256ELj4ELj100EEvPKT0_PS4_S4_, .Lfunc_end26-_Z6kernelI14inclusive_scanILN6hipcub18BlockScanAlgorithmE1EEiLj256ELj4ELj100EEvPKT0_PS4_S4_
                                        ; -- End function
	.section	.AMDGPU.csdata,"",@progbits
; Kernel info:
; codeLenInByte = 720
; NumSgprs: 18
; NumVgprs: 25
; ScratchSize: 0
; MemoryBound: 0
; FloatMode: 240
; IeeeMode: 1
; LDSByteSize: 1056 bytes/workgroup (compile time only)
; SGPRBlocks: 2
; VGPRBlocks: 3
; NumSGPRsForWavesPerEU: 18
; NumVGPRsForWavesPerEU: 25
; Occupancy: 16
; WaveLimiterHint : 0
; COMPUTE_PGM_RSRC2:SCRATCH_EN: 0
; COMPUTE_PGM_RSRC2:USER_SGPR: 15
; COMPUTE_PGM_RSRC2:TRAP_HANDLER: 0
; COMPUTE_PGM_RSRC2:TGID_X_EN: 1
; COMPUTE_PGM_RSRC2:TGID_Y_EN: 0
; COMPUTE_PGM_RSRC2:TGID_Z_EN: 0
; COMPUTE_PGM_RSRC2:TIDIG_COMP_CNT: 0
	.section	.text._Z6kernelI14inclusive_scanILN6hipcub18BlockScanAlgorithmE1EEiLj256ELj8ELj100EEvPKT0_PS4_S4_,"axG",@progbits,_Z6kernelI14inclusive_scanILN6hipcub18BlockScanAlgorithmE1EEiLj256ELj8ELj100EEvPKT0_PS4_S4_,comdat
	.protected	_Z6kernelI14inclusive_scanILN6hipcub18BlockScanAlgorithmE1EEiLj256ELj8ELj100EEvPKT0_PS4_S4_ ; -- Begin function _Z6kernelI14inclusive_scanILN6hipcub18BlockScanAlgorithmE1EEiLj256ELj8ELj100EEvPKT0_PS4_S4_
	.globl	_Z6kernelI14inclusive_scanILN6hipcub18BlockScanAlgorithmE1EEiLj256ELj8ELj100EEvPKT0_PS4_S4_
	.p2align	8
	.type	_Z6kernelI14inclusive_scanILN6hipcub18BlockScanAlgorithmE1EEiLj256ELj8ELj100EEvPKT0_PS4_S4_,@function
_Z6kernelI14inclusive_scanILN6hipcub18BlockScanAlgorithmE1EEiLj256ELj8ELj100EEvPKT0_PS4_S4_: ; @_Z6kernelI14inclusive_scanILN6hipcub18BlockScanAlgorithmE1EEiLj256ELj8ELj100EEvPKT0_PS4_S4_
; %bb.0:
	s_clause 0x1
	s_load_b32 s2, s[0:1], 0x24
	s_load_b128 s[4:7], s[0:1], 0x0
	v_dual_mov_b32 v2, 0 :: v_dual_add_nc_u32 v13, -1, v0
	v_lshrrev_b32_e32 v11, 5, v0
	v_lshlrev_b32_e32 v14, 3, v0
	v_lshrrev_b32_e32 v15, 2, v0
	v_mbcnt_lo_u32_b32 v12, -1, 0
	v_lshrrev_b32_e32 v16, 5, v13
	v_add_lshl_u32 v11, v11, v0, 2
	v_cmp_ne_u32_e64 s1, 0, v0
	s_movk_i32 s3, 0x64
	s_delay_alu instid0(VALU_DEP_3) | instskip(SKIP_3) | instid1(SALU_CYCLE_1)
	v_add_lshl_u32 v13, v16, v13, 2
	v_add_nc_u32_e32 v16, -1, v12
	s_waitcnt lgkmcnt(0)
	s_and_b32 s0, s2, 0xffff
	s_mul_i32 s15, s15, s0
	v_cmp_eq_u32_e64 s0, 0, v0
	v_add_lshl_u32 v1, s15, v0, 3
	s_delay_alu instid0(VALU_DEP_1) | instskip(NEXT) | instid1(VALU_DEP_1)
	v_lshlrev_b64 v[9:10], 2, v[1:2]
	v_add_co_u32 v1, vcc_lo, s4, v9
	s_delay_alu instid0(VALU_DEP_2)
	v_add_co_ci_u32_e32 v2, vcc_lo, s5, v10, vcc_lo
	v_cmp_gt_u32_e32 vcc_lo, 32, v0
	v_add_lshl_u32 v0, v15, v14, 2
	v_and_b32_e32 v14, 15, v12
	s_clause 0x1
	global_load_b128 v[5:8], v[1:2], off
	global_load_b128 v[1:4], v[1:2], off offset:16
	v_bfe_i32 v15, v12, 4, 1
	s_branch .LBB27_2
.LBB27_1:                               ;   in Loop: Header=BB27_2 Depth=1
	s_or_b32 exec_lo, exec_lo, s2
	s_waitcnt lgkmcnt(0)
	v_add_nc_u32_e32 v5, v17, v5
	s_add_i32 s3, s3, -1
	s_delay_alu instid0(SALU_CYCLE_1) | instskip(NEXT) | instid1(VALU_DEP_1)
	s_cmp_lg_u32 s3, 0
	v_add_nc_u32_e32 v6, v5, v6
	s_delay_alu instid0(VALU_DEP_1) | instskip(NEXT) | instid1(VALU_DEP_1)
	v_add_nc_u32_e32 v7, v6, v7
	v_add_nc_u32_e32 v8, v7, v8
	s_delay_alu instid0(VALU_DEP_1) | instskip(NEXT) | instid1(VALU_DEP_1)
	v_add_nc_u32_e32 v1, v8, v1
	;; [unrolled: 3-line block ×3, first 2 shown]
	v_add_nc_u32_e32 v4, v3, v4
	s_cbranch_scc0 .LBB27_6
.LBB27_2:                               ; =>This Inner Loop Header: Depth=1
	s_waitcnt vmcnt(1)
	v_add_nc_u32_e32 v17, v6, v5
	s_delay_alu instid0(VALU_DEP_1) | instskip(SKIP_1) | instid1(VALU_DEP_1)
	v_add3_u32 v17, v17, v7, v8
	s_waitcnt vmcnt(0)
	v_add3_u32 v17, v17, v1, v2
	s_delay_alu instid0(VALU_DEP_1)
	v_add3_u32 v17, v17, v3, v4
	ds_store_b32 v11, v17
	s_waitcnt lgkmcnt(0)
	s_barrier
	buffer_gl0_inv
	s_and_saveexec_b32 s4, vcc_lo
	s_cbranch_execz .LBB27_4
; %bb.3:                                ;   in Loop: Header=BB27_2 Depth=1
	ds_load_2addr_b32 v[18:19], v0 offset1:1
	ds_load_2addr_b32 v[20:21], v0 offset0:2 offset1:3
	ds_load_2addr_b32 v[22:23], v0 offset0:4 offset1:5
	;; [unrolled: 1-line block ×3, first 2 shown]
	v_cmp_ne_u32_e64 s2, 0, v14
	s_waitcnt lgkmcnt(3)
	v_add_nc_u32_e32 v26, v19, v18
	s_waitcnt lgkmcnt(2)
	s_delay_alu instid0(VALU_DEP_1) | instskip(SKIP_1) | instid1(VALU_DEP_1)
	v_add3_u32 v26, v26, v20, v21
	s_waitcnt lgkmcnt(1)
	v_add3_u32 v26, v26, v22, v23
	s_waitcnt lgkmcnt(0)
	s_delay_alu instid0(VALU_DEP_1) | instskip(NEXT) | instid1(VALU_DEP_1)
	v_add3_u32 v26, v26, v24, v25
	v_mov_b32_dpp v27, v26 row_shr:1 row_mask:0xf bank_mask:0xf
	s_delay_alu instid0(VALU_DEP_1) | instskip(SKIP_1) | instid1(VALU_DEP_2)
	v_cndmask_b32_e64 v27, 0, v27, s2
	v_cmp_lt_u32_e64 s2, 1, v14
	v_add_nc_u32_e32 v26, v27, v26
	s_delay_alu instid0(VALU_DEP_1) | instskip(NEXT) | instid1(VALU_DEP_1)
	v_mov_b32_dpp v27, v26 row_shr:2 row_mask:0xf bank_mask:0xf
	v_cndmask_b32_e64 v27, 0, v27, s2
	v_cmp_lt_u32_e64 s2, 3, v14
	s_delay_alu instid0(VALU_DEP_2) | instskip(NEXT) | instid1(VALU_DEP_1)
	v_add_nc_u32_e32 v26, v26, v27
	v_mov_b32_dpp v27, v26 row_shr:4 row_mask:0xf bank_mask:0xf
	s_delay_alu instid0(VALU_DEP_1) | instskip(SKIP_1) | instid1(VALU_DEP_2)
	v_cndmask_b32_e64 v27, 0, v27, s2
	v_cmp_lt_u32_e64 s2, 7, v14
	v_add_nc_u32_e32 v26, v26, v27
	s_delay_alu instid0(VALU_DEP_1) | instskip(NEXT) | instid1(VALU_DEP_1)
	v_mov_b32_dpp v27, v26 row_shr:8 row_mask:0xf bank_mask:0xf
	v_cndmask_b32_e64 v27, 0, v27, s2
	v_cmp_gt_i32_e64 s2, 0, v16
	s_delay_alu instid0(VALU_DEP_2) | instskip(NEXT) | instid1(VALU_DEP_2)
	v_add_nc_u32_e32 v26, v26, v27
	v_cndmask_b32_e64 v28, v16, v12, s2
	ds_swizzle_b32 v27, v26 offset:swizzle(BROADCAST,32,15)
	s_waitcnt lgkmcnt(0)
	v_and_b32_e32 v27, v15, v27
	s_delay_alu instid0(VALU_DEP_1) | instskip(SKIP_4) | instid1(VALU_DEP_1)
	v_add_nc_u32_e32 v26, v26, v27
	v_lshlrev_b32_e32 v27, 2, v28
	ds_bpermute_b32 v26, v27, v26
	s_waitcnt lgkmcnt(0)
	v_add_nc_u32_e32 v18, v26, v18
	v_cndmask_b32_e64 v17, v18, v17, s0
	s_delay_alu instid0(VALU_DEP_1) | instskip(NEXT) | instid1(VALU_DEP_1)
	v_add_nc_u32_e32 v18, v17, v19
	v_add_nc_u32_e32 v19, v18, v20
	s_delay_alu instid0(VALU_DEP_1) | instskip(NEXT) | instid1(VALU_DEP_1)
	v_add_nc_u32_e32 v20, v19, v21
	v_add_nc_u32_e32 v21, v20, v22
	;; [unrolled: 3-line block ×3, first 2 shown]
	s_delay_alu instid0(VALU_DEP_1)
	v_add_nc_u32_e32 v24, v23, v25
	ds_store_2addr_b32 v0, v17, v18 offset1:1
	ds_store_2addr_b32 v0, v19, v20 offset0:2 offset1:3
	ds_store_2addr_b32 v0, v21, v22 offset0:4 offset1:5
	ds_store_2addr_b32 v0, v23, v24 offset0:6 offset1:7
.LBB27_4:                               ;   in Loop: Header=BB27_2 Depth=1
	s_or_b32 exec_lo, exec_lo, s4
	v_mov_b32_e32 v17, 0
	s_waitcnt lgkmcnt(0)
	s_barrier
	buffer_gl0_inv
	s_and_saveexec_b32 s2, s1
	s_cbranch_execz .LBB27_1
; %bb.5:                                ;   in Loop: Header=BB27_2 Depth=1
	ds_load_b32 v17, v13
	s_branch .LBB27_1
.LBB27_6:
	v_add_co_u32 v9, vcc_lo, s6, v9
	v_add_co_ci_u32_e32 v10, vcc_lo, s7, v10, vcc_lo
	s_clause 0x1
	global_store_b128 v[9:10], v[5:8], off
	global_store_b128 v[9:10], v[1:4], off offset:16
	s_nop 0
	s_sendmsg sendmsg(MSG_DEALLOC_VGPRS)
	s_endpgm
	.section	.rodata,"a",@progbits
	.p2align	6, 0x0
	.amdhsa_kernel _Z6kernelI14inclusive_scanILN6hipcub18BlockScanAlgorithmE1EEiLj256ELj8ELj100EEvPKT0_PS4_S4_
		.amdhsa_group_segment_fixed_size 1056
		.amdhsa_private_segment_fixed_size 0
		.amdhsa_kernarg_size 280
		.amdhsa_user_sgpr_count 15
		.amdhsa_user_sgpr_dispatch_ptr 0
		.amdhsa_user_sgpr_queue_ptr 0
		.amdhsa_user_sgpr_kernarg_segment_ptr 1
		.amdhsa_user_sgpr_dispatch_id 0
		.amdhsa_user_sgpr_private_segment_size 0
		.amdhsa_wavefront_size32 1
		.amdhsa_uses_dynamic_stack 0
		.amdhsa_enable_private_segment 0
		.amdhsa_system_sgpr_workgroup_id_x 1
		.amdhsa_system_sgpr_workgroup_id_y 0
		.amdhsa_system_sgpr_workgroup_id_z 0
		.amdhsa_system_sgpr_workgroup_info 0
		.amdhsa_system_vgpr_workitem_id 0
		.amdhsa_next_free_vgpr 29
		.amdhsa_next_free_sgpr 16
		.amdhsa_reserve_vcc 1
		.amdhsa_float_round_mode_32 0
		.amdhsa_float_round_mode_16_64 0
		.amdhsa_float_denorm_mode_32 3
		.amdhsa_float_denorm_mode_16_64 3
		.amdhsa_dx10_clamp 1
		.amdhsa_ieee_mode 1
		.amdhsa_fp16_overflow 0
		.amdhsa_workgroup_processor_mode 1
		.amdhsa_memory_ordered 1
		.amdhsa_forward_progress 0
		.amdhsa_shared_vgpr_count 0
		.amdhsa_exception_fp_ieee_invalid_op 0
		.amdhsa_exception_fp_denorm_src 0
		.amdhsa_exception_fp_ieee_div_zero 0
		.amdhsa_exception_fp_ieee_overflow 0
		.amdhsa_exception_fp_ieee_underflow 0
		.amdhsa_exception_fp_ieee_inexact 0
		.amdhsa_exception_int_div_zero 0
	.end_amdhsa_kernel
	.section	.text._Z6kernelI14inclusive_scanILN6hipcub18BlockScanAlgorithmE1EEiLj256ELj8ELj100EEvPKT0_PS4_S4_,"axG",@progbits,_Z6kernelI14inclusive_scanILN6hipcub18BlockScanAlgorithmE1EEiLj256ELj8ELj100EEvPKT0_PS4_S4_,comdat
.Lfunc_end27:
	.size	_Z6kernelI14inclusive_scanILN6hipcub18BlockScanAlgorithmE1EEiLj256ELj8ELj100EEvPKT0_PS4_S4_, .Lfunc_end27-_Z6kernelI14inclusive_scanILN6hipcub18BlockScanAlgorithmE1EEiLj256ELj8ELj100EEvPKT0_PS4_S4_
                                        ; -- End function
	.section	.AMDGPU.csdata,"",@progbits
; Kernel info:
; codeLenInByte = 792
; NumSgprs: 18
; NumVgprs: 29
; ScratchSize: 0
; MemoryBound: 0
; FloatMode: 240
; IeeeMode: 1
; LDSByteSize: 1056 bytes/workgroup (compile time only)
; SGPRBlocks: 2
; VGPRBlocks: 3
; NumSGPRsForWavesPerEU: 18
; NumVGPRsForWavesPerEU: 29
; Occupancy: 16
; WaveLimiterHint : 0
; COMPUTE_PGM_RSRC2:SCRATCH_EN: 0
; COMPUTE_PGM_RSRC2:USER_SGPR: 15
; COMPUTE_PGM_RSRC2:TRAP_HANDLER: 0
; COMPUTE_PGM_RSRC2:TGID_X_EN: 1
; COMPUTE_PGM_RSRC2:TGID_Y_EN: 0
; COMPUTE_PGM_RSRC2:TGID_Z_EN: 0
; COMPUTE_PGM_RSRC2:TIDIG_COMP_CNT: 0
	.section	.text._Z6kernelI14inclusive_scanILN6hipcub18BlockScanAlgorithmE1EEiLj256ELj11ELj100EEvPKT0_PS4_S4_,"axG",@progbits,_Z6kernelI14inclusive_scanILN6hipcub18BlockScanAlgorithmE1EEiLj256ELj11ELj100EEvPKT0_PS4_S4_,comdat
	.protected	_Z6kernelI14inclusive_scanILN6hipcub18BlockScanAlgorithmE1EEiLj256ELj11ELj100EEvPKT0_PS4_S4_ ; -- Begin function _Z6kernelI14inclusive_scanILN6hipcub18BlockScanAlgorithmE1EEiLj256ELj11ELj100EEvPKT0_PS4_S4_
	.globl	_Z6kernelI14inclusive_scanILN6hipcub18BlockScanAlgorithmE1EEiLj256ELj11ELj100EEvPKT0_PS4_S4_
	.p2align	8
	.type	_Z6kernelI14inclusive_scanILN6hipcub18BlockScanAlgorithmE1EEiLj256ELj11ELj100EEvPKT0_PS4_S4_,@function
_Z6kernelI14inclusive_scanILN6hipcub18BlockScanAlgorithmE1EEiLj256ELj11ELj100EEvPKT0_PS4_S4_: ; @_Z6kernelI14inclusive_scanILN6hipcub18BlockScanAlgorithmE1EEiLj256ELj11ELj100EEvPKT0_PS4_S4_
; %bb.0:
	s_clause 0x1
	s_load_b32 s2, s[0:1], 0x24
	s_load_b128 s[4:7], s[0:1], 0x0
	v_cmp_eq_u32_e64 s0, 0, v0
	v_cmp_ne_u32_e64 s1, 0, v0
	s_movk_i32 s3, 0x64
	s_waitcnt lgkmcnt(0)
	s_and_b32 s2, s2, 0xffff
	s_delay_alu instid0(SALU_CYCLE_1) | instskip(NEXT) | instid1(VALU_DEP_1)
	v_mad_u64_u32 v[1:2], null, s15, s2, v[0:1]
	v_mul_lo_u32 v21, v1, 11
	s_delay_alu instid0(VALU_DEP_1) | instskip(NEXT) | instid1(VALU_DEP_1)
	v_dual_mov_b32 v22, 0 :: v_dual_add_nc_u32 v1, 1, v21
	v_dual_mov_b32 v2, v22 :: v_dual_add_nc_u32 v3, 2, v21
	v_lshlrev_b64 v[15:16], 2, v[21:22]
	v_dual_mov_b32 v4, v22 :: v_dual_add_nc_u32 v5, 3, v21
	s_delay_alu instid0(VALU_DEP_3) | instskip(SKIP_1) | instid1(VALU_DEP_3)
	v_lshlrev_b64 v[17:18], 2, v[1:2]
	v_dual_mov_b32 v6, v22 :: v_dual_add_nc_u32 v7, 4, v21
	v_lshlrev_b64 v[13:14], 2, v[3:4]
	v_add_co_u32 v25, vcc_lo, s4, v15
	v_dual_mov_b32 v8, v22 :: v_dual_add_nc_u32 v11, 5, v21
	v_add_co_ci_u32_e32 v26, vcc_lo, s5, v16, vcc_lo
	v_lshlrev_b64 v[9:10], 2, v[5:6]
	v_add_co_u32 v27, vcc_lo, s4, v17
	v_dual_mov_b32 v12, v22 :: v_dual_add_nc_u32 v19, 6, v21
	v_add_co_ci_u32_e32 v28, vcc_lo, s5, v18, vcc_lo
	;; [unrolled: 4-line block ×4, first 2 shown]
	v_lshlrev_b64 v[1:2], 2, v[19:20]
	v_add_co_u32 v36, vcc_lo, s4, v5
	v_add_co_ci_u32_e32 v37, vcc_lo, s5, v6, vcc_lo
	v_add_co_u32 v38, vcc_lo, s4, v3
	v_lshlrev_b64 v[7:8], 2, v[23:24]
	v_add_nc_u32_e32 v19, 9, v21
	v_add_co_ci_u32_e32 v39, vcc_lo, s5, v4, vcc_lo
	v_add_co_u32 v23, vcc_lo, s4, v1
	v_lshlrev_b64 v[11:12], 2, v[11:12]
	v_add_nc_u32_e32 v21, 10, v21
	v_add_co_ci_u32_e32 v24, vcc_lo, s5, v2, vcc_lo
	v_add_co_u32 v40, vcc_lo, s4, v7
	v_lshlrev_b64 v[19:20], 2, v[19:20]
	v_add_co_ci_u32_e32 v41, vcc_lo, s5, v8, vcc_lo
	v_add_co_u32 v42, vcc_lo, s4, v11
	v_lshlrev_b64 v[21:22], 2, v[21:22]
	v_add_co_ci_u32_e32 v43, vcc_lo, s5, v12, vcc_lo
	v_add_co_u32 v44, vcc_lo, s4, v19
	v_add_co_ci_u32_e32 v45, vcc_lo, s5, v20, vcc_lo
	s_delay_alu instid0(VALU_DEP_4)
	v_add_co_u32 v46, vcc_lo, s4, v21
	v_add_co_ci_u32_e32 v47, vcc_lo, s5, v22, vcc_lo
	s_clause 0xa
	global_load_b32 v33, v[25:26], off
	global_load_b32 v32, v[27:28], off
	;; [unrolled: 1-line block ×11, first 2 shown]
	v_add_nc_u32_e32 v36, -1, v0
	v_lshrrev_b32_e32 v34, 5, v0
	v_lshlrev_b32_e32 v37, 3, v0
	v_lshrrev_b32_e32 v38, 2, v0
	v_mbcnt_lo_u32_b32 v35, -1, 0
	v_lshrrev_b32_e32 v39, 5, v36
	v_add_lshl_u32 v34, v34, v0, 2
	v_cmp_gt_u32_e32 vcc_lo, 32, v0
	v_add_lshl_u32 v0, v38, v37, 2
	v_and_b32_e32 v37, 15, v35
	v_add_lshl_u32 v36, v39, v36, 2
	v_bfe_i32 v38, v35, 4, 1
	v_add_nc_u32_e32 v39, -1, v35
	s_branch .LBB28_2
.LBB28_1:                               ;   in Loop: Header=BB28_2 Depth=1
	s_or_b32 exec_lo, exec_lo, s2
	s_waitcnt lgkmcnt(0)
	v_add_nc_u32_e32 v33, v40, v33
	s_add_i32 s3, s3, -1
	s_delay_alu instid0(SALU_CYCLE_1) | instskip(NEXT) | instid1(VALU_DEP_1)
	s_cmp_lg_u32 s3, 0
	v_add_nc_u32_e32 v32, v33, v32
	s_delay_alu instid0(VALU_DEP_1) | instskip(NEXT) | instid1(VALU_DEP_1)
	v_add_nc_u32_e32 v31, v32, v31
	v_add_nc_u32_e32 v30, v31, v30
	s_delay_alu instid0(VALU_DEP_1) | instskip(NEXT) | instid1(VALU_DEP_1)
	v_add_nc_u32_e32 v29, v30, v29
	;; [unrolled: 3-line block ×4, first 2 shown]
	v_add_nc_u32_e32 v24, v25, v24
	s_delay_alu instid0(VALU_DEP_1)
	v_add_nc_u32_e32 v23, v24, v23
	s_cbranch_scc0 .LBB28_6
.LBB28_2:                               ; =>This Inner Loop Header: Depth=1
	s_waitcnt vmcnt(0)
	s_delay_alu instid0(VALU_DEP_1) | instskip(NEXT) | instid1(VALU_DEP_1)
	v_add3_u32 v40, v24, v23, v25
	v_add3_u32 v40, v40, v26, v27
	s_delay_alu instid0(VALU_DEP_1) | instskip(NEXT) | instid1(VALU_DEP_1)
	v_add3_u32 v40, v40, v28, v29
	v_add3_u32 v40, v40, v30, v31
	s_delay_alu instid0(VALU_DEP_1)
	v_add3_u32 v40, v40, v32, v33
	ds_store_b32 v34, v40
	s_waitcnt lgkmcnt(0)
	s_barrier
	buffer_gl0_inv
	s_and_saveexec_b32 s4, vcc_lo
	s_cbranch_execz .LBB28_4
; %bb.3:                                ;   in Loop: Header=BB28_2 Depth=1
	ds_load_2addr_b32 v[41:42], v0 offset1:1
	ds_load_2addr_b32 v[43:44], v0 offset0:2 offset1:3
	ds_load_2addr_b32 v[45:46], v0 offset0:4 offset1:5
	;; [unrolled: 1-line block ×3, first 2 shown]
	v_cmp_ne_u32_e64 s2, 0, v37
	s_waitcnt lgkmcnt(3)
	v_add_nc_u32_e32 v49, v42, v41
	s_waitcnt lgkmcnt(2)
	s_delay_alu instid0(VALU_DEP_1) | instskip(SKIP_1) | instid1(VALU_DEP_1)
	v_add3_u32 v49, v49, v43, v44
	s_waitcnt lgkmcnt(1)
	v_add3_u32 v49, v49, v45, v46
	s_waitcnt lgkmcnt(0)
	s_delay_alu instid0(VALU_DEP_1) | instskip(NEXT) | instid1(VALU_DEP_1)
	v_add3_u32 v49, v49, v47, v48
	v_mov_b32_dpp v50, v49 row_shr:1 row_mask:0xf bank_mask:0xf
	s_delay_alu instid0(VALU_DEP_1) | instskip(SKIP_1) | instid1(VALU_DEP_2)
	v_cndmask_b32_e64 v50, 0, v50, s2
	v_cmp_lt_u32_e64 s2, 1, v37
	v_add_nc_u32_e32 v49, v50, v49
	s_delay_alu instid0(VALU_DEP_1) | instskip(NEXT) | instid1(VALU_DEP_1)
	v_mov_b32_dpp v50, v49 row_shr:2 row_mask:0xf bank_mask:0xf
	v_cndmask_b32_e64 v50, 0, v50, s2
	v_cmp_lt_u32_e64 s2, 3, v37
	s_delay_alu instid0(VALU_DEP_2) | instskip(NEXT) | instid1(VALU_DEP_1)
	v_add_nc_u32_e32 v49, v49, v50
	v_mov_b32_dpp v50, v49 row_shr:4 row_mask:0xf bank_mask:0xf
	s_delay_alu instid0(VALU_DEP_1) | instskip(SKIP_1) | instid1(VALU_DEP_2)
	v_cndmask_b32_e64 v50, 0, v50, s2
	v_cmp_lt_u32_e64 s2, 7, v37
	v_add_nc_u32_e32 v49, v49, v50
	s_delay_alu instid0(VALU_DEP_1) | instskip(NEXT) | instid1(VALU_DEP_1)
	v_mov_b32_dpp v50, v49 row_shr:8 row_mask:0xf bank_mask:0xf
	v_cndmask_b32_e64 v50, 0, v50, s2
	v_cmp_gt_i32_e64 s2, 0, v39
	s_delay_alu instid0(VALU_DEP_2) | instskip(NEXT) | instid1(VALU_DEP_2)
	v_add_nc_u32_e32 v49, v49, v50
	v_cndmask_b32_e64 v51, v39, v35, s2
	ds_swizzle_b32 v50, v49 offset:swizzle(BROADCAST,32,15)
	s_waitcnt lgkmcnt(0)
	v_and_b32_e32 v50, v38, v50
	s_delay_alu instid0(VALU_DEP_1) | instskip(SKIP_4) | instid1(VALU_DEP_1)
	v_add_nc_u32_e32 v49, v49, v50
	v_lshlrev_b32_e32 v50, 2, v51
	ds_bpermute_b32 v49, v50, v49
	s_waitcnt lgkmcnt(0)
	v_add_nc_u32_e32 v41, v49, v41
	v_cndmask_b32_e64 v40, v41, v40, s0
	s_delay_alu instid0(VALU_DEP_1) | instskip(NEXT) | instid1(VALU_DEP_1)
	v_add_nc_u32_e32 v41, v40, v42
	v_add_nc_u32_e32 v42, v41, v43
	s_delay_alu instid0(VALU_DEP_1) | instskip(NEXT) | instid1(VALU_DEP_1)
	v_add_nc_u32_e32 v43, v42, v44
	v_add_nc_u32_e32 v44, v43, v45
	;; [unrolled: 3-line block ×3, first 2 shown]
	s_delay_alu instid0(VALU_DEP_1)
	v_add_nc_u32_e32 v47, v46, v48
	ds_store_2addr_b32 v0, v40, v41 offset1:1
	ds_store_2addr_b32 v0, v42, v43 offset0:2 offset1:3
	ds_store_2addr_b32 v0, v44, v45 offset0:4 offset1:5
	;; [unrolled: 1-line block ×3, first 2 shown]
.LBB28_4:                               ;   in Loop: Header=BB28_2 Depth=1
	s_or_b32 exec_lo, exec_lo, s4
	v_mov_b32_e32 v40, 0
	s_waitcnt lgkmcnt(0)
	s_barrier
	buffer_gl0_inv
	s_and_saveexec_b32 s2, s1
	s_cbranch_execz .LBB28_1
; %bb.5:                                ;   in Loop: Header=BB28_2 Depth=1
	ds_load_b32 v40, v36
	s_branch .LBB28_1
.LBB28_6:
	v_add_co_u32 v15, vcc_lo, s6, v15
	v_add_co_ci_u32_e32 v16, vcc_lo, s7, v16, vcc_lo
	v_add_co_u32 v17, vcc_lo, s6, v17
	v_add_co_ci_u32_e32 v18, vcc_lo, s7, v18, vcc_lo
	;; [unrolled: 2-line block ×11, first 2 shown]
	s_clause 0xa
	global_store_b32 v[15:16], v33, off
	global_store_b32 v[17:18], v32, off
	;; [unrolled: 1-line block ×11, first 2 shown]
	s_nop 0
	s_sendmsg sendmsg(MSG_DEALLOC_VGPRS)
	s_endpgm
	.section	.rodata,"a",@progbits
	.p2align	6, 0x0
	.amdhsa_kernel _Z6kernelI14inclusive_scanILN6hipcub18BlockScanAlgorithmE1EEiLj256ELj11ELj100EEvPKT0_PS4_S4_
		.amdhsa_group_segment_fixed_size 1056
		.amdhsa_private_segment_fixed_size 0
		.amdhsa_kernarg_size 280
		.amdhsa_user_sgpr_count 15
		.amdhsa_user_sgpr_dispatch_ptr 0
		.amdhsa_user_sgpr_queue_ptr 0
		.amdhsa_user_sgpr_kernarg_segment_ptr 1
		.amdhsa_user_sgpr_dispatch_id 0
		.amdhsa_user_sgpr_private_segment_size 0
		.amdhsa_wavefront_size32 1
		.amdhsa_uses_dynamic_stack 0
		.amdhsa_enable_private_segment 0
		.amdhsa_system_sgpr_workgroup_id_x 1
		.amdhsa_system_sgpr_workgroup_id_y 0
		.amdhsa_system_sgpr_workgroup_id_z 0
		.amdhsa_system_sgpr_workgroup_info 0
		.amdhsa_system_vgpr_workitem_id 0
		.amdhsa_next_free_vgpr 52
		.amdhsa_next_free_sgpr 16
		.amdhsa_reserve_vcc 1
		.amdhsa_float_round_mode_32 0
		.amdhsa_float_round_mode_16_64 0
		.amdhsa_float_denorm_mode_32 3
		.amdhsa_float_denorm_mode_16_64 3
		.amdhsa_dx10_clamp 1
		.amdhsa_ieee_mode 1
		.amdhsa_fp16_overflow 0
		.amdhsa_workgroup_processor_mode 1
		.amdhsa_memory_ordered 1
		.amdhsa_forward_progress 0
		.amdhsa_shared_vgpr_count 0
		.amdhsa_exception_fp_ieee_invalid_op 0
		.amdhsa_exception_fp_denorm_src 0
		.amdhsa_exception_fp_ieee_div_zero 0
		.amdhsa_exception_fp_ieee_overflow 0
		.amdhsa_exception_fp_ieee_underflow 0
		.amdhsa_exception_fp_ieee_inexact 0
		.amdhsa_exception_int_div_zero 0
	.end_amdhsa_kernel
	.section	.text._Z6kernelI14inclusive_scanILN6hipcub18BlockScanAlgorithmE1EEiLj256ELj11ELj100EEvPKT0_PS4_S4_,"axG",@progbits,_Z6kernelI14inclusive_scanILN6hipcub18BlockScanAlgorithmE1EEiLj256ELj11ELj100EEvPKT0_PS4_S4_,comdat
.Lfunc_end28:
	.size	_Z6kernelI14inclusive_scanILN6hipcub18BlockScanAlgorithmE1EEiLj256ELj11ELj100EEvPKT0_PS4_S4_, .Lfunc_end28-_Z6kernelI14inclusive_scanILN6hipcub18BlockScanAlgorithmE1EEiLj256ELj11ELj100EEvPKT0_PS4_S4_
                                        ; -- End function
	.section	.AMDGPU.csdata,"",@progbits
; Kernel info:
; codeLenInByte = 1364
; NumSgprs: 18
; NumVgprs: 52
; ScratchSize: 0
; MemoryBound: 0
; FloatMode: 240
; IeeeMode: 1
; LDSByteSize: 1056 bytes/workgroup (compile time only)
; SGPRBlocks: 2
; VGPRBlocks: 6
; NumSGPRsForWavesPerEU: 18
; NumVGPRsForWavesPerEU: 52
; Occupancy: 16
; WaveLimiterHint : 0
; COMPUTE_PGM_RSRC2:SCRATCH_EN: 0
; COMPUTE_PGM_RSRC2:USER_SGPR: 15
; COMPUTE_PGM_RSRC2:TRAP_HANDLER: 0
; COMPUTE_PGM_RSRC2:TGID_X_EN: 1
; COMPUTE_PGM_RSRC2:TGID_Y_EN: 0
; COMPUTE_PGM_RSRC2:TGID_Z_EN: 0
; COMPUTE_PGM_RSRC2:TIDIG_COMP_CNT: 0
	.section	.text._Z6kernelI14inclusive_scanILN6hipcub18BlockScanAlgorithmE1EEiLj256ELj16ELj100EEvPKT0_PS4_S4_,"axG",@progbits,_Z6kernelI14inclusive_scanILN6hipcub18BlockScanAlgorithmE1EEiLj256ELj16ELj100EEvPKT0_PS4_S4_,comdat
	.protected	_Z6kernelI14inclusive_scanILN6hipcub18BlockScanAlgorithmE1EEiLj256ELj16ELj100EEvPKT0_PS4_S4_ ; -- Begin function _Z6kernelI14inclusive_scanILN6hipcub18BlockScanAlgorithmE1EEiLj256ELj16ELj100EEvPKT0_PS4_S4_
	.globl	_Z6kernelI14inclusive_scanILN6hipcub18BlockScanAlgorithmE1EEiLj256ELj16ELj100EEvPKT0_PS4_S4_
	.p2align	8
	.type	_Z6kernelI14inclusive_scanILN6hipcub18BlockScanAlgorithmE1EEiLj256ELj16ELj100EEvPKT0_PS4_S4_,@function
_Z6kernelI14inclusive_scanILN6hipcub18BlockScanAlgorithmE1EEiLj256ELj16ELj100EEvPKT0_PS4_S4_: ; @_Z6kernelI14inclusive_scanILN6hipcub18BlockScanAlgorithmE1EEiLj256ELj16ELj100EEvPKT0_PS4_S4_
; %bb.0:
	s_clause 0x1
	s_load_b32 s2, s[0:1], 0x24
	s_load_b128 s[4:7], s[0:1], 0x0
	v_dual_mov_b32 v2, 0 :: v_dual_add_nc_u32 v21, -1, v0
	v_lshrrev_b32_e32 v19, 5, v0
	v_lshlrev_b32_e32 v22, 3, v0
	v_lshrrev_b32_e32 v23, 2, v0
	v_mbcnt_lo_u32_b32 v20, -1, 0
	v_lshrrev_b32_e32 v24, 5, v21
	v_add_lshl_u32 v19, v19, v0, 2
	v_cmp_ne_u32_e64 s1, 0, v0
	s_movk_i32 s3, 0x64
	s_delay_alu instid0(VALU_DEP_3) | instskip(SKIP_3) | instid1(SALU_CYCLE_1)
	v_add_lshl_u32 v21, v24, v21, 2
	v_add_nc_u32_e32 v24, -1, v20
	s_waitcnt lgkmcnt(0)
	s_and_b32 s0, s2, 0xffff
	s_mul_i32 s15, s15, s0
	v_cmp_eq_u32_e64 s0, 0, v0
	v_add_lshl_u32 v1, s15, v0, 4
	s_delay_alu instid0(VALU_DEP_1) | instskip(NEXT) | instid1(VALU_DEP_1)
	v_lshlrev_b64 v[17:18], 2, v[1:2]
	v_add_co_u32 v1, vcc_lo, s4, v17
	s_delay_alu instid0(VALU_DEP_2)
	v_add_co_ci_u32_e32 v2, vcc_lo, s5, v18, vcc_lo
	v_cmp_gt_u32_e32 vcc_lo, 32, v0
	v_add_lshl_u32 v0, v23, v22, 2
	v_and_b32_e32 v22, 15, v20
	s_clause 0x3
	global_load_b128 v[13:16], v[1:2], off
	global_load_b128 v[9:12], v[1:2], off offset:16
	global_load_b128 v[5:8], v[1:2], off offset:32
	;; [unrolled: 1-line block ×3, first 2 shown]
	v_bfe_i32 v23, v20, 4, 1
	s_branch .LBB29_2
.LBB29_1:                               ;   in Loop: Header=BB29_2 Depth=1
	s_or_b32 exec_lo, exec_lo, s2
	s_waitcnt lgkmcnt(0)
	v_add_nc_u32_e32 v13, v25, v13
	s_add_i32 s3, s3, -1
	s_delay_alu instid0(SALU_CYCLE_1) | instskip(NEXT) | instid1(VALU_DEP_1)
	s_cmp_lg_u32 s3, 0
	v_add_nc_u32_e32 v14, v13, v14
	s_delay_alu instid0(VALU_DEP_1) | instskip(NEXT) | instid1(VALU_DEP_1)
	v_add_nc_u32_e32 v15, v14, v15
	v_add_nc_u32_e32 v16, v15, v16
	s_delay_alu instid0(VALU_DEP_1) | instskip(NEXT) | instid1(VALU_DEP_1)
	v_add_nc_u32_e32 v9, v16, v9
	;; [unrolled: 3-line block ×7, first 2 shown]
	v_add_nc_u32_e32 v4, v3, v4
	s_cbranch_scc0 .LBB29_6
.LBB29_2:                               ; =>This Inner Loop Header: Depth=1
	s_waitcnt vmcnt(0)
	s_delay_alu instid0(VALU_DEP_1) | instskip(NEXT) | instid1(VALU_DEP_1)
	v_add_nc_u32_e32 v25, v3, v4
	v_add3_u32 v25, v25, v2, v1
	s_delay_alu instid0(VALU_DEP_1) | instskip(NEXT) | instid1(VALU_DEP_1)
	v_add3_u32 v25, v25, v8, v7
	v_add3_u32 v25, v25, v6, v5
	s_delay_alu instid0(VALU_DEP_1) | instskip(NEXT) | instid1(VALU_DEP_1)
	v_add3_u32 v25, v25, v12, v11
	v_add3_u32 v25, v25, v10, v9
	s_delay_alu instid0(VALU_DEP_1) | instskip(NEXT) | instid1(VALU_DEP_1)
	v_add3_u32 v25, v25, v16, v15
	v_add3_u32 v25, v25, v14, v13
	ds_store_b32 v19, v25
	s_waitcnt lgkmcnt(0)
	s_barrier
	buffer_gl0_inv
	s_and_saveexec_b32 s4, vcc_lo
	s_cbranch_execz .LBB29_4
; %bb.3:                                ;   in Loop: Header=BB29_2 Depth=1
	ds_load_2addr_b32 v[26:27], v0 offset1:1
	ds_load_2addr_b32 v[28:29], v0 offset0:2 offset1:3
	ds_load_2addr_b32 v[30:31], v0 offset0:4 offset1:5
	;; [unrolled: 1-line block ×3, first 2 shown]
	v_cmp_ne_u32_e64 s2, 0, v22
	s_waitcnt lgkmcnt(3)
	v_add_nc_u32_e32 v34, v27, v26
	s_waitcnt lgkmcnt(2)
	s_delay_alu instid0(VALU_DEP_1) | instskip(SKIP_1) | instid1(VALU_DEP_1)
	v_add3_u32 v34, v34, v28, v29
	s_waitcnt lgkmcnt(1)
	v_add3_u32 v34, v34, v30, v31
	s_waitcnt lgkmcnt(0)
	s_delay_alu instid0(VALU_DEP_1) | instskip(NEXT) | instid1(VALU_DEP_1)
	v_add3_u32 v34, v34, v32, v33
	v_mov_b32_dpp v35, v34 row_shr:1 row_mask:0xf bank_mask:0xf
	s_delay_alu instid0(VALU_DEP_1) | instskip(SKIP_1) | instid1(VALU_DEP_2)
	v_cndmask_b32_e64 v35, 0, v35, s2
	v_cmp_lt_u32_e64 s2, 1, v22
	v_add_nc_u32_e32 v34, v35, v34
	s_delay_alu instid0(VALU_DEP_1) | instskip(NEXT) | instid1(VALU_DEP_1)
	v_mov_b32_dpp v35, v34 row_shr:2 row_mask:0xf bank_mask:0xf
	v_cndmask_b32_e64 v35, 0, v35, s2
	v_cmp_lt_u32_e64 s2, 3, v22
	s_delay_alu instid0(VALU_DEP_2) | instskip(NEXT) | instid1(VALU_DEP_1)
	v_add_nc_u32_e32 v34, v34, v35
	v_mov_b32_dpp v35, v34 row_shr:4 row_mask:0xf bank_mask:0xf
	s_delay_alu instid0(VALU_DEP_1) | instskip(SKIP_1) | instid1(VALU_DEP_2)
	v_cndmask_b32_e64 v35, 0, v35, s2
	v_cmp_lt_u32_e64 s2, 7, v22
	v_add_nc_u32_e32 v34, v34, v35
	s_delay_alu instid0(VALU_DEP_1) | instskip(NEXT) | instid1(VALU_DEP_1)
	v_mov_b32_dpp v35, v34 row_shr:8 row_mask:0xf bank_mask:0xf
	v_cndmask_b32_e64 v35, 0, v35, s2
	v_cmp_gt_i32_e64 s2, 0, v24
	s_delay_alu instid0(VALU_DEP_2) | instskip(NEXT) | instid1(VALU_DEP_2)
	v_add_nc_u32_e32 v34, v34, v35
	v_cndmask_b32_e64 v36, v24, v20, s2
	ds_swizzle_b32 v35, v34 offset:swizzle(BROADCAST,32,15)
	s_waitcnt lgkmcnt(0)
	v_and_b32_e32 v35, v23, v35
	s_delay_alu instid0(VALU_DEP_1) | instskip(SKIP_4) | instid1(VALU_DEP_1)
	v_add_nc_u32_e32 v34, v34, v35
	v_lshlrev_b32_e32 v35, 2, v36
	ds_bpermute_b32 v34, v35, v34
	s_waitcnt lgkmcnt(0)
	v_add_nc_u32_e32 v26, v34, v26
	v_cndmask_b32_e64 v25, v26, v25, s0
	s_delay_alu instid0(VALU_DEP_1) | instskip(NEXT) | instid1(VALU_DEP_1)
	v_add_nc_u32_e32 v26, v25, v27
	v_add_nc_u32_e32 v27, v26, v28
	s_delay_alu instid0(VALU_DEP_1) | instskip(NEXT) | instid1(VALU_DEP_1)
	v_add_nc_u32_e32 v28, v27, v29
	v_add_nc_u32_e32 v29, v28, v30
	;; [unrolled: 3-line block ×3, first 2 shown]
	s_delay_alu instid0(VALU_DEP_1)
	v_add_nc_u32_e32 v32, v31, v33
	ds_store_2addr_b32 v0, v25, v26 offset1:1
	ds_store_2addr_b32 v0, v27, v28 offset0:2 offset1:3
	ds_store_2addr_b32 v0, v29, v30 offset0:4 offset1:5
	;; [unrolled: 1-line block ×3, first 2 shown]
.LBB29_4:                               ;   in Loop: Header=BB29_2 Depth=1
	s_or_b32 exec_lo, exec_lo, s4
	v_mov_b32_e32 v25, 0
	s_waitcnt lgkmcnt(0)
	s_barrier
	buffer_gl0_inv
	s_and_saveexec_b32 s2, s1
	s_cbranch_execz .LBB29_1
; %bb.5:                                ;   in Loop: Header=BB29_2 Depth=1
	ds_load_b32 v25, v21
	s_branch .LBB29_1
.LBB29_6:
	v_add_co_u32 v17, vcc_lo, s6, v17
	v_add_co_ci_u32_e32 v18, vcc_lo, s7, v18, vcc_lo
	s_clause 0x3
	global_store_b128 v[17:18], v[13:16], off
	global_store_b128 v[17:18], v[9:12], off offset:16
	global_store_b128 v[17:18], v[5:8], off offset:32
	;; [unrolled: 1-line block ×3, first 2 shown]
	s_nop 0
	s_sendmsg sendmsg(MSG_DEALLOC_VGPRS)
	s_endpgm
	.section	.rodata,"a",@progbits
	.p2align	6, 0x0
	.amdhsa_kernel _Z6kernelI14inclusive_scanILN6hipcub18BlockScanAlgorithmE1EEiLj256ELj16ELj100EEvPKT0_PS4_S4_
		.amdhsa_group_segment_fixed_size 1056
		.amdhsa_private_segment_fixed_size 0
		.amdhsa_kernarg_size 280
		.amdhsa_user_sgpr_count 15
		.amdhsa_user_sgpr_dispatch_ptr 0
		.amdhsa_user_sgpr_queue_ptr 0
		.amdhsa_user_sgpr_kernarg_segment_ptr 1
		.amdhsa_user_sgpr_dispatch_id 0
		.amdhsa_user_sgpr_private_segment_size 0
		.amdhsa_wavefront_size32 1
		.amdhsa_uses_dynamic_stack 0
		.amdhsa_enable_private_segment 0
		.amdhsa_system_sgpr_workgroup_id_x 1
		.amdhsa_system_sgpr_workgroup_id_y 0
		.amdhsa_system_sgpr_workgroup_id_z 0
		.amdhsa_system_sgpr_workgroup_info 0
		.amdhsa_system_vgpr_workitem_id 0
		.amdhsa_next_free_vgpr 37
		.amdhsa_next_free_sgpr 16
		.amdhsa_reserve_vcc 1
		.amdhsa_float_round_mode_32 0
		.amdhsa_float_round_mode_16_64 0
		.amdhsa_float_denorm_mode_32 3
		.amdhsa_float_denorm_mode_16_64 3
		.amdhsa_dx10_clamp 1
		.amdhsa_ieee_mode 1
		.amdhsa_fp16_overflow 0
		.amdhsa_workgroup_processor_mode 1
		.amdhsa_memory_ordered 1
		.amdhsa_forward_progress 0
		.amdhsa_shared_vgpr_count 0
		.amdhsa_exception_fp_ieee_invalid_op 0
		.amdhsa_exception_fp_denorm_src 0
		.amdhsa_exception_fp_ieee_div_zero 0
		.amdhsa_exception_fp_ieee_overflow 0
		.amdhsa_exception_fp_ieee_underflow 0
		.amdhsa_exception_fp_ieee_inexact 0
		.amdhsa_exception_int_div_zero 0
	.end_amdhsa_kernel
	.section	.text._Z6kernelI14inclusive_scanILN6hipcub18BlockScanAlgorithmE1EEiLj256ELj16ELj100EEvPKT0_PS4_S4_,"axG",@progbits,_Z6kernelI14inclusive_scanILN6hipcub18BlockScanAlgorithmE1EEiLj256ELj16ELj100EEvPKT0_PS4_S4_,comdat
.Lfunc_end29:
	.size	_Z6kernelI14inclusive_scanILN6hipcub18BlockScanAlgorithmE1EEiLj256ELj16ELj100EEvPKT0_PS4_S4_, .Lfunc_end29-_Z6kernelI14inclusive_scanILN6hipcub18BlockScanAlgorithmE1EEiLj256ELj16ELj100EEvPKT0_PS4_S4_
                                        ; -- End function
	.section	.AMDGPU.csdata,"",@progbits
; Kernel info:
; codeLenInByte = 908
; NumSgprs: 18
; NumVgprs: 37
; ScratchSize: 0
; MemoryBound: 0
; FloatMode: 240
; IeeeMode: 1
; LDSByteSize: 1056 bytes/workgroup (compile time only)
; SGPRBlocks: 2
; VGPRBlocks: 4
; NumSGPRsForWavesPerEU: 18
; NumVGPRsForWavesPerEU: 37
; Occupancy: 16
; WaveLimiterHint : 0
; COMPUTE_PGM_RSRC2:SCRATCH_EN: 0
; COMPUTE_PGM_RSRC2:USER_SGPR: 15
; COMPUTE_PGM_RSRC2:TRAP_HANDLER: 0
; COMPUTE_PGM_RSRC2:TGID_X_EN: 1
; COMPUTE_PGM_RSRC2:TGID_Y_EN: 0
; COMPUTE_PGM_RSRC2:TGID_Z_EN: 0
; COMPUTE_PGM_RSRC2:TIDIG_COMP_CNT: 0
	.section	.text._Z6kernelI14inclusive_scanILN6hipcub18BlockScanAlgorithmE1EEfLj256ELj1ELj100EEvPKT0_PS4_S4_,"axG",@progbits,_Z6kernelI14inclusive_scanILN6hipcub18BlockScanAlgorithmE1EEfLj256ELj1ELj100EEvPKT0_PS4_S4_,comdat
	.protected	_Z6kernelI14inclusive_scanILN6hipcub18BlockScanAlgorithmE1EEfLj256ELj1ELj100EEvPKT0_PS4_S4_ ; -- Begin function _Z6kernelI14inclusive_scanILN6hipcub18BlockScanAlgorithmE1EEfLj256ELj1ELj100EEvPKT0_PS4_S4_
	.globl	_Z6kernelI14inclusive_scanILN6hipcub18BlockScanAlgorithmE1EEfLj256ELj1ELj100EEvPKT0_PS4_S4_
	.p2align	8
	.type	_Z6kernelI14inclusive_scanILN6hipcub18BlockScanAlgorithmE1EEfLj256ELj1ELj100EEvPKT0_PS4_S4_,@function
_Z6kernelI14inclusive_scanILN6hipcub18BlockScanAlgorithmE1EEfLj256ELj1ELj100EEvPKT0_PS4_S4_: ; @_Z6kernelI14inclusive_scanILN6hipcub18BlockScanAlgorithmE1EEfLj256ELj1ELj100EEvPKT0_PS4_S4_
; %bb.0:
	s_clause 0x1
	s_load_b32 s4, s[0:1], 0x24
	s_load_b128 s[0:3], s[0:1], 0x0
	v_lshrrev_b32_e32 v6, 2, v0
	v_lshlrev_b32_e32 v5, 3, v0
	s_delay_alu instid0(VALU_DEP_1) | instskip(SKIP_2) | instid1(SALU_CYCLE_1)
	v_add_lshl_u32 v5, v6, v5, 2
	s_waitcnt lgkmcnt(0)
	s_and_b32 s4, s4, 0xffff
	v_mad_u64_u32 v[1:2], null, s15, s4, v[0:1]
	v_mov_b32_e32 v2, 0
	s_movk_i32 s4, 0x64
	s_delay_alu instid0(VALU_DEP_1) | instskip(NEXT) | instid1(VALU_DEP_1)
	v_lshlrev_b64 v[1:2], 2, v[1:2]
	v_add_co_u32 v3, vcc_lo, s0, v1
	s_delay_alu instid0(VALU_DEP_2)
	v_add_co_ci_u32_e32 v4, vcc_lo, s1, v2, vcc_lo
	v_cmp_gt_u32_e32 vcc_lo, 32, v0
	v_cmp_eq_u32_e64 s0, 0, v0
	global_load_b32 v8, v[3:4], off
	v_lshrrev_b32_e32 v4, 5, v0
	v_mbcnt_lo_u32_b32 v3, -1, 0
	s_delay_alu instid0(VALU_DEP_2) | instskip(NEXT) | instid1(VALU_DEP_2)
	v_add_lshl_u32 v4, v4, v0, 2
	v_and_b32_e32 v0, 15, v3
	v_and_b32_e32 v6, 16, v3
	v_add_nc_u32_e32 v7, -1, v3
	s_branch .LBB30_2
.LBB30_1:                               ;   in Loop: Header=BB30_2 Depth=1
	s_or_b32 exec_lo, exec_lo, s5
	s_waitcnt lgkmcnt(0)
	s_barrier
	buffer_gl0_inv
	ds_load_b32 v8, v4
	s_add_i32 s4, s4, -1
	s_delay_alu instid0(SALU_CYCLE_1)
	s_cmp_lg_u32 s4, 0
	s_cbranch_scc0 .LBB30_4
.LBB30_2:                               ; =>This Inner Loop Header: Depth=1
	s_waitcnt vmcnt(0) lgkmcnt(0)
	ds_store_b32 v4, v8
	s_waitcnt lgkmcnt(0)
	s_barrier
	buffer_gl0_inv
	s_and_saveexec_b32 s5, vcc_lo
	s_cbranch_execz .LBB30_1
; %bb.3:                                ;   in Loop: Header=BB30_2 Depth=1
	ds_load_2addr_b32 v[9:10], v5 offset1:1
	ds_load_2addr_b32 v[11:12], v5 offset0:2 offset1:3
	ds_load_2addr_b32 v[13:14], v5 offset0:4 offset1:5
	;; [unrolled: 1-line block ×3, first 2 shown]
	v_cmp_eq_u32_e64 s1, 0, v0
	s_waitcnt lgkmcnt(3)
	v_add_f32_e32 v17, v9, v10
	s_waitcnt lgkmcnt(2)
	s_delay_alu instid0(VALU_DEP_1) | instskip(NEXT) | instid1(VALU_DEP_1)
	v_add_f32_e32 v17, v17, v11
	v_add_f32_e32 v17, v17, v12
	s_waitcnt lgkmcnt(1)
	s_delay_alu instid0(VALU_DEP_1) | instskip(NEXT) | instid1(VALU_DEP_1)
	v_add_f32_e32 v17, v17, v13
	;; [unrolled: 4-line block ×3, first 2 shown]
	v_add_f32_e32 v17, v17, v16
	s_delay_alu instid0(VALU_DEP_1) | instskip(NEXT) | instid1(VALU_DEP_1)
	v_mov_b32_dpp v18, v17 row_shr:1 row_mask:0xf bank_mask:0xf
	v_add_f32_e32 v18, v17, v18
	s_delay_alu instid0(VALU_DEP_1) | instskip(SKIP_1) | instid1(VALU_DEP_2)
	v_cndmask_b32_e64 v17, v18, v17, s1
	v_cmp_lt_u32_e64 s1, 1, v0
	v_mov_b32_dpp v18, v17 row_shr:2 row_mask:0xf bank_mask:0xf
	s_delay_alu instid0(VALU_DEP_1) | instskip(NEXT) | instid1(VALU_DEP_1)
	v_add_f32_e32 v18, v17, v18
	v_cndmask_b32_e64 v17, v17, v18, s1
	v_cmp_lt_u32_e64 s1, 3, v0
	s_delay_alu instid0(VALU_DEP_2) | instskip(NEXT) | instid1(VALU_DEP_1)
	v_mov_b32_dpp v18, v17 row_shr:4 row_mask:0xf bank_mask:0xf
	v_add_f32_e32 v18, v17, v18
	s_delay_alu instid0(VALU_DEP_1) | instskip(SKIP_1) | instid1(VALU_DEP_2)
	v_cndmask_b32_e64 v17, v17, v18, s1
	v_cmp_lt_u32_e64 s1, 7, v0
	v_mov_b32_dpp v18, v17 row_shr:8 row_mask:0xf bank_mask:0xf
	s_delay_alu instid0(VALU_DEP_1) | instskip(NEXT) | instid1(VALU_DEP_1)
	v_add_f32_e32 v18, v17, v18
	v_cndmask_b32_e64 v17, v17, v18, s1
	v_cmp_gt_i32_e64 s1, 0, v7
	ds_swizzle_b32 v18, v17 offset:swizzle(BROADCAST,32,15)
	v_cndmask_b32_e64 v19, v7, v3, s1
	v_cmp_eq_u32_e64 s1, 0, v6
	s_waitcnt lgkmcnt(0)
	v_add_f32_e32 v18, v17, v18
	s_delay_alu instid0(VALU_DEP_1) | instskip(SKIP_4) | instid1(VALU_DEP_1)
	v_cndmask_b32_e64 v17, v18, v17, s1
	v_lshlrev_b32_e32 v18, 2, v19
	ds_bpermute_b32 v17, v18, v17
	s_waitcnt lgkmcnt(0)
	v_add_f32_e32 v9, v9, v17
	v_cndmask_b32_e64 v8, v9, v8, s0
	s_delay_alu instid0(VALU_DEP_1) | instskip(NEXT) | instid1(VALU_DEP_1)
	v_add_f32_e32 v9, v10, v8
	v_add_f32_e32 v10, v11, v9
	s_delay_alu instid0(VALU_DEP_1) | instskip(NEXT) | instid1(VALU_DEP_1)
	v_add_f32_e32 v11, v12, v10
	v_add_f32_e32 v12, v13, v11
	;; [unrolled: 3-line block ×3, first 2 shown]
	s_delay_alu instid0(VALU_DEP_1)
	v_add_f32_e32 v15, v16, v14
	ds_store_2addr_b32 v5, v8, v9 offset1:1
	ds_store_2addr_b32 v5, v10, v11 offset0:2 offset1:3
	ds_store_2addr_b32 v5, v12, v13 offset0:4 offset1:5
	;; [unrolled: 1-line block ×3, first 2 shown]
	s_branch .LBB30_1
.LBB30_4:
	v_add_co_u32 v0, vcc_lo, s2, v1
	v_add_co_ci_u32_e32 v1, vcc_lo, s3, v2, vcc_lo
	s_waitcnt lgkmcnt(0)
	global_store_b32 v[0:1], v8, off
	s_nop 0
	s_sendmsg sendmsg(MSG_DEALLOC_VGPRS)
	s_endpgm
	.section	.rodata,"a",@progbits
	.p2align	6, 0x0
	.amdhsa_kernel _Z6kernelI14inclusive_scanILN6hipcub18BlockScanAlgorithmE1EEfLj256ELj1ELj100EEvPKT0_PS4_S4_
		.amdhsa_group_segment_fixed_size 1056
		.amdhsa_private_segment_fixed_size 0
		.amdhsa_kernarg_size 280
		.amdhsa_user_sgpr_count 15
		.amdhsa_user_sgpr_dispatch_ptr 0
		.amdhsa_user_sgpr_queue_ptr 0
		.amdhsa_user_sgpr_kernarg_segment_ptr 1
		.amdhsa_user_sgpr_dispatch_id 0
		.amdhsa_user_sgpr_private_segment_size 0
		.amdhsa_wavefront_size32 1
		.amdhsa_uses_dynamic_stack 0
		.amdhsa_enable_private_segment 0
		.amdhsa_system_sgpr_workgroup_id_x 1
		.amdhsa_system_sgpr_workgroup_id_y 0
		.amdhsa_system_sgpr_workgroup_id_z 0
		.amdhsa_system_sgpr_workgroup_info 0
		.amdhsa_system_vgpr_workitem_id 0
		.amdhsa_next_free_vgpr 20
		.amdhsa_next_free_sgpr 16
		.amdhsa_reserve_vcc 1
		.amdhsa_float_round_mode_32 0
		.amdhsa_float_round_mode_16_64 0
		.amdhsa_float_denorm_mode_32 3
		.amdhsa_float_denorm_mode_16_64 3
		.amdhsa_dx10_clamp 1
		.amdhsa_ieee_mode 1
		.amdhsa_fp16_overflow 0
		.amdhsa_workgroup_processor_mode 1
		.amdhsa_memory_ordered 1
		.amdhsa_forward_progress 0
		.amdhsa_shared_vgpr_count 0
		.amdhsa_exception_fp_ieee_invalid_op 0
		.amdhsa_exception_fp_denorm_src 0
		.amdhsa_exception_fp_ieee_div_zero 0
		.amdhsa_exception_fp_ieee_overflow 0
		.amdhsa_exception_fp_ieee_underflow 0
		.amdhsa_exception_fp_ieee_inexact 0
		.amdhsa_exception_int_div_zero 0
	.end_amdhsa_kernel
	.section	.text._Z6kernelI14inclusive_scanILN6hipcub18BlockScanAlgorithmE1EEfLj256ELj1ELj100EEvPKT0_PS4_S4_,"axG",@progbits,_Z6kernelI14inclusive_scanILN6hipcub18BlockScanAlgorithmE1EEfLj256ELj1ELj100EEvPKT0_PS4_S4_,comdat
.Lfunc_end30:
	.size	_Z6kernelI14inclusive_scanILN6hipcub18BlockScanAlgorithmE1EEfLj256ELj1ELj100EEvPKT0_PS4_S4_, .Lfunc_end30-_Z6kernelI14inclusive_scanILN6hipcub18BlockScanAlgorithmE1EEfLj256ELj1ELj100EEvPKT0_PS4_S4_
                                        ; -- End function
	.section	.AMDGPU.csdata,"",@progbits
; Kernel info:
; codeLenInByte = 656
; NumSgprs: 18
; NumVgprs: 20
; ScratchSize: 0
; MemoryBound: 0
; FloatMode: 240
; IeeeMode: 1
; LDSByteSize: 1056 bytes/workgroup (compile time only)
; SGPRBlocks: 2
; VGPRBlocks: 2
; NumSGPRsForWavesPerEU: 18
; NumVGPRsForWavesPerEU: 20
; Occupancy: 16
; WaveLimiterHint : 0
; COMPUTE_PGM_RSRC2:SCRATCH_EN: 0
; COMPUTE_PGM_RSRC2:USER_SGPR: 15
; COMPUTE_PGM_RSRC2:TRAP_HANDLER: 0
; COMPUTE_PGM_RSRC2:TGID_X_EN: 1
; COMPUTE_PGM_RSRC2:TGID_Y_EN: 0
; COMPUTE_PGM_RSRC2:TGID_Z_EN: 0
; COMPUTE_PGM_RSRC2:TIDIG_COMP_CNT: 0
	.section	.text._Z6kernelI14inclusive_scanILN6hipcub18BlockScanAlgorithmE1EEfLj256ELj3ELj100EEvPKT0_PS4_S4_,"axG",@progbits,_Z6kernelI14inclusive_scanILN6hipcub18BlockScanAlgorithmE1EEfLj256ELj3ELj100EEvPKT0_PS4_S4_,comdat
	.protected	_Z6kernelI14inclusive_scanILN6hipcub18BlockScanAlgorithmE1EEfLj256ELj3ELj100EEvPKT0_PS4_S4_ ; -- Begin function _Z6kernelI14inclusive_scanILN6hipcub18BlockScanAlgorithmE1EEfLj256ELj3ELj100EEvPKT0_PS4_S4_
	.globl	_Z6kernelI14inclusive_scanILN6hipcub18BlockScanAlgorithmE1EEfLj256ELj3ELj100EEvPKT0_PS4_S4_
	.p2align	8
	.type	_Z6kernelI14inclusive_scanILN6hipcub18BlockScanAlgorithmE1EEfLj256ELj3ELj100EEvPKT0_PS4_S4_,@function
_Z6kernelI14inclusive_scanILN6hipcub18BlockScanAlgorithmE1EEfLj256ELj3ELj100EEvPKT0_PS4_S4_: ; @_Z6kernelI14inclusive_scanILN6hipcub18BlockScanAlgorithmE1EEfLj256ELj3ELj100EEvPKT0_PS4_S4_
; %bb.0:
	s_clause 0x1
	s_load_b32 s2, s[0:1], 0x24
	s_load_b128 s[4:7], s[0:1], 0x0
	v_lshlrev_b32_e32 v13, 3, v0
	v_lshrrev_b32_e32 v14, 2, v0
	v_cmp_eq_u32_e64 s0, 0, v0
	v_cmp_ne_u32_e64 s1, 0, v0
	s_movk_i32 s3, 0x64
	s_waitcnt lgkmcnt(0)
	s_and_b32 s2, s2, 0xffff
	s_delay_alu instid0(SALU_CYCLE_1) | instskip(NEXT) | instid1(VALU_DEP_1)
	v_mad_u64_u32 v[1:2], null, s15, s2, v[0:1]
	v_lshl_add_u32 v3, v1, 1, v1
	s_delay_alu instid0(VALU_DEP_1) | instskip(NEXT) | instid1(VALU_DEP_1)
	v_dual_mov_b32 v4, 0 :: v_dual_add_nc_u32 v5, 1, v3
	v_mov_b32_e32 v6, v4
	v_lshlrev_b64 v[1:2], 2, v[3:4]
	v_add_nc_u32_e32 v3, 2, v3
	s_delay_alu instid0(VALU_DEP_3) | instskip(NEXT) | instid1(VALU_DEP_2)
	v_lshlrev_b64 v[5:6], 2, v[5:6]
	v_lshlrev_b64 v[3:4], 2, v[3:4]
	s_delay_alu instid0(VALU_DEP_4) | instskip(SKIP_1) | instid1(VALU_DEP_4)
	v_add_co_u32 v7, vcc_lo, s4, v1
	v_add_co_ci_u32_e32 v8, vcc_lo, s5, v2, vcc_lo
	v_add_co_u32 v9, vcc_lo, s4, v5
	v_add_co_ci_u32_e32 v10, vcc_lo, s5, v6, vcc_lo
	v_add_co_u32 v11, vcc_lo, s4, v3
	v_add_co_ci_u32_e32 v12, vcc_lo, s5, v4, vcc_lo
	s_clause 0x2
	global_load_b32 v7, v[7:8], off
	global_load_b32 v8, v[9:10], off
	;; [unrolled: 1-line block ×3, first 2 shown]
	v_add_nc_u32_e32 v12, -1, v0
	v_lshrrev_b32_e32 v10, 5, v0
	v_mbcnt_lo_u32_b32 v11, -1, 0
	v_cmp_gt_u32_e32 vcc_lo, 32, v0
	s_delay_alu instid0(VALU_DEP_4) | instskip(NEXT) | instid1(VALU_DEP_4)
	v_lshrrev_b32_e32 v15, 5, v12
	v_add_lshl_u32 v10, v10, v0, 2
	v_add_lshl_u32 v0, v14, v13, 2
	v_and_b32_e32 v13, 15, v11
	v_and_b32_e32 v14, 16, v11
	v_add_lshl_u32 v12, v15, v12, 2
	v_add_nc_u32_e32 v15, -1, v11
	s_branch .LBB31_2
.LBB31_1:                               ;   in Loop: Header=BB31_2 Depth=1
	s_or_b32 exec_lo, exec_lo, s2
	s_waitcnt lgkmcnt(0)
	v_add_f32_e32 v16, v7, v16
	s_add_i32 s3, s3, -1
	s_delay_alu instid0(SALU_CYCLE_1) | instskip(NEXT) | instid1(VALU_DEP_1)
	s_cmp_lg_u32 s3, 0
	v_cndmask_b32_e64 v7, v16, v7, s0
	s_delay_alu instid0(VALU_DEP_1) | instskip(NEXT) | instid1(VALU_DEP_1)
	v_add_f32_e32 v8, v8, v7
	v_add_f32_e32 v9, v9, v8
	s_cbranch_scc0 .LBB31_6
.LBB31_2:                               ; =>This Inner Loop Header: Depth=1
	s_waitcnt vmcnt(1)
	v_add_f32_e32 v16, v7, v8
	s_waitcnt vmcnt(0)
	s_delay_alu instid0(VALU_DEP_1)
	v_add_f32_e32 v16, v9, v16
	ds_store_b32 v10, v16
	s_waitcnt lgkmcnt(0)
	s_barrier
	buffer_gl0_inv
	s_and_saveexec_b32 s4, vcc_lo
	s_cbranch_execz .LBB31_4
; %bb.3:                                ;   in Loop: Header=BB31_2 Depth=1
	ds_load_2addr_b32 v[17:18], v0 offset1:1
	ds_load_2addr_b32 v[19:20], v0 offset0:2 offset1:3
	ds_load_2addr_b32 v[21:22], v0 offset0:4 offset1:5
	ds_load_2addr_b32 v[23:24], v0 offset0:6 offset1:7
	v_cmp_eq_u32_e64 s2, 0, v13
	s_waitcnt lgkmcnt(3)
	v_add_f32_e32 v25, v17, v18
	s_waitcnt lgkmcnt(2)
	s_delay_alu instid0(VALU_DEP_1) | instskip(NEXT) | instid1(VALU_DEP_1)
	v_add_f32_e32 v25, v25, v19
	v_add_f32_e32 v25, v25, v20
	s_waitcnt lgkmcnt(1)
	s_delay_alu instid0(VALU_DEP_1) | instskip(NEXT) | instid1(VALU_DEP_1)
	v_add_f32_e32 v25, v25, v21
	;; [unrolled: 4-line block ×3, first 2 shown]
	v_add_f32_e32 v25, v25, v24
	s_delay_alu instid0(VALU_DEP_1) | instskip(NEXT) | instid1(VALU_DEP_1)
	v_mov_b32_dpp v26, v25 row_shr:1 row_mask:0xf bank_mask:0xf
	v_add_f32_e32 v26, v25, v26
	s_delay_alu instid0(VALU_DEP_1) | instskip(SKIP_1) | instid1(VALU_DEP_2)
	v_cndmask_b32_e64 v25, v26, v25, s2
	v_cmp_lt_u32_e64 s2, 1, v13
	v_mov_b32_dpp v26, v25 row_shr:2 row_mask:0xf bank_mask:0xf
	s_delay_alu instid0(VALU_DEP_1) | instskip(NEXT) | instid1(VALU_DEP_1)
	v_add_f32_e32 v26, v25, v26
	v_cndmask_b32_e64 v25, v25, v26, s2
	v_cmp_lt_u32_e64 s2, 3, v13
	s_delay_alu instid0(VALU_DEP_2) | instskip(NEXT) | instid1(VALU_DEP_1)
	v_mov_b32_dpp v26, v25 row_shr:4 row_mask:0xf bank_mask:0xf
	v_add_f32_e32 v26, v25, v26
	s_delay_alu instid0(VALU_DEP_1) | instskip(SKIP_1) | instid1(VALU_DEP_2)
	v_cndmask_b32_e64 v25, v25, v26, s2
	v_cmp_lt_u32_e64 s2, 7, v13
	v_mov_b32_dpp v26, v25 row_shr:8 row_mask:0xf bank_mask:0xf
	s_delay_alu instid0(VALU_DEP_1) | instskip(NEXT) | instid1(VALU_DEP_1)
	v_add_f32_e32 v26, v25, v26
	v_cndmask_b32_e64 v25, v25, v26, s2
	v_cmp_gt_i32_e64 s2, 0, v15
	ds_swizzle_b32 v26, v25 offset:swizzle(BROADCAST,32,15)
	v_cndmask_b32_e64 v27, v15, v11, s2
	v_cmp_eq_u32_e64 s2, 0, v14
	s_waitcnt lgkmcnt(0)
	v_add_f32_e32 v26, v25, v26
	s_delay_alu instid0(VALU_DEP_1) | instskip(SKIP_4) | instid1(VALU_DEP_1)
	v_cndmask_b32_e64 v25, v26, v25, s2
	v_lshlrev_b32_e32 v26, 2, v27
	ds_bpermute_b32 v25, v26, v25
	s_waitcnt lgkmcnt(0)
	v_add_f32_e32 v17, v17, v25
	v_cndmask_b32_e64 v17, v17, v16, s0
	s_delay_alu instid0(VALU_DEP_1) | instskip(NEXT) | instid1(VALU_DEP_1)
	v_add_f32_e32 v18, v18, v17
	v_add_f32_e32 v19, v19, v18
	s_delay_alu instid0(VALU_DEP_1) | instskip(NEXT) | instid1(VALU_DEP_1)
	v_add_f32_e32 v20, v20, v19
	v_add_f32_e32 v21, v21, v20
	;; [unrolled: 3-line block ×3, first 2 shown]
	s_delay_alu instid0(VALU_DEP_1)
	v_add_f32_e32 v24, v24, v23
	ds_store_2addr_b32 v0, v17, v18 offset1:1
	ds_store_2addr_b32 v0, v19, v20 offset0:2 offset1:3
	ds_store_2addr_b32 v0, v21, v22 offset0:4 offset1:5
	;; [unrolled: 1-line block ×3, first 2 shown]
.LBB31_4:                               ;   in Loop: Header=BB31_2 Depth=1
	s_or_b32 exec_lo, exec_lo, s4
	s_waitcnt lgkmcnt(0)
	s_barrier
	buffer_gl0_inv
	s_and_saveexec_b32 s2, s1
	s_cbranch_execz .LBB31_1
; %bb.5:                                ;   in Loop: Header=BB31_2 Depth=1
	ds_load_b32 v16, v12
	s_branch .LBB31_1
.LBB31_6:
	v_add_co_u32 v0, vcc_lo, s6, v1
	v_add_co_ci_u32_e32 v1, vcc_lo, s7, v2, vcc_lo
	v_add_co_u32 v5, vcc_lo, s6, v5
	v_add_co_ci_u32_e32 v6, vcc_lo, s7, v6, vcc_lo
	;; [unrolled: 2-line block ×3, first 2 shown]
	s_clause 0x2
	global_store_b32 v[0:1], v7, off
	global_store_b32 v[5:6], v8, off
	;; [unrolled: 1-line block ×3, first 2 shown]
	s_nop 0
	s_sendmsg sendmsg(MSG_DEALLOC_VGPRS)
	s_endpgm
	.section	.rodata,"a",@progbits
	.p2align	6, 0x0
	.amdhsa_kernel _Z6kernelI14inclusive_scanILN6hipcub18BlockScanAlgorithmE1EEfLj256ELj3ELj100EEvPKT0_PS4_S4_
		.amdhsa_group_segment_fixed_size 1056
		.amdhsa_private_segment_fixed_size 0
		.amdhsa_kernarg_size 280
		.amdhsa_user_sgpr_count 15
		.amdhsa_user_sgpr_dispatch_ptr 0
		.amdhsa_user_sgpr_queue_ptr 0
		.amdhsa_user_sgpr_kernarg_segment_ptr 1
		.amdhsa_user_sgpr_dispatch_id 0
		.amdhsa_user_sgpr_private_segment_size 0
		.amdhsa_wavefront_size32 1
		.amdhsa_uses_dynamic_stack 0
		.amdhsa_enable_private_segment 0
		.amdhsa_system_sgpr_workgroup_id_x 1
		.amdhsa_system_sgpr_workgroup_id_y 0
		.amdhsa_system_sgpr_workgroup_id_z 0
		.amdhsa_system_sgpr_workgroup_info 0
		.amdhsa_system_vgpr_workitem_id 0
		.amdhsa_next_free_vgpr 28
		.amdhsa_next_free_sgpr 16
		.amdhsa_reserve_vcc 1
		.amdhsa_float_round_mode_32 0
		.amdhsa_float_round_mode_16_64 0
		.amdhsa_float_denorm_mode_32 3
		.amdhsa_float_denorm_mode_16_64 3
		.amdhsa_dx10_clamp 1
		.amdhsa_ieee_mode 1
		.amdhsa_fp16_overflow 0
		.amdhsa_workgroup_processor_mode 1
		.amdhsa_memory_ordered 1
		.amdhsa_forward_progress 0
		.amdhsa_shared_vgpr_count 0
		.amdhsa_exception_fp_ieee_invalid_op 0
		.amdhsa_exception_fp_denorm_src 0
		.amdhsa_exception_fp_ieee_div_zero 0
		.amdhsa_exception_fp_ieee_overflow 0
		.amdhsa_exception_fp_ieee_underflow 0
		.amdhsa_exception_fp_ieee_inexact 0
		.amdhsa_exception_int_div_zero 0
	.end_amdhsa_kernel
	.section	.text._Z6kernelI14inclusive_scanILN6hipcub18BlockScanAlgorithmE1EEfLj256ELj3ELj100EEvPKT0_PS4_S4_,"axG",@progbits,_Z6kernelI14inclusive_scanILN6hipcub18BlockScanAlgorithmE1EEfLj256ELj3ELj100EEvPKT0_PS4_S4_,comdat
.Lfunc_end31:
	.size	_Z6kernelI14inclusive_scanILN6hipcub18BlockScanAlgorithmE1EEfLj256ELj3ELj100EEvPKT0_PS4_S4_, .Lfunc_end31-_Z6kernelI14inclusive_scanILN6hipcub18BlockScanAlgorithmE1EEfLj256ELj3ELj100EEvPKT0_PS4_S4_
                                        ; -- End function
	.section	.AMDGPU.csdata,"",@progbits
; Kernel info:
; codeLenInByte = 860
; NumSgprs: 18
; NumVgprs: 28
; ScratchSize: 0
; MemoryBound: 0
; FloatMode: 240
; IeeeMode: 1
; LDSByteSize: 1056 bytes/workgroup (compile time only)
; SGPRBlocks: 2
; VGPRBlocks: 3
; NumSGPRsForWavesPerEU: 18
; NumVGPRsForWavesPerEU: 28
; Occupancy: 16
; WaveLimiterHint : 0
; COMPUTE_PGM_RSRC2:SCRATCH_EN: 0
; COMPUTE_PGM_RSRC2:USER_SGPR: 15
; COMPUTE_PGM_RSRC2:TRAP_HANDLER: 0
; COMPUTE_PGM_RSRC2:TGID_X_EN: 1
; COMPUTE_PGM_RSRC2:TGID_Y_EN: 0
; COMPUTE_PGM_RSRC2:TGID_Z_EN: 0
; COMPUTE_PGM_RSRC2:TIDIG_COMP_CNT: 0
	.section	.text._Z6kernelI14inclusive_scanILN6hipcub18BlockScanAlgorithmE1EEfLj256ELj4ELj100EEvPKT0_PS4_S4_,"axG",@progbits,_Z6kernelI14inclusive_scanILN6hipcub18BlockScanAlgorithmE1EEfLj256ELj4ELj100EEvPKT0_PS4_S4_,comdat
	.protected	_Z6kernelI14inclusive_scanILN6hipcub18BlockScanAlgorithmE1EEfLj256ELj4ELj100EEvPKT0_PS4_S4_ ; -- Begin function _Z6kernelI14inclusive_scanILN6hipcub18BlockScanAlgorithmE1EEfLj256ELj4ELj100EEvPKT0_PS4_S4_
	.globl	_Z6kernelI14inclusive_scanILN6hipcub18BlockScanAlgorithmE1EEfLj256ELj4ELj100EEvPKT0_PS4_S4_
	.p2align	8
	.type	_Z6kernelI14inclusive_scanILN6hipcub18BlockScanAlgorithmE1EEfLj256ELj4ELj100EEvPKT0_PS4_S4_,@function
_Z6kernelI14inclusive_scanILN6hipcub18BlockScanAlgorithmE1EEfLj256ELj4ELj100EEvPKT0_PS4_S4_: ; @_Z6kernelI14inclusive_scanILN6hipcub18BlockScanAlgorithmE1EEfLj256ELj4ELj100EEvPKT0_PS4_S4_
; %bb.0:
	s_clause 0x1
	s_load_b32 s2, s[0:1], 0x24
	s_load_b128 s[4:7], s[0:1], 0x0
	v_dual_mov_b32 v2, 0 :: v_dual_add_nc_u32 v9, -1, v0
	v_lshrrev_b32_e32 v7, 5, v0
	v_lshlrev_b32_e32 v10, 3, v0
	v_lshrrev_b32_e32 v11, 2, v0
	v_mbcnt_lo_u32_b32 v8, -1, 0
	v_lshrrev_b32_e32 v12, 5, v9
	v_add_lshl_u32 v7, v7, v0, 2
	v_cmp_ne_u32_e64 s1, 0, v0
	s_movk_i32 s3, 0x64
	s_delay_alu instid0(VALU_DEP_3) | instskip(SKIP_3) | instid1(SALU_CYCLE_1)
	v_add_lshl_u32 v9, v12, v9, 2
	v_add_nc_u32_e32 v12, -1, v8
	s_waitcnt lgkmcnt(0)
	s_and_b32 s0, s2, 0xffff
	s_mul_i32 s15, s15, s0
	v_cmp_eq_u32_e64 s0, 0, v0
	v_add_lshl_u32 v1, s15, v0, 2
	s_delay_alu instid0(VALU_DEP_1) | instskip(NEXT) | instid1(VALU_DEP_1)
	v_lshlrev_b64 v[5:6], 2, v[1:2]
	v_add_co_u32 v1, vcc_lo, s4, v5
	s_delay_alu instid0(VALU_DEP_2)
	v_add_co_ci_u32_e32 v2, vcc_lo, s5, v6, vcc_lo
	v_cmp_gt_u32_e32 vcc_lo, 32, v0
	v_add_lshl_u32 v0, v11, v10, 2
	v_and_b32_e32 v10, 15, v8
	global_load_b128 v[1:4], v[1:2], off
	v_and_b32_e32 v11, 16, v8
	s_branch .LBB32_2
.LBB32_1:                               ;   in Loop: Header=BB32_2 Depth=1
	s_or_b32 exec_lo, exec_lo, s2
	s_waitcnt lgkmcnt(0)
	v_add_f32_e32 v13, v1, v13
	s_add_i32 s3, s3, -1
	s_delay_alu instid0(SALU_CYCLE_1) | instskip(NEXT) | instid1(VALU_DEP_1)
	s_cmp_lg_u32 s3, 0
	v_cndmask_b32_e64 v1, v13, v1, s0
	s_delay_alu instid0(VALU_DEP_1) | instskip(NEXT) | instid1(VALU_DEP_1)
	v_add_f32_e32 v2, v2, v1
	v_add_f32_e32 v3, v3, v2
	s_delay_alu instid0(VALU_DEP_1)
	v_add_f32_e32 v4, v4, v3
	s_cbranch_scc0 .LBB32_6
.LBB32_2:                               ; =>This Inner Loop Header: Depth=1
	s_waitcnt vmcnt(0)
	v_add_f32_e32 v13, v1, v2
	s_delay_alu instid0(VALU_DEP_1) | instskip(NEXT) | instid1(VALU_DEP_1)
	v_add_f32_e32 v13, v3, v13
	v_add_f32_e32 v13, v4, v13
	ds_store_b32 v7, v13
	s_waitcnt lgkmcnt(0)
	s_barrier
	buffer_gl0_inv
	s_and_saveexec_b32 s4, vcc_lo
	s_cbranch_execz .LBB32_4
; %bb.3:                                ;   in Loop: Header=BB32_2 Depth=1
	ds_load_2addr_b32 v[14:15], v0 offset1:1
	ds_load_2addr_b32 v[16:17], v0 offset0:2 offset1:3
	ds_load_2addr_b32 v[18:19], v0 offset0:4 offset1:5
	;; [unrolled: 1-line block ×3, first 2 shown]
	v_cmp_eq_u32_e64 s2, 0, v10
	s_waitcnt lgkmcnt(3)
	v_add_f32_e32 v22, v14, v15
	s_waitcnt lgkmcnt(2)
	s_delay_alu instid0(VALU_DEP_1) | instskip(NEXT) | instid1(VALU_DEP_1)
	v_add_f32_e32 v22, v22, v16
	v_add_f32_e32 v22, v22, v17
	s_waitcnt lgkmcnt(1)
	s_delay_alu instid0(VALU_DEP_1) | instskip(NEXT) | instid1(VALU_DEP_1)
	v_add_f32_e32 v22, v22, v18
	;; [unrolled: 4-line block ×3, first 2 shown]
	v_add_f32_e32 v22, v22, v21
	s_delay_alu instid0(VALU_DEP_1) | instskip(NEXT) | instid1(VALU_DEP_1)
	v_mov_b32_dpp v23, v22 row_shr:1 row_mask:0xf bank_mask:0xf
	v_add_f32_e32 v23, v22, v23
	s_delay_alu instid0(VALU_DEP_1) | instskip(SKIP_1) | instid1(VALU_DEP_2)
	v_cndmask_b32_e64 v22, v23, v22, s2
	v_cmp_lt_u32_e64 s2, 1, v10
	v_mov_b32_dpp v23, v22 row_shr:2 row_mask:0xf bank_mask:0xf
	s_delay_alu instid0(VALU_DEP_1) | instskip(NEXT) | instid1(VALU_DEP_1)
	v_add_f32_e32 v23, v22, v23
	v_cndmask_b32_e64 v22, v22, v23, s2
	v_cmp_lt_u32_e64 s2, 3, v10
	s_delay_alu instid0(VALU_DEP_2) | instskip(NEXT) | instid1(VALU_DEP_1)
	v_mov_b32_dpp v23, v22 row_shr:4 row_mask:0xf bank_mask:0xf
	v_add_f32_e32 v23, v22, v23
	s_delay_alu instid0(VALU_DEP_1) | instskip(SKIP_1) | instid1(VALU_DEP_2)
	v_cndmask_b32_e64 v22, v22, v23, s2
	v_cmp_lt_u32_e64 s2, 7, v10
	v_mov_b32_dpp v23, v22 row_shr:8 row_mask:0xf bank_mask:0xf
	s_delay_alu instid0(VALU_DEP_1) | instskip(NEXT) | instid1(VALU_DEP_1)
	v_add_f32_e32 v23, v22, v23
	v_cndmask_b32_e64 v22, v22, v23, s2
	v_cmp_gt_i32_e64 s2, 0, v12
	ds_swizzle_b32 v23, v22 offset:swizzle(BROADCAST,32,15)
	v_cndmask_b32_e64 v24, v12, v8, s2
	v_cmp_eq_u32_e64 s2, 0, v11
	s_waitcnt lgkmcnt(0)
	v_add_f32_e32 v23, v22, v23
	s_delay_alu instid0(VALU_DEP_1) | instskip(SKIP_4) | instid1(VALU_DEP_1)
	v_cndmask_b32_e64 v22, v23, v22, s2
	v_lshlrev_b32_e32 v23, 2, v24
	ds_bpermute_b32 v22, v23, v22
	s_waitcnt lgkmcnt(0)
	v_add_f32_e32 v14, v14, v22
	v_cndmask_b32_e64 v14, v14, v13, s0
	s_delay_alu instid0(VALU_DEP_1) | instskip(NEXT) | instid1(VALU_DEP_1)
	v_add_f32_e32 v15, v15, v14
	v_add_f32_e32 v16, v16, v15
	s_delay_alu instid0(VALU_DEP_1) | instskip(NEXT) | instid1(VALU_DEP_1)
	v_add_f32_e32 v17, v17, v16
	v_add_f32_e32 v18, v18, v17
	;; [unrolled: 3-line block ×3, first 2 shown]
	s_delay_alu instid0(VALU_DEP_1)
	v_add_f32_e32 v21, v21, v20
	ds_store_2addr_b32 v0, v14, v15 offset1:1
	ds_store_2addr_b32 v0, v16, v17 offset0:2 offset1:3
	ds_store_2addr_b32 v0, v18, v19 offset0:4 offset1:5
	;; [unrolled: 1-line block ×3, first 2 shown]
.LBB32_4:                               ;   in Loop: Header=BB32_2 Depth=1
	s_or_b32 exec_lo, exec_lo, s4
	s_waitcnt lgkmcnt(0)
	s_barrier
	buffer_gl0_inv
	s_and_saveexec_b32 s2, s1
	s_cbranch_execz .LBB32_1
; %bb.5:                                ;   in Loop: Header=BB32_2 Depth=1
	ds_load_b32 v13, v9
	s_branch .LBB32_1
.LBB32_6:
	v_add_co_u32 v5, vcc_lo, s6, v5
	v_add_co_ci_u32_e32 v6, vcc_lo, s7, v6, vcc_lo
	global_store_b128 v[5:6], v[1:4], off
	s_nop 0
	s_sendmsg sendmsg(MSG_DEALLOC_VGPRS)
	s_endpgm
	.section	.rodata,"a",@progbits
	.p2align	6, 0x0
	.amdhsa_kernel _Z6kernelI14inclusive_scanILN6hipcub18BlockScanAlgorithmE1EEfLj256ELj4ELj100EEvPKT0_PS4_S4_
		.amdhsa_group_segment_fixed_size 1056
		.amdhsa_private_segment_fixed_size 0
		.amdhsa_kernarg_size 280
		.amdhsa_user_sgpr_count 15
		.amdhsa_user_sgpr_dispatch_ptr 0
		.amdhsa_user_sgpr_queue_ptr 0
		.amdhsa_user_sgpr_kernarg_segment_ptr 1
		.amdhsa_user_sgpr_dispatch_id 0
		.amdhsa_user_sgpr_private_segment_size 0
		.amdhsa_wavefront_size32 1
		.amdhsa_uses_dynamic_stack 0
		.amdhsa_enable_private_segment 0
		.amdhsa_system_sgpr_workgroup_id_x 1
		.amdhsa_system_sgpr_workgroup_id_y 0
		.amdhsa_system_sgpr_workgroup_id_z 0
		.amdhsa_system_sgpr_workgroup_info 0
		.amdhsa_system_vgpr_workitem_id 0
		.amdhsa_next_free_vgpr 25
		.amdhsa_next_free_sgpr 16
		.amdhsa_reserve_vcc 1
		.amdhsa_float_round_mode_32 0
		.amdhsa_float_round_mode_16_64 0
		.amdhsa_float_denorm_mode_32 3
		.amdhsa_float_denorm_mode_16_64 3
		.amdhsa_dx10_clamp 1
		.amdhsa_ieee_mode 1
		.amdhsa_fp16_overflow 0
		.amdhsa_workgroup_processor_mode 1
		.amdhsa_memory_ordered 1
		.amdhsa_forward_progress 0
		.amdhsa_shared_vgpr_count 0
		.amdhsa_exception_fp_ieee_invalid_op 0
		.amdhsa_exception_fp_denorm_src 0
		.amdhsa_exception_fp_ieee_div_zero 0
		.amdhsa_exception_fp_ieee_overflow 0
		.amdhsa_exception_fp_ieee_underflow 0
		.amdhsa_exception_fp_ieee_inexact 0
		.amdhsa_exception_int_div_zero 0
	.end_amdhsa_kernel
	.section	.text._Z6kernelI14inclusive_scanILN6hipcub18BlockScanAlgorithmE1EEfLj256ELj4ELj100EEvPKT0_PS4_S4_,"axG",@progbits,_Z6kernelI14inclusive_scanILN6hipcub18BlockScanAlgorithmE1EEfLj256ELj4ELj100EEvPKT0_PS4_S4_,comdat
.Lfunc_end32:
	.size	_Z6kernelI14inclusive_scanILN6hipcub18BlockScanAlgorithmE1EEfLj256ELj4ELj100EEvPKT0_PS4_S4_, .Lfunc_end32-_Z6kernelI14inclusive_scanILN6hipcub18BlockScanAlgorithmE1EEfLj256ELj4ELj100EEvPKT0_PS4_S4_
                                        ; -- End function
	.section	.AMDGPU.csdata,"",@progbits
; Kernel info:
; codeLenInByte = 740
; NumSgprs: 18
; NumVgprs: 25
; ScratchSize: 0
; MemoryBound: 0
; FloatMode: 240
; IeeeMode: 1
; LDSByteSize: 1056 bytes/workgroup (compile time only)
; SGPRBlocks: 2
; VGPRBlocks: 3
; NumSGPRsForWavesPerEU: 18
; NumVGPRsForWavesPerEU: 25
; Occupancy: 16
; WaveLimiterHint : 0
; COMPUTE_PGM_RSRC2:SCRATCH_EN: 0
; COMPUTE_PGM_RSRC2:USER_SGPR: 15
; COMPUTE_PGM_RSRC2:TRAP_HANDLER: 0
; COMPUTE_PGM_RSRC2:TGID_X_EN: 1
; COMPUTE_PGM_RSRC2:TGID_Y_EN: 0
; COMPUTE_PGM_RSRC2:TGID_Z_EN: 0
; COMPUTE_PGM_RSRC2:TIDIG_COMP_CNT: 0
	.section	.text._Z6kernelI14inclusive_scanILN6hipcub18BlockScanAlgorithmE1EEfLj256ELj8ELj100EEvPKT0_PS4_S4_,"axG",@progbits,_Z6kernelI14inclusive_scanILN6hipcub18BlockScanAlgorithmE1EEfLj256ELj8ELj100EEvPKT0_PS4_S4_,comdat
	.protected	_Z6kernelI14inclusive_scanILN6hipcub18BlockScanAlgorithmE1EEfLj256ELj8ELj100EEvPKT0_PS4_S4_ ; -- Begin function _Z6kernelI14inclusive_scanILN6hipcub18BlockScanAlgorithmE1EEfLj256ELj8ELj100EEvPKT0_PS4_S4_
	.globl	_Z6kernelI14inclusive_scanILN6hipcub18BlockScanAlgorithmE1EEfLj256ELj8ELj100EEvPKT0_PS4_S4_
	.p2align	8
	.type	_Z6kernelI14inclusive_scanILN6hipcub18BlockScanAlgorithmE1EEfLj256ELj8ELj100EEvPKT0_PS4_S4_,@function
_Z6kernelI14inclusive_scanILN6hipcub18BlockScanAlgorithmE1EEfLj256ELj8ELj100EEvPKT0_PS4_S4_: ; @_Z6kernelI14inclusive_scanILN6hipcub18BlockScanAlgorithmE1EEfLj256ELj8ELj100EEvPKT0_PS4_S4_
; %bb.0:
	s_clause 0x1
	s_load_b32 s2, s[0:1], 0x24
	s_load_b128 s[4:7], s[0:1], 0x0
	v_dual_mov_b32 v2, 0 :: v_dual_add_nc_u32 v13, -1, v0
	v_lshrrev_b32_e32 v11, 5, v0
	v_lshlrev_b32_e32 v14, 3, v0
	v_lshrrev_b32_e32 v15, 2, v0
	v_mbcnt_lo_u32_b32 v12, -1, 0
	v_lshrrev_b32_e32 v16, 5, v13
	v_add_lshl_u32 v11, v11, v0, 2
	v_cmp_ne_u32_e64 s1, 0, v0
	s_movk_i32 s3, 0x64
	s_delay_alu instid0(VALU_DEP_3) | instskip(SKIP_3) | instid1(SALU_CYCLE_1)
	v_add_lshl_u32 v13, v16, v13, 2
	v_add_nc_u32_e32 v16, -1, v12
	s_waitcnt lgkmcnt(0)
	s_and_b32 s0, s2, 0xffff
	s_mul_i32 s15, s15, s0
	v_cmp_eq_u32_e64 s0, 0, v0
	v_add_lshl_u32 v1, s15, v0, 3
	s_delay_alu instid0(VALU_DEP_1) | instskip(NEXT) | instid1(VALU_DEP_1)
	v_lshlrev_b64 v[9:10], 2, v[1:2]
	v_add_co_u32 v1, vcc_lo, s4, v9
	s_delay_alu instid0(VALU_DEP_2)
	v_add_co_ci_u32_e32 v2, vcc_lo, s5, v10, vcc_lo
	v_cmp_gt_u32_e32 vcc_lo, 32, v0
	v_add_lshl_u32 v0, v15, v14, 2
	v_and_b32_e32 v14, 15, v12
	s_clause 0x1
	global_load_b128 v[5:8], v[1:2], off
	global_load_b128 v[1:4], v[1:2], off offset:16
	v_and_b32_e32 v15, 16, v12
	s_branch .LBB33_2
.LBB33_1:                               ;   in Loop: Header=BB33_2 Depth=1
	s_or_b32 exec_lo, exec_lo, s2
	s_waitcnt lgkmcnt(0)
	v_add_f32_e32 v17, v5, v17
	s_add_i32 s3, s3, -1
	s_delay_alu instid0(SALU_CYCLE_1) | instskip(NEXT) | instid1(VALU_DEP_1)
	s_cmp_lg_u32 s3, 0
	v_cndmask_b32_e64 v5, v17, v5, s0
	s_delay_alu instid0(VALU_DEP_1) | instskip(NEXT) | instid1(VALU_DEP_1)
	v_add_f32_e32 v6, v6, v5
	v_add_f32_e32 v7, v7, v6
	s_delay_alu instid0(VALU_DEP_1) | instskip(NEXT) | instid1(VALU_DEP_1)
	v_add_f32_e32 v8, v8, v7
	v_add_f32_e32 v1, v1, v8
	;; [unrolled: 3-line block ×3, first 2 shown]
	s_delay_alu instid0(VALU_DEP_1)
	v_add_f32_e32 v4, v4, v3
	s_cbranch_scc0 .LBB33_6
.LBB33_2:                               ; =>This Inner Loop Header: Depth=1
	s_waitcnt vmcnt(1)
	v_add_f32_e32 v17, v5, v6
	s_delay_alu instid0(VALU_DEP_1) | instskip(NEXT) | instid1(VALU_DEP_1)
	v_add_f32_e32 v17, v7, v17
	v_add_f32_e32 v17, v8, v17
	s_waitcnt vmcnt(0)
	s_delay_alu instid0(VALU_DEP_1) | instskip(NEXT) | instid1(VALU_DEP_1)
	v_add_f32_e32 v17, v1, v17
	v_add_f32_e32 v17, v2, v17
	s_delay_alu instid0(VALU_DEP_1) | instskip(NEXT) | instid1(VALU_DEP_1)
	v_add_f32_e32 v17, v3, v17
	v_add_f32_e32 v17, v4, v17
	ds_store_b32 v11, v17
	s_waitcnt lgkmcnt(0)
	s_barrier
	buffer_gl0_inv
	s_and_saveexec_b32 s4, vcc_lo
	s_cbranch_execz .LBB33_4
; %bb.3:                                ;   in Loop: Header=BB33_2 Depth=1
	ds_load_2addr_b32 v[18:19], v0 offset1:1
	ds_load_2addr_b32 v[20:21], v0 offset0:2 offset1:3
	ds_load_2addr_b32 v[22:23], v0 offset0:4 offset1:5
	;; [unrolled: 1-line block ×3, first 2 shown]
	v_cmp_eq_u32_e64 s2, 0, v14
	s_waitcnt lgkmcnt(3)
	v_add_f32_e32 v26, v18, v19
	s_waitcnt lgkmcnt(2)
	s_delay_alu instid0(VALU_DEP_1) | instskip(NEXT) | instid1(VALU_DEP_1)
	v_add_f32_e32 v26, v26, v20
	v_add_f32_e32 v26, v26, v21
	s_waitcnt lgkmcnt(1)
	s_delay_alu instid0(VALU_DEP_1) | instskip(NEXT) | instid1(VALU_DEP_1)
	v_add_f32_e32 v26, v26, v22
	;; [unrolled: 4-line block ×3, first 2 shown]
	v_add_f32_e32 v26, v26, v25
	s_delay_alu instid0(VALU_DEP_1) | instskip(NEXT) | instid1(VALU_DEP_1)
	v_mov_b32_dpp v27, v26 row_shr:1 row_mask:0xf bank_mask:0xf
	v_add_f32_e32 v27, v26, v27
	s_delay_alu instid0(VALU_DEP_1) | instskip(SKIP_1) | instid1(VALU_DEP_2)
	v_cndmask_b32_e64 v26, v27, v26, s2
	v_cmp_lt_u32_e64 s2, 1, v14
	v_mov_b32_dpp v27, v26 row_shr:2 row_mask:0xf bank_mask:0xf
	s_delay_alu instid0(VALU_DEP_1) | instskip(NEXT) | instid1(VALU_DEP_1)
	v_add_f32_e32 v27, v26, v27
	v_cndmask_b32_e64 v26, v26, v27, s2
	v_cmp_lt_u32_e64 s2, 3, v14
	s_delay_alu instid0(VALU_DEP_2) | instskip(NEXT) | instid1(VALU_DEP_1)
	v_mov_b32_dpp v27, v26 row_shr:4 row_mask:0xf bank_mask:0xf
	v_add_f32_e32 v27, v26, v27
	s_delay_alu instid0(VALU_DEP_1) | instskip(SKIP_1) | instid1(VALU_DEP_2)
	v_cndmask_b32_e64 v26, v26, v27, s2
	v_cmp_lt_u32_e64 s2, 7, v14
	v_mov_b32_dpp v27, v26 row_shr:8 row_mask:0xf bank_mask:0xf
	s_delay_alu instid0(VALU_DEP_1) | instskip(NEXT) | instid1(VALU_DEP_1)
	v_add_f32_e32 v27, v26, v27
	v_cndmask_b32_e64 v26, v26, v27, s2
	v_cmp_gt_i32_e64 s2, 0, v16
	ds_swizzle_b32 v27, v26 offset:swizzle(BROADCAST,32,15)
	v_cndmask_b32_e64 v28, v16, v12, s2
	v_cmp_eq_u32_e64 s2, 0, v15
	s_waitcnt lgkmcnt(0)
	v_add_f32_e32 v27, v26, v27
	s_delay_alu instid0(VALU_DEP_1) | instskip(SKIP_4) | instid1(VALU_DEP_1)
	v_cndmask_b32_e64 v26, v27, v26, s2
	v_lshlrev_b32_e32 v27, 2, v28
	ds_bpermute_b32 v26, v27, v26
	s_waitcnt lgkmcnt(0)
	v_add_f32_e32 v18, v18, v26
	v_cndmask_b32_e64 v18, v18, v17, s0
	s_delay_alu instid0(VALU_DEP_1) | instskip(NEXT) | instid1(VALU_DEP_1)
	v_add_f32_e32 v19, v19, v18
	v_add_f32_e32 v20, v20, v19
	s_delay_alu instid0(VALU_DEP_1) | instskip(NEXT) | instid1(VALU_DEP_1)
	v_add_f32_e32 v21, v21, v20
	v_add_f32_e32 v22, v22, v21
	;; [unrolled: 3-line block ×3, first 2 shown]
	s_delay_alu instid0(VALU_DEP_1)
	v_add_f32_e32 v25, v25, v24
	ds_store_2addr_b32 v0, v18, v19 offset1:1
	ds_store_2addr_b32 v0, v20, v21 offset0:2 offset1:3
	ds_store_2addr_b32 v0, v22, v23 offset0:4 offset1:5
	;; [unrolled: 1-line block ×3, first 2 shown]
.LBB33_4:                               ;   in Loop: Header=BB33_2 Depth=1
	s_or_b32 exec_lo, exec_lo, s4
	s_waitcnt lgkmcnt(0)
	s_barrier
	buffer_gl0_inv
	s_and_saveexec_b32 s2, s1
	s_cbranch_execz .LBB33_1
; %bb.5:                                ;   in Loop: Header=BB33_2 Depth=1
	ds_load_b32 v17, v13
	s_branch .LBB33_1
.LBB33_6:
	v_add_co_u32 v9, vcc_lo, s6, v9
	v_add_co_ci_u32_e32 v10, vcc_lo, s7, v10, vcc_lo
	s_clause 0x1
	global_store_b128 v[9:10], v[5:8], off
	global_store_b128 v[9:10], v[1:4], off offset:16
	s_nop 0
	s_sendmsg sendmsg(MSG_DEALLOC_VGPRS)
	s_endpgm
	.section	.rodata,"a",@progbits
	.p2align	6, 0x0
	.amdhsa_kernel _Z6kernelI14inclusive_scanILN6hipcub18BlockScanAlgorithmE1EEfLj256ELj8ELj100EEvPKT0_PS4_S4_
		.amdhsa_group_segment_fixed_size 1056
		.amdhsa_private_segment_fixed_size 0
		.amdhsa_kernarg_size 280
		.amdhsa_user_sgpr_count 15
		.amdhsa_user_sgpr_dispatch_ptr 0
		.amdhsa_user_sgpr_queue_ptr 0
		.amdhsa_user_sgpr_kernarg_segment_ptr 1
		.amdhsa_user_sgpr_dispatch_id 0
		.amdhsa_user_sgpr_private_segment_size 0
		.amdhsa_wavefront_size32 1
		.amdhsa_uses_dynamic_stack 0
		.amdhsa_enable_private_segment 0
		.amdhsa_system_sgpr_workgroup_id_x 1
		.amdhsa_system_sgpr_workgroup_id_y 0
		.amdhsa_system_sgpr_workgroup_id_z 0
		.amdhsa_system_sgpr_workgroup_info 0
		.amdhsa_system_vgpr_workitem_id 0
		.amdhsa_next_free_vgpr 29
		.amdhsa_next_free_sgpr 16
		.amdhsa_reserve_vcc 1
		.amdhsa_float_round_mode_32 0
		.amdhsa_float_round_mode_16_64 0
		.amdhsa_float_denorm_mode_32 3
		.amdhsa_float_denorm_mode_16_64 3
		.amdhsa_dx10_clamp 1
		.amdhsa_ieee_mode 1
		.amdhsa_fp16_overflow 0
		.amdhsa_workgroup_processor_mode 1
		.amdhsa_memory_ordered 1
		.amdhsa_forward_progress 0
		.amdhsa_shared_vgpr_count 0
		.amdhsa_exception_fp_ieee_invalid_op 0
		.amdhsa_exception_fp_denorm_src 0
		.amdhsa_exception_fp_ieee_div_zero 0
		.amdhsa_exception_fp_ieee_overflow 0
		.amdhsa_exception_fp_ieee_underflow 0
		.amdhsa_exception_fp_ieee_inexact 0
		.amdhsa_exception_int_div_zero 0
	.end_amdhsa_kernel
	.section	.text._Z6kernelI14inclusive_scanILN6hipcub18BlockScanAlgorithmE1EEfLj256ELj8ELj100EEvPKT0_PS4_S4_,"axG",@progbits,_Z6kernelI14inclusive_scanILN6hipcub18BlockScanAlgorithmE1EEfLj256ELj8ELj100EEvPKT0_PS4_S4_,comdat
.Lfunc_end33:
	.size	_Z6kernelI14inclusive_scanILN6hipcub18BlockScanAlgorithmE1EEfLj256ELj8ELj100EEvPKT0_PS4_S4_, .Lfunc_end33-_Z6kernelI14inclusive_scanILN6hipcub18BlockScanAlgorithmE1EEfLj256ELj8ELj100EEvPKT0_PS4_S4_
                                        ; -- End function
	.section	.AMDGPU.csdata,"",@progbits
; Kernel info:
; codeLenInByte = 816
; NumSgprs: 18
; NumVgprs: 29
; ScratchSize: 0
; MemoryBound: 0
; FloatMode: 240
; IeeeMode: 1
; LDSByteSize: 1056 bytes/workgroup (compile time only)
; SGPRBlocks: 2
; VGPRBlocks: 3
; NumSGPRsForWavesPerEU: 18
; NumVGPRsForWavesPerEU: 29
; Occupancy: 16
; WaveLimiterHint : 0
; COMPUTE_PGM_RSRC2:SCRATCH_EN: 0
; COMPUTE_PGM_RSRC2:USER_SGPR: 15
; COMPUTE_PGM_RSRC2:TRAP_HANDLER: 0
; COMPUTE_PGM_RSRC2:TGID_X_EN: 1
; COMPUTE_PGM_RSRC2:TGID_Y_EN: 0
; COMPUTE_PGM_RSRC2:TGID_Z_EN: 0
; COMPUTE_PGM_RSRC2:TIDIG_COMP_CNT: 0
	.section	.text._Z6kernelI14inclusive_scanILN6hipcub18BlockScanAlgorithmE1EEfLj256ELj11ELj100EEvPKT0_PS4_S4_,"axG",@progbits,_Z6kernelI14inclusive_scanILN6hipcub18BlockScanAlgorithmE1EEfLj256ELj11ELj100EEvPKT0_PS4_S4_,comdat
	.protected	_Z6kernelI14inclusive_scanILN6hipcub18BlockScanAlgorithmE1EEfLj256ELj11ELj100EEvPKT0_PS4_S4_ ; -- Begin function _Z6kernelI14inclusive_scanILN6hipcub18BlockScanAlgorithmE1EEfLj256ELj11ELj100EEvPKT0_PS4_S4_
	.globl	_Z6kernelI14inclusive_scanILN6hipcub18BlockScanAlgorithmE1EEfLj256ELj11ELj100EEvPKT0_PS4_S4_
	.p2align	8
	.type	_Z6kernelI14inclusive_scanILN6hipcub18BlockScanAlgorithmE1EEfLj256ELj11ELj100EEvPKT0_PS4_S4_,@function
_Z6kernelI14inclusive_scanILN6hipcub18BlockScanAlgorithmE1EEfLj256ELj11ELj100EEvPKT0_PS4_S4_: ; @_Z6kernelI14inclusive_scanILN6hipcub18BlockScanAlgorithmE1EEfLj256ELj11ELj100EEvPKT0_PS4_S4_
; %bb.0:
	s_clause 0x1
	s_load_b32 s2, s[0:1], 0x24
	s_load_b128 s[4:7], s[0:1], 0x0
	v_cmp_eq_u32_e64 s0, 0, v0
	v_cmp_ne_u32_e64 s1, 0, v0
	s_movk_i32 s3, 0x64
	s_waitcnt lgkmcnt(0)
	s_and_b32 s2, s2, 0xffff
	s_delay_alu instid0(SALU_CYCLE_1) | instskip(NEXT) | instid1(VALU_DEP_1)
	v_mad_u64_u32 v[1:2], null, s15, s2, v[0:1]
	v_mul_lo_u32 v21, v1, 11
	s_delay_alu instid0(VALU_DEP_1) | instskip(NEXT) | instid1(VALU_DEP_1)
	v_dual_mov_b32 v22, 0 :: v_dual_add_nc_u32 v1, 1, v21
	v_dual_mov_b32 v2, v22 :: v_dual_add_nc_u32 v3, 2, v21
	v_lshlrev_b64 v[15:16], 2, v[21:22]
	v_dual_mov_b32 v4, v22 :: v_dual_add_nc_u32 v5, 3, v21
	s_delay_alu instid0(VALU_DEP_3) | instskip(SKIP_1) | instid1(VALU_DEP_3)
	v_lshlrev_b64 v[17:18], 2, v[1:2]
	v_dual_mov_b32 v6, v22 :: v_dual_add_nc_u32 v7, 4, v21
	v_lshlrev_b64 v[13:14], 2, v[3:4]
	v_add_co_u32 v25, vcc_lo, s4, v15
	v_dual_mov_b32 v8, v22 :: v_dual_add_nc_u32 v11, 5, v21
	v_add_co_ci_u32_e32 v26, vcc_lo, s5, v16, vcc_lo
	v_lshlrev_b64 v[9:10], 2, v[5:6]
	v_add_co_u32 v27, vcc_lo, s4, v17
	v_dual_mov_b32 v12, v22 :: v_dual_add_nc_u32 v19, 6, v21
	v_add_co_ci_u32_e32 v28, vcc_lo, s5, v18, vcc_lo
	;; [unrolled: 4-line block ×4, first 2 shown]
	v_lshlrev_b64 v[1:2], 2, v[19:20]
	v_add_co_u32 v36, vcc_lo, s4, v5
	v_add_co_ci_u32_e32 v37, vcc_lo, s5, v6, vcc_lo
	v_add_co_u32 v38, vcc_lo, s4, v3
	v_lshlrev_b64 v[7:8], 2, v[23:24]
	v_add_nc_u32_e32 v19, 9, v21
	v_add_co_ci_u32_e32 v39, vcc_lo, s5, v4, vcc_lo
	v_add_co_u32 v23, vcc_lo, s4, v1
	v_lshlrev_b64 v[11:12], 2, v[11:12]
	v_add_nc_u32_e32 v21, 10, v21
	v_add_co_ci_u32_e32 v24, vcc_lo, s5, v2, vcc_lo
	v_add_co_u32 v40, vcc_lo, s4, v7
	v_lshlrev_b64 v[19:20], 2, v[19:20]
	v_add_co_ci_u32_e32 v41, vcc_lo, s5, v8, vcc_lo
	v_add_co_u32 v42, vcc_lo, s4, v11
	v_lshlrev_b64 v[21:22], 2, v[21:22]
	v_add_co_ci_u32_e32 v43, vcc_lo, s5, v12, vcc_lo
	v_add_co_u32 v44, vcc_lo, s4, v19
	v_add_co_ci_u32_e32 v45, vcc_lo, s5, v20, vcc_lo
	s_delay_alu instid0(VALU_DEP_4)
	v_add_co_u32 v46, vcc_lo, s4, v21
	v_add_co_ci_u32_e32 v47, vcc_lo, s5, v22, vcc_lo
	s_clause 0xa
	global_load_b32 v33, v[25:26], off
	global_load_b32 v32, v[27:28], off
	;; [unrolled: 1-line block ×11, first 2 shown]
	v_add_nc_u32_e32 v36, -1, v0
	v_lshrrev_b32_e32 v34, 5, v0
	v_lshlrev_b32_e32 v37, 3, v0
	v_lshrrev_b32_e32 v38, 2, v0
	v_mbcnt_lo_u32_b32 v35, -1, 0
	v_lshrrev_b32_e32 v39, 5, v36
	v_add_lshl_u32 v34, v34, v0, 2
	v_cmp_gt_u32_e32 vcc_lo, 32, v0
	v_add_lshl_u32 v0, v38, v37, 2
	v_and_b32_e32 v37, 15, v35
	v_add_lshl_u32 v36, v39, v36, 2
	v_and_b32_e32 v38, 16, v35
	v_add_nc_u32_e32 v39, -1, v35
	s_branch .LBB34_2
.LBB34_1:                               ;   in Loop: Header=BB34_2 Depth=1
	s_or_b32 exec_lo, exec_lo, s2
	s_waitcnt lgkmcnt(0)
	v_add_f32_e32 v40, v33, v40
	s_add_i32 s3, s3, -1
	s_delay_alu instid0(SALU_CYCLE_1) | instskip(NEXT) | instid1(VALU_DEP_1)
	s_cmp_lg_u32 s3, 0
	v_cndmask_b32_e64 v33, v40, v33, s0
	s_delay_alu instid0(VALU_DEP_1) | instskip(NEXT) | instid1(VALU_DEP_1)
	v_add_f32_e32 v32, v32, v33
	v_add_f32_e32 v31, v31, v32
	s_delay_alu instid0(VALU_DEP_1) | instskip(NEXT) | instid1(VALU_DEP_1)
	v_add_f32_e32 v30, v30, v31
	v_add_f32_e32 v29, v29, v30
	;; [unrolled: 3-line block ×5, first 2 shown]
	s_cbranch_scc0 .LBB34_6
.LBB34_2:                               ; =>This Inner Loop Header: Depth=1
	s_waitcnt vmcnt(9)
	v_add_f32_e32 v40, v32, v33
	s_waitcnt vmcnt(8)
	s_delay_alu instid0(VALU_DEP_1) | instskip(SKIP_1) | instid1(VALU_DEP_1)
	v_add_f32_e32 v40, v31, v40
	s_waitcnt vmcnt(7)
	v_add_f32_e32 v40, v30, v40
	s_waitcnt vmcnt(6)
	s_delay_alu instid0(VALU_DEP_1) | instskip(SKIP_1) | instid1(VALU_DEP_1)
	v_add_f32_e32 v40, v29, v40
	s_waitcnt vmcnt(5)
	v_add_f32_e32 v40, v28, v40
	s_waitcnt vmcnt(4)
	s_delay_alu instid0(VALU_DEP_1) | instskip(SKIP_1) | instid1(VALU_DEP_1)
	v_add_f32_e32 v40, v27, v40
	s_waitcnt vmcnt(3)
	v_add_f32_e32 v40, v26, v40
	s_waitcnt vmcnt(2)
	s_delay_alu instid0(VALU_DEP_1) | instskip(SKIP_1) | instid1(VALU_DEP_1)
	v_add_f32_e32 v40, v25, v40
	s_waitcnt vmcnt(1)
	v_add_f32_e32 v40, v24, v40
	s_waitcnt vmcnt(0)
	s_delay_alu instid0(VALU_DEP_1)
	v_add_f32_e32 v40, v23, v40
	ds_store_b32 v34, v40
	s_waitcnt lgkmcnt(0)
	s_barrier
	buffer_gl0_inv
	s_and_saveexec_b32 s4, vcc_lo
	s_cbranch_execz .LBB34_4
; %bb.3:                                ;   in Loop: Header=BB34_2 Depth=1
	ds_load_2addr_b32 v[41:42], v0 offset1:1
	ds_load_2addr_b32 v[43:44], v0 offset0:2 offset1:3
	ds_load_2addr_b32 v[45:46], v0 offset0:4 offset1:5
	;; [unrolled: 1-line block ×3, first 2 shown]
	v_cmp_eq_u32_e64 s2, 0, v37
	s_waitcnt lgkmcnt(3)
	v_add_f32_e32 v49, v41, v42
	s_waitcnt lgkmcnt(2)
	s_delay_alu instid0(VALU_DEP_1) | instskip(NEXT) | instid1(VALU_DEP_1)
	v_add_f32_e32 v49, v49, v43
	v_add_f32_e32 v49, v49, v44
	s_waitcnt lgkmcnt(1)
	s_delay_alu instid0(VALU_DEP_1) | instskip(NEXT) | instid1(VALU_DEP_1)
	v_add_f32_e32 v49, v49, v45
	;; [unrolled: 4-line block ×3, first 2 shown]
	v_add_f32_e32 v49, v49, v48
	s_delay_alu instid0(VALU_DEP_1) | instskip(NEXT) | instid1(VALU_DEP_1)
	v_mov_b32_dpp v50, v49 row_shr:1 row_mask:0xf bank_mask:0xf
	v_add_f32_e32 v50, v49, v50
	s_delay_alu instid0(VALU_DEP_1) | instskip(SKIP_1) | instid1(VALU_DEP_2)
	v_cndmask_b32_e64 v49, v50, v49, s2
	v_cmp_lt_u32_e64 s2, 1, v37
	v_mov_b32_dpp v50, v49 row_shr:2 row_mask:0xf bank_mask:0xf
	s_delay_alu instid0(VALU_DEP_1) | instskip(NEXT) | instid1(VALU_DEP_1)
	v_add_f32_e32 v50, v49, v50
	v_cndmask_b32_e64 v49, v49, v50, s2
	v_cmp_lt_u32_e64 s2, 3, v37
	s_delay_alu instid0(VALU_DEP_2) | instskip(NEXT) | instid1(VALU_DEP_1)
	v_mov_b32_dpp v50, v49 row_shr:4 row_mask:0xf bank_mask:0xf
	v_add_f32_e32 v50, v49, v50
	s_delay_alu instid0(VALU_DEP_1) | instskip(SKIP_1) | instid1(VALU_DEP_2)
	v_cndmask_b32_e64 v49, v49, v50, s2
	v_cmp_lt_u32_e64 s2, 7, v37
	v_mov_b32_dpp v50, v49 row_shr:8 row_mask:0xf bank_mask:0xf
	s_delay_alu instid0(VALU_DEP_1) | instskip(NEXT) | instid1(VALU_DEP_1)
	v_add_f32_e32 v50, v49, v50
	v_cndmask_b32_e64 v49, v49, v50, s2
	v_cmp_gt_i32_e64 s2, 0, v39
	ds_swizzle_b32 v50, v49 offset:swizzle(BROADCAST,32,15)
	v_cndmask_b32_e64 v51, v39, v35, s2
	v_cmp_eq_u32_e64 s2, 0, v38
	s_waitcnt lgkmcnt(0)
	v_add_f32_e32 v50, v49, v50
	s_delay_alu instid0(VALU_DEP_1) | instskip(SKIP_4) | instid1(VALU_DEP_1)
	v_cndmask_b32_e64 v49, v50, v49, s2
	v_lshlrev_b32_e32 v50, 2, v51
	ds_bpermute_b32 v49, v50, v49
	s_waitcnt lgkmcnt(0)
	v_add_f32_e32 v41, v41, v49
	v_cndmask_b32_e64 v41, v41, v40, s0
	s_delay_alu instid0(VALU_DEP_1) | instskip(NEXT) | instid1(VALU_DEP_1)
	v_add_f32_e32 v42, v42, v41
	v_add_f32_e32 v43, v43, v42
	s_delay_alu instid0(VALU_DEP_1) | instskip(NEXT) | instid1(VALU_DEP_1)
	v_add_f32_e32 v44, v44, v43
	v_add_f32_e32 v45, v45, v44
	;; [unrolled: 3-line block ×3, first 2 shown]
	s_delay_alu instid0(VALU_DEP_1)
	v_add_f32_e32 v48, v48, v47
	ds_store_2addr_b32 v0, v41, v42 offset1:1
	ds_store_2addr_b32 v0, v43, v44 offset0:2 offset1:3
	ds_store_2addr_b32 v0, v45, v46 offset0:4 offset1:5
	;; [unrolled: 1-line block ×3, first 2 shown]
.LBB34_4:                               ;   in Loop: Header=BB34_2 Depth=1
	s_or_b32 exec_lo, exec_lo, s4
	s_waitcnt lgkmcnt(0)
	s_barrier
	buffer_gl0_inv
	s_and_saveexec_b32 s2, s1
	s_cbranch_execz .LBB34_1
; %bb.5:                                ;   in Loop: Header=BB34_2 Depth=1
	ds_load_b32 v40, v36
	s_branch .LBB34_1
.LBB34_6:
	v_add_co_u32 v15, vcc_lo, s6, v15
	v_add_co_ci_u32_e32 v16, vcc_lo, s7, v16, vcc_lo
	v_add_co_u32 v17, vcc_lo, s6, v17
	v_add_co_ci_u32_e32 v18, vcc_lo, s7, v18, vcc_lo
	;; [unrolled: 2-line block ×11, first 2 shown]
	s_clause 0xa
	global_store_b32 v[15:16], v33, off
	global_store_b32 v[17:18], v32, off
	;; [unrolled: 1-line block ×11, first 2 shown]
	s_nop 0
	s_sendmsg sendmsg(MSG_DEALLOC_VGPRS)
	s_endpgm
	.section	.rodata,"a",@progbits
	.p2align	6, 0x0
	.amdhsa_kernel _Z6kernelI14inclusive_scanILN6hipcub18BlockScanAlgorithmE1EEfLj256ELj11ELj100EEvPKT0_PS4_S4_
		.amdhsa_group_segment_fixed_size 1056
		.amdhsa_private_segment_fixed_size 0
		.amdhsa_kernarg_size 280
		.amdhsa_user_sgpr_count 15
		.amdhsa_user_sgpr_dispatch_ptr 0
		.amdhsa_user_sgpr_queue_ptr 0
		.amdhsa_user_sgpr_kernarg_segment_ptr 1
		.amdhsa_user_sgpr_dispatch_id 0
		.amdhsa_user_sgpr_private_segment_size 0
		.amdhsa_wavefront_size32 1
		.amdhsa_uses_dynamic_stack 0
		.amdhsa_enable_private_segment 0
		.amdhsa_system_sgpr_workgroup_id_x 1
		.amdhsa_system_sgpr_workgroup_id_y 0
		.amdhsa_system_sgpr_workgroup_id_z 0
		.amdhsa_system_sgpr_workgroup_info 0
		.amdhsa_system_vgpr_workitem_id 0
		.amdhsa_next_free_vgpr 52
		.amdhsa_next_free_sgpr 16
		.amdhsa_reserve_vcc 1
		.amdhsa_float_round_mode_32 0
		.amdhsa_float_round_mode_16_64 0
		.amdhsa_float_denorm_mode_32 3
		.amdhsa_float_denorm_mode_16_64 3
		.amdhsa_dx10_clamp 1
		.amdhsa_ieee_mode 1
		.amdhsa_fp16_overflow 0
		.amdhsa_workgroup_processor_mode 1
		.amdhsa_memory_ordered 1
		.amdhsa_forward_progress 0
		.amdhsa_shared_vgpr_count 0
		.amdhsa_exception_fp_ieee_invalid_op 0
		.amdhsa_exception_fp_denorm_src 0
		.amdhsa_exception_fp_ieee_div_zero 0
		.amdhsa_exception_fp_ieee_overflow 0
		.amdhsa_exception_fp_ieee_underflow 0
		.amdhsa_exception_fp_ieee_inexact 0
		.amdhsa_exception_int_div_zero 0
	.end_amdhsa_kernel
	.section	.text._Z6kernelI14inclusive_scanILN6hipcub18BlockScanAlgorithmE1EEfLj256ELj11ELj100EEvPKT0_PS4_S4_,"axG",@progbits,_Z6kernelI14inclusive_scanILN6hipcub18BlockScanAlgorithmE1EEfLj256ELj11ELj100EEvPKT0_PS4_S4_,comdat
.Lfunc_end34:
	.size	_Z6kernelI14inclusive_scanILN6hipcub18BlockScanAlgorithmE1EEfLj256ELj11ELj100EEvPKT0_PS4_S4_, .Lfunc_end34-_Z6kernelI14inclusive_scanILN6hipcub18BlockScanAlgorithmE1EEfLj256ELj11ELj100EEvPKT0_PS4_S4_
                                        ; -- End function
	.section	.AMDGPU.csdata,"",@progbits
; Kernel info:
; codeLenInByte = 1424
; NumSgprs: 18
; NumVgprs: 52
; ScratchSize: 0
; MemoryBound: 0
; FloatMode: 240
; IeeeMode: 1
; LDSByteSize: 1056 bytes/workgroup (compile time only)
; SGPRBlocks: 2
; VGPRBlocks: 6
; NumSGPRsForWavesPerEU: 18
; NumVGPRsForWavesPerEU: 52
; Occupancy: 16
; WaveLimiterHint : 0
; COMPUTE_PGM_RSRC2:SCRATCH_EN: 0
; COMPUTE_PGM_RSRC2:USER_SGPR: 15
; COMPUTE_PGM_RSRC2:TRAP_HANDLER: 0
; COMPUTE_PGM_RSRC2:TGID_X_EN: 1
; COMPUTE_PGM_RSRC2:TGID_Y_EN: 0
; COMPUTE_PGM_RSRC2:TGID_Z_EN: 0
; COMPUTE_PGM_RSRC2:TIDIG_COMP_CNT: 0
	.section	.text._Z6kernelI14inclusive_scanILN6hipcub18BlockScanAlgorithmE1EEfLj256ELj16ELj100EEvPKT0_PS4_S4_,"axG",@progbits,_Z6kernelI14inclusive_scanILN6hipcub18BlockScanAlgorithmE1EEfLj256ELj16ELj100EEvPKT0_PS4_S4_,comdat
	.protected	_Z6kernelI14inclusive_scanILN6hipcub18BlockScanAlgorithmE1EEfLj256ELj16ELj100EEvPKT0_PS4_S4_ ; -- Begin function _Z6kernelI14inclusive_scanILN6hipcub18BlockScanAlgorithmE1EEfLj256ELj16ELj100EEvPKT0_PS4_S4_
	.globl	_Z6kernelI14inclusive_scanILN6hipcub18BlockScanAlgorithmE1EEfLj256ELj16ELj100EEvPKT0_PS4_S4_
	.p2align	8
	.type	_Z6kernelI14inclusive_scanILN6hipcub18BlockScanAlgorithmE1EEfLj256ELj16ELj100EEvPKT0_PS4_S4_,@function
_Z6kernelI14inclusive_scanILN6hipcub18BlockScanAlgorithmE1EEfLj256ELj16ELj100EEvPKT0_PS4_S4_: ; @_Z6kernelI14inclusive_scanILN6hipcub18BlockScanAlgorithmE1EEfLj256ELj16ELj100EEvPKT0_PS4_S4_
; %bb.0:
	s_clause 0x1
	s_load_b32 s2, s[0:1], 0x24
	s_load_b128 s[4:7], s[0:1], 0x0
	v_dual_mov_b32 v2, 0 :: v_dual_add_nc_u32 v21, -1, v0
	v_lshrrev_b32_e32 v19, 5, v0
	v_lshlrev_b32_e32 v22, 3, v0
	v_lshrrev_b32_e32 v23, 2, v0
	v_mbcnt_lo_u32_b32 v20, -1, 0
	v_lshrrev_b32_e32 v24, 5, v21
	v_add_lshl_u32 v19, v19, v0, 2
	v_cmp_ne_u32_e64 s1, 0, v0
	s_movk_i32 s3, 0x64
	s_delay_alu instid0(VALU_DEP_3) | instskip(SKIP_3) | instid1(SALU_CYCLE_1)
	v_add_lshl_u32 v21, v24, v21, 2
	v_add_nc_u32_e32 v24, -1, v20
	s_waitcnt lgkmcnt(0)
	s_and_b32 s0, s2, 0xffff
	s_mul_i32 s15, s15, s0
	v_cmp_eq_u32_e64 s0, 0, v0
	v_add_lshl_u32 v1, s15, v0, 4
	s_delay_alu instid0(VALU_DEP_1) | instskip(NEXT) | instid1(VALU_DEP_1)
	v_lshlrev_b64 v[17:18], 2, v[1:2]
	v_add_co_u32 v1, vcc_lo, s4, v17
	s_delay_alu instid0(VALU_DEP_2)
	v_add_co_ci_u32_e32 v2, vcc_lo, s5, v18, vcc_lo
	v_cmp_gt_u32_e32 vcc_lo, 32, v0
	v_add_lshl_u32 v0, v23, v22, 2
	v_and_b32_e32 v22, 15, v20
	s_clause 0x3
	global_load_b128 v[13:16], v[1:2], off
	global_load_b128 v[9:12], v[1:2], off offset:16
	global_load_b128 v[5:8], v[1:2], off offset:32
	;; [unrolled: 1-line block ×3, first 2 shown]
	v_and_b32_e32 v23, 16, v20
	s_branch .LBB35_2
.LBB35_1:                               ;   in Loop: Header=BB35_2 Depth=1
	s_or_b32 exec_lo, exec_lo, s2
	s_waitcnt lgkmcnt(0)
	v_add_f32_e32 v25, v13, v25
	s_add_i32 s3, s3, -1
	s_delay_alu instid0(SALU_CYCLE_1) | instskip(NEXT) | instid1(VALU_DEP_1)
	s_cmp_lg_u32 s3, 0
	v_cndmask_b32_e64 v13, v25, v13, s0
	s_delay_alu instid0(VALU_DEP_1) | instskip(NEXT) | instid1(VALU_DEP_1)
	v_add_f32_e32 v14, v14, v13
	v_add_f32_e32 v15, v15, v14
	s_delay_alu instid0(VALU_DEP_1) | instskip(NEXT) | instid1(VALU_DEP_1)
	v_add_f32_e32 v16, v16, v15
	v_add_f32_e32 v9, v9, v16
	;; [unrolled: 3-line block ×7, first 2 shown]
	s_delay_alu instid0(VALU_DEP_1)
	v_add_f32_e32 v4, v4, v3
	s_cbranch_scc0 .LBB35_6
.LBB35_2:                               ; =>This Inner Loop Header: Depth=1
	s_waitcnt vmcnt(3)
	v_add_f32_e32 v25, v14, v13
	s_delay_alu instid0(VALU_DEP_1) | instskip(NEXT) | instid1(VALU_DEP_1)
	v_add_f32_e32 v25, v15, v25
	v_add_f32_e32 v25, v16, v25
	s_waitcnt vmcnt(2)
	s_delay_alu instid0(VALU_DEP_1) | instskip(NEXT) | instid1(VALU_DEP_1)
	v_add_f32_e32 v25, v9, v25
	v_add_f32_e32 v25, v10, v25
	s_delay_alu instid0(VALU_DEP_1) | instskip(NEXT) | instid1(VALU_DEP_1)
	v_add_f32_e32 v25, v11, v25
	v_add_f32_e32 v25, v12, v25
	s_waitcnt vmcnt(1)
	s_delay_alu instid0(VALU_DEP_1) | instskip(NEXT) | instid1(VALU_DEP_1)
	v_add_f32_e32 v25, v5, v25
	;; [unrolled: 7-line block ×3, first 2 shown]
	v_add_f32_e32 v25, v2, v25
	s_delay_alu instid0(VALU_DEP_1) | instskip(NEXT) | instid1(VALU_DEP_1)
	v_add_f32_e32 v25, v3, v25
	v_add_f32_e32 v25, v4, v25
	ds_store_b32 v19, v25
	s_waitcnt lgkmcnt(0)
	s_barrier
	buffer_gl0_inv
	s_and_saveexec_b32 s4, vcc_lo
	s_cbranch_execz .LBB35_4
; %bb.3:                                ;   in Loop: Header=BB35_2 Depth=1
	ds_load_2addr_b32 v[26:27], v0 offset1:1
	ds_load_2addr_b32 v[28:29], v0 offset0:2 offset1:3
	ds_load_2addr_b32 v[30:31], v0 offset0:4 offset1:5
	;; [unrolled: 1-line block ×3, first 2 shown]
	v_cmp_eq_u32_e64 s2, 0, v22
	s_waitcnt lgkmcnt(3)
	v_add_f32_e32 v34, v26, v27
	s_waitcnt lgkmcnt(2)
	s_delay_alu instid0(VALU_DEP_1) | instskip(NEXT) | instid1(VALU_DEP_1)
	v_add_f32_e32 v34, v34, v28
	v_add_f32_e32 v34, v34, v29
	s_waitcnt lgkmcnt(1)
	s_delay_alu instid0(VALU_DEP_1) | instskip(NEXT) | instid1(VALU_DEP_1)
	v_add_f32_e32 v34, v34, v30
	v_add_f32_e32 v34, v34, v31
	s_waitcnt lgkmcnt(0)
	s_delay_alu instid0(VALU_DEP_1) | instskip(NEXT) | instid1(VALU_DEP_1)
	v_add_f32_e32 v34, v34, v32
	v_add_f32_e32 v34, v34, v33
	s_delay_alu instid0(VALU_DEP_1) | instskip(NEXT) | instid1(VALU_DEP_1)
	v_mov_b32_dpp v35, v34 row_shr:1 row_mask:0xf bank_mask:0xf
	v_add_f32_e32 v35, v34, v35
	s_delay_alu instid0(VALU_DEP_1) | instskip(SKIP_1) | instid1(VALU_DEP_2)
	v_cndmask_b32_e64 v34, v35, v34, s2
	v_cmp_lt_u32_e64 s2, 1, v22
	v_mov_b32_dpp v35, v34 row_shr:2 row_mask:0xf bank_mask:0xf
	s_delay_alu instid0(VALU_DEP_1) | instskip(NEXT) | instid1(VALU_DEP_1)
	v_add_f32_e32 v35, v34, v35
	v_cndmask_b32_e64 v34, v34, v35, s2
	v_cmp_lt_u32_e64 s2, 3, v22
	s_delay_alu instid0(VALU_DEP_2) | instskip(NEXT) | instid1(VALU_DEP_1)
	v_mov_b32_dpp v35, v34 row_shr:4 row_mask:0xf bank_mask:0xf
	v_add_f32_e32 v35, v34, v35
	s_delay_alu instid0(VALU_DEP_1) | instskip(SKIP_1) | instid1(VALU_DEP_2)
	v_cndmask_b32_e64 v34, v34, v35, s2
	v_cmp_lt_u32_e64 s2, 7, v22
	v_mov_b32_dpp v35, v34 row_shr:8 row_mask:0xf bank_mask:0xf
	s_delay_alu instid0(VALU_DEP_1) | instskip(NEXT) | instid1(VALU_DEP_1)
	v_add_f32_e32 v35, v34, v35
	v_cndmask_b32_e64 v34, v34, v35, s2
	v_cmp_gt_i32_e64 s2, 0, v24
	ds_swizzle_b32 v35, v34 offset:swizzle(BROADCAST,32,15)
	v_cndmask_b32_e64 v36, v24, v20, s2
	v_cmp_eq_u32_e64 s2, 0, v23
	s_waitcnt lgkmcnt(0)
	v_add_f32_e32 v35, v34, v35
	s_delay_alu instid0(VALU_DEP_1) | instskip(SKIP_4) | instid1(VALU_DEP_1)
	v_cndmask_b32_e64 v34, v35, v34, s2
	v_lshlrev_b32_e32 v35, 2, v36
	ds_bpermute_b32 v34, v35, v34
	s_waitcnt lgkmcnt(0)
	v_add_f32_e32 v26, v26, v34
	v_cndmask_b32_e64 v26, v26, v25, s0
	s_delay_alu instid0(VALU_DEP_1) | instskip(NEXT) | instid1(VALU_DEP_1)
	v_add_f32_e32 v27, v27, v26
	v_add_f32_e32 v28, v28, v27
	s_delay_alu instid0(VALU_DEP_1) | instskip(NEXT) | instid1(VALU_DEP_1)
	v_add_f32_e32 v29, v29, v28
	v_add_f32_e32 v30, v30, v29
	;; [unrolled: 3-line block ×3, first 2 shown]
	s_delay_alu instid0(VALU_DEP_1)
	v_add_f32_e32 v33, v33, v32
	ds_store_2addr_b32 v0, v26, v27 offset1:1
	ds_store_2addr_b32 v0, v28, v29 offset0:2 offset1:3
	ds_store_2addr_b32 v0, v30, v31 offset0:4 offset1:5
	;; [unrolled: 1-line block ×3, first 2 shown]
.LBB35_4:                               ;   in Loop: Header=BB35_2 Depth=1
	s_or_b32 exec_lo, exec_lo, s4
	s_waitcnt lgkmcnt(0)
	s_barrier
	buffer_gl0_inv
	s_and_saveexec_b32 s2, s1
	s_cbranch_execz .LBB35_1
; %bb.5:                                ;   in Loop: Header=BB35_2 Depth=1
	ds_load_b32 v25, v21
	s_branch .LBB35_1
.LBB35_6:
	v_add_co_u32 v17, vcc_lo, s6, v17
	v_add_co_ci_u32_e32 v18, vcc_lo, s7, v18, vcc_lo
	s_clause 0x3
	global_store_b128 v[17:18], v[13:16], off
	global_store_b128 v[17:18], v[9:12], off offset:16
	global_store_b128 v[17:18], v[5:8], off offset:32
	;; [unrolled: 1-line block ×3, first 2 shown]
	s_nop 0
	s_sendmsg sendmsg(MSG_DEALLOC_VGPRS)
	s_endpgm
	.section	.rodata,"a",@progbits
	.p2align	6, 0x0
	.amdhsa_kernel _Z6kernelI14inclusive_scanILN6hipcub18BlockScanAlgorithmE1EEfLj256ELj16ELj100EEvPKT0_PS4_S4_
		.amdhsa_group_segment_fixed_size 1056
		.amdhsa_private_segment_fixed_size 0
		.amdhsa_kernarg_size 280
		.amdhsa_user_sgpr_count 15
		.amdhsa_user_sgpr_dispatch_ptr 0
		.amdhsa_user_sgpr_queue_ptr 0
		.amdhsa_user_sgpr_kernarg_segment_ptr 1
		.amdhsa_user_sgpr_dispatch_id 0
		.amdhsa_user_sgpr_private_segment_size 0
		.amdhsa_wavefront_size32 1
		.amdhsa_uses_dynamic_stack 0
		.amdhsa_enable_private_segment 0
		.amdhsa_system_sgpr_workgroup_id_x 1
		.amdhsa_system_sgpr_workgroup_id_y 0
		.amdhsa_system_sgpr_workgroup_id_z 0
		.amdhsa_system_sgpr_workgroup_info 0
		.amdhsa_system_vgpr_workitem_id 0
		.amdhsa_next_free_vgpr 37
		.amdhsa_next_free_sgpr 16
		.amdhsa_reserve_vcc 1
		.amdhsa_float_round_mode_32 0
		.amdhsa_float_round_mode_16_64 0
		.amdhsa_float_denorm_mode_32 3
		.amdhsa_float_denorm_mode_16_64 3
		.amdhsa_dx10_clamp 1
		.amdhsa_ieee_mode 1
		.amdhsa_fp16_overflow 0
		.amdhsa_workgroup_processor_mode 1
		.amdhsa_memory_ordered 1
		.amdhsa_forward_progress 0
		.amdhsa_shared_vgpr_count 0
		.amdhsa_exception_fp_ieee_invalid_op 0
		.amdhsa_exception_fp_denorm_src 0
		.amdhsa_exception_fp_ieee_div_zero 0
		.amdhsa_exception_fp_ieee_overflow 0
		.amdhsa_exception_fp_ieee_underflow 0
		.amdhsa_exception_fp_ieee_inexact 0
		.amdhsa_exception_int_div_zero 0
	.end_amdhsa_kernel
	.section	.text._Z6kernelI14inclusive_scanILN6hipcub18BlockScanAlgorithmE1EEfLj256ELj16ELj100EEvPKT0_PS4_S4_,"axG",@progbits,_Z6kernelI14inclusive_scanILN6hipcub18BlockScanAlgorithmE1EEfLj256ELj16ELj100EEvPKT0_PS4_S4_,comdat
.Lfunc_end35:
	.size	_Z6kernelI14inclusive_scanILN6hipcub18BlockScanAlgorithmE1EEfLj256ELj16ELj100EEvPKT0_PS4_S4_, .Lfunc_end35-_Z6kernelI14inclusive_scanILN6hipcub18BlockScanAlgorithmE1EEfLj256ELj16ELj100EEvPKT0_PS4_S4_
                                        ; -- End function
	.section	.AMDGPU.csdata,"",@progbits
; Kernel info:
; codeLenInByte = 952
; NumSgprs: 18
; NumVgprs: 37
; ScratchSize: 0
; MemoryBound: 0
; FloatMode: 240
; IeeeMode: 1
; LDSByteSize: 1056 bytes/workgroup (compile time only)
; SGPRBlocks: 2
; VGPRBlocks: 4
; NumSGPRsForWavesPerEU: 18
; NumVGPRsForWavesPerEU: 37
; Occupancy: 16
; WaveLimiterHint : 0
; COMPUTE_PGM_RSRC2:SCRATCH_EN: 0
; COMPUTE_PGM_RSRC2:USER_SGPR: 15
; COMPUTE_PGM_RSRC2:TRAP_HANDLER: 0
; COMPUTE_PGM_RSRC2:TGID_X_EN: 1
; COMPUTE_PGM_RSRC2:TGID_Y_EN: 0
; COMPUTE_PGM_RSRC2:TGID_Z_EN: 0
; COMPUTE_PGM_RSRC2:TIDIG_COMP_CNT: 0
	.section	.text._Z6kernelI14inclusive_scanILN6hipcub18BlockScanAlgorithmE1EEdLj256ELj1ELj100EEvPKT0_PS4_S4_,"axG",@progbits,_Z6kernelI14inclusive_scanILN6hipcub18BlockScanAlgorithmE1EEdLj256ELj1ELj100EEvPKT0_PS4_S4_,comdat
	.protected	_Z6kernelI14inclusive_scanILN6hipcub18BlockScanAlgorithmE1EEdLj256ELj1ELj100EEvPKT0_PS4_S4_ ; -- Begin function _Z6kernelI14inclusive_scanILN6hipcub18BlockScanAlgorithmE1EEdLj256ELj1ELj100EEvPKT0_PS4_S4_
	.globl	_Z6kernelI14inclusive_scanILN6hipcub18BlockScanAlgorithmE1EEdLj256ELj1ELj100EEvPKT0_PS4_S4_
	.p2align	8
	.type	_Z6kernelI14inclusive_scanILN6hipcub18BlockScanAlgorithmE1EEdLj256ELj1ELj100EEvPKT0_PS4_S4_,@function
_Z6kernelI14inclusive_scanILN6hipcub18BlockScanAlgorithmE1EEdLj256ELj1ELj100EEvPKT0_PS4_S4_: ; @_Z6kernelI14inclusive_scanILN6hipcub18BlockScanAlgorithmE1EEdLj256ELj1ELj100EEvPKT0_PS4_S4_
; %bb.0:
	s_clause 0x1
	s_load_b32 s4, s[0:1], 0x24
	s_load_b128 s[0:3], s[0:1], 0x0
	v_mbcnt_lo_u32_b32 v24, -1, 0
	v_lshrrev_b32_e32 v3, 2, v0
	s_delay_alu instid0(VALU_DEP_2) | instskip(SKIP_3) | instid1(SALU_CYCLE_1)
	v_and_b32_e32 v28, 16, v24
	v_and_b32_e32 v27, 15, v24
	s_waitcnt lgkmcnt(0)
	s_and_b32 s4, s4, 0xffff
	v_mad_u64_u32 v[1:2], null, s15, s4, v[0:1]
	v_mov_b32_e32 v2, 0
	s_movk_i32 s4, 0x64
	s_delay_alu instid0(VALU_DEP_1) | instskip(NEXT) | instid1(VALU_DEP_1)
	v_lshlrev_b64 v[16:17], 3, v[1:2]
	v_add_co_u32 v1, vcc_lo, s0, v16
	s_delay_alu instid0(VALU_DEP_2)
	v_add_co_ci_u32_e32 v2, vcc_lo, s1, v17, vcc_lo
	v_cmp_gt_u32_e32 vcc_lo, 32, v0
	v_cmp_eq_u32_e64 s0, 0, v0
	global_load_b64 v[18:19], v[1:2], off
	v_lshrrev_b32_e32 v1, 5, v0
	v_lshlrev_b32_e32 v2, 3, v0
	s_delay_alu instid0(VALU_DEP_2) | instskip(NEXT) | instid1(VALU_DEP_2)
	v_add_lshl_u32 v25, v1, v0, 3
	v_add_lshl_u32 v26, v3, v2, 3
	s_branch .LBB36_3
.LBB36_1:                               ;   in Loop: Header=BB36_3 Depth=1
	s_or_b32 exec_lo, exec_lo, s6
	s_waitcnt lgkmcnt(1)
	v_add_nc_u32_e32 v22, -1, v24
	s_delay_alu instid0(VALU_DEP_1) | instskip(NEXT) | instid1(VALU_DEP_1)
	v_cmp_gt_i32_e64 s1, 0, v22
	v_cndmask_b32_e64 v22, v22, v24, s1
	s_delay_alu instid0(VALU_DEP_1) | instskip(SKIP_4) | instid1(VALU_DEP_1)
	v_lshlrev_b32_e32 v22, 2, v22
	ds_bpermute_b32 v20, v22, v20
	ds_bpermute_b32 v21, v22, v21
	s_waitcnt lgkmcnt(0)
	v_add_f64 v[4:5], v[4:5], v[20:21]
	v_cndmask_b32_e64 v5, v5, v19, s0
	s_delay_alu instid0(VALU_DEP_2) | instskip(NEXT) | instid1(VALU_DEP_1)
	v_cndmask_b32_e64 v4, v4, v18, s0
	v_add_f64 v[6:7], v[6:7], v[4:5]
	s_delay_alu instid0(VALU_DEP_1) | instskip(NEXT) | instid1(VALU_DEP_1)
	v_add_f64 v[0:1], v[0:1], v[6:7]
	v_add_f64 v[2:3], v[2:3], v[0:1]
	s_delay_alu instid0(VALU_DEP_1) | instskip(NEXT) | instid1(VALU_DEP_1)
	v_add_f64 v[8:9], v[8:9], v[2:3]
	;; [unrolled: 3-line block ×3, first 2 shown]
	v_add_f64 v[14:15], v[14:15], v[12:13]
	ds_store_2addr_b64 v26, v[4:5], v[6:7] offset1:1
	ds_store_2addr_b64 v26, v[0:1], v[2:3] offset0:2 offset1:3
	ds_store_2addr_b64 v26, v[8:9], v[10:11] offset0:4 offset1:5
	;; [unrolled: 1-line block ×3, first 2 shown]
.LBB36_2:                               ;   in Loop: Header=BB36_3 Depth=1
	s_or_b32 exec_lo, exec_lo, s5
	s_waitcnt lgkmcnt(0)
	s_barrier
	buffer_gl0_inv
	ds_load_b64 v[18:19], v25
	s_add_i32 s4, s4, -1
	s_delay_alu instid0(SALU_CYCLE_1)
	s_cmp_lg_u32 s4, 0
	s_cbranch_scc0 .LBB36_14
.LBB36_3:                               ; =>This Inner Loop Header: Depth=1
	s_waitcnt vmcnt(0) lgkmcnt(0)
	ds_store_b64 v25, v[18:19]
	s_waitcnt lgkmcnt(0)
	s_barrier
	buffer_gl0_inv
	s_and_saveexec_b32 s5, vcc_lo
	s_cbranch_execz .LBB36_2
; %bb.4:                                ;   in Loop: Header=BB36_3 Depth=1
	ds_load_2addr_b64 v[4:7], v26 offset1:1
	ds_load_2addr_b64 v[0:3], v26 offset0:2 offset1:3
	s_mov_b32 s6, exec_lo
	s_waitcnt lgkmcnt(1)
	v_add_f64 v[8:9], v[4:5], v[6:7]
	s_waitcnt lgkmcnt(0)
	s_delay_alu instid0(VALU_DEP_1) | instskip(NEXT) | instid1(VALU_DEP_1)
	v_add_f64 v[8:9], v[8:9], v[0:1]
	v_add_f64 v[20:21], v[8:9], v[2:3]
	ds_load_2addr_b64 v[8:11], v26 offset0:4 offset1:5
	ds_load_2addr_b64 v[12:15], v26 offset0:6 offset1:7
	s_waitcnt lgkmcnt(1)
	v_add_f64 v[20:21], v[20:21], v[8:9]
	s_delay_alu instid0(VALU_DEP_1) | instskip(SKIP_1) | instid1(VALU_DEP_1)
	v_add_f64 v[20:21], v[20:21], v[10:11]
	s_waitcnt lgkmcnt(0)
	v_add_f64 v[20:21], v[20:21], v[12:13]
	s_delay_alu instid0(VALU_DEP_1) | instskip(NEXT) | instid1(VALU_DEP_1)
	v_add_f64 v[20:21], v[20:21], v[14:15]
	v_mov_b32_dpp v22, v20 row_shr:1 row_mask:0xf bank_mask:0xf
	s_delay_alu instid0(VALU_DEP_2)
	v_mov_b32_dpp v23, v21 row_shr:1 row_mask:0xf bank_mask:0xf
	v_cmpx_ne_u32_e32 0, v27
; %bb.5:                                ;   in Loop: Header=BB36_3 Depth=1
	s_delay_alu instid0(VALU_DEP_2)
	v_add_f64 v[20:21], v[20:21], v[22:23]
; %bb.6:                                ;   in Loop: Header=BB36_3 Depth=1
	s_or_b32 exec_lo, exec_lo, s6
	s_delay_alu instid0(VALU_DEP_1) | instskip(NEXT) | instid1(VALU_DEP_2)
	v_mov_b32_dpp v22, v20 row_shr:2 row_mask:0xf bank_mask:0xf
	v_mov_b32_dpp v23, v21 row_shr:2 row_mask:0xf bank_mask:0xf
	s_mov_b32 s6, exec_lo
	v_cmpx_lt_u32_e32 1, v27
; %bb.7:                                ;   in Loop: Header=BB36_3 Depth=1
	s_delay_alu instid0(VALU_DEP_2)
	v_add_f64 v[20:21], v[20:21], v[22:23]
; %bb.8:                                ;   in Loop: Header=BB36_3 Depth=1
	s_or_b32 exec_lo, exec_lo, s6
	s_delay_alu instid0(VALU_DEP_1) | instskip(NEXT) | instid1(VALU_DEP_2)
	v_mov_b32_dpp v22, v20 row_shr:4 row_mask:0xf bank_mask:0xf
	v_mov_b32_dpp v23, v21 row_shr:4 row_mask:0xf bank_mask:0xf
	s_mov_b32 s6, exec_lo
	v_cmpx_lt_u32_e32 3, v27
; %bb.9:                                ;   in Loop: Header=BB36_3 Depth=1
	s_delay_alu instid0(VALU_DEP_2)
	v_add_f64 v[20:21], v[20:21], v[22:23]
; %bb.10:                               ;   in Loop: Header=BB36_3 Depth=1
	s_or_b32 exec_lo, exec_lo, s6
	s_delay_alu instid0(VALU_DEP_1) | instskip(NEXT) | instid1(VALU_DEP_2)
	v_mov_b32_dpp v22, v20 row_shr:8 row_mask:0xf bank_mask:0xf
	v_mov_b32_dpp v23, v21 row_shr:8 row_mask:0xf bank_mask:0xf
	s_mov_b32 s6, exec_lo
	v_cmpx_lt_u32_e32 7, v27
; %bb.11:                               ;   in Loop: Header=BB36_3 Depth=1
	s_delay_alu instid0(VALU_DEP_2)
	v_add_f64 v[20:21], v[20:21], v[22:23]
; %bb.12:                               ;   in Loop: Header=BB36_3 Depth=1
	s_or_b32 exec_lo, exec_lo, s6
	ds_swizzle_b32 v22, v20 offset:swizzle(BROADCAST,32,15)
	ds_swizzle_b32 v23, v21 offset:swizzle(BROADCAST,32,15)
	s_mov_b32 s6, exec_lo
	v_cmpx_ne_u32_e32 0, v28
	s_cbranch_execz .LBB36_1
; %bb.13:                               ;   in Loop: Header=BB36_3 Depth=1
	s_waitcnt lgkmcnt(0)
	v_add_f64 v[20:21], v[20:21], v[22:23]
	s_branch .LBB36_1
.LBB36_14:
	v_add_co_u32 v0, vcc_lo, s2, v16
	v_add_co_ci_u32_e32 v1, vcc_lo, s3, v17, vcc_lo
	s_waitcnt lgkmcnt(0)
	global_store_b64 v[0:1], v[18:19], off
	s_nop 0
	s_sendmsg sendmsg(MSG_DEALLOC_VGPRS)
	s_endpgm
	.section	.rodata,"a",@progbits
	.p2align	6, 0x0
	.amdhsa_kernel _Z6kernelI14inclusive_scanILN6hipcub18BlockScanAlgorithmE1EEdLj256ELj1ELj100EEvPKT0_PS4_S4_
		.amdhsa_group_segment_fixed_size 2112
		.amdhsa_private_segment_fixed_size 0
		.amdhsa_kernarg_size 280
		.amdhsa_user_sgpr_count 15
		.amdhsa_user_sgpr_dispatch_ptr 0
		.amdhsa_user_sgpr_queue_ptr 0
		.amdhsa_user_sgpr_kernarg_segment_ptr 1
		.amdhsa_user_sgpr_dispatch_id 0
		.amdhsa_user_sgpr_private_segment_size 0
		.amdhsa_wavefront_size32 1
		.amdhsa_uses_dynamic_stack 0
		.amdhsa_enable_private_segment 0
		.amdhsa_system_sgpr_workgroup_id_x 1
		.amdhsa_system_sgpr_workgroup_id_y 0
		.amdhsa_system_sgpr_workgroup_id_z 0
		.amdhsa_system_sgpr_workgroup_info 0
		.amdhsa_system_vgpr_workitem_id 0
		.amdhsa_next_free_vgpr 29
		.amdhsa_next_free_sgpr 16
		.amdhsa_reserve_vcc 1
		.amdhsa_float_round_mode_32 0
		.amdhsa_float_round_mode_16_64 0
		.amdhsa_float_denorm_mode_32 3
		.amdhsa_float_denorm_mode_16_64 3
		.amdhsa_dx10_clamp 1
		.amdhsa_ieee_mode 1
		.amdhsa_fp16_overflow 0
		.amdhsa_workgroup_processor_mode 1
		.amdhsa_memory_ordered 1
		.amdhsa_forward_progress 0
		.amdhsa_shared_vgpr_count 0
		.amdhsa_exception_fp_ieee_invalid_op 0
		.amdhsa_exception_fp_denorm_src 0
		.amdhsa_exception_fp_ieee_div_zero 0
		.amdhsa_exception_fp_ieee_overflow 0
		.amdhsa_exception_fp_ieee_underflow 0
		.amdhsa_exception_fp_ieee_inexact 0
		.amdhsa_exception_int_div_zero 0
	.end_amdhsa_kernel
	.section	.text._Z6kernelI14inclusive_scanILN6hipcub18BlockScanAlgorithmE1EEdLj256ELj1ELj100EEvPKT0_PS4_S4_,"axG",@progbits,_Z6kernelI14inclusive_scanILN6hipcub18BlockScanAlgorithmE1EEdLj256ELj1ELj100EEvPKT0_PS4_S4_,comdat
.Lfunc_end36:
	.size	_Z6kernelI14inclusive_scanILN6hipcub18BlockScanAlgorithmE1EEdLj256ELj1ELj100EEvPKT0_PS4_S4_, .Lfunc_end36-_Z6kernelI14inclusive_scanILN6hipcub18BlockScanAlgorithmE1EEdLj256ELj1ELj100EEvPKT0_PS4_S4_
                                        ; -- End function
	.section	.AMDGPU.csdata,"",@progbits
; Kernel info:
; codeLenInByte = 792
; NumSgprs: 18
; NumVgprs: 29
; ScratchSize: 0
; MemoryBound: 0
; FloatMode: 240
; IeeeMode: 1
; LDSByteSize: 2112 bytes/workgroup (compile time only)
; SGPRBlocks: 2
; VGPRBlocks: 3
; NumSGPRsForWavesPerEU: 18
; NumVGPRsForWavesPerEU: 29
; Occupancy: 16
; WaveLimiterHint : 0
; COMPUTE_PGM_RSRC2:SCRATCH_EN: 0
; COMPUTE_PGM_RSRC2:USER_SGPR: 15
; COMPUTE_PGM_RSRC2:TRAP_HANDLER: 0
; COMPUTE_PGM_RSRC2:TGID_X_EN: 1
; COMPUTE_PGM_RSRC2:TGID_Y_EN: 0
; COMPUTE_PGM_RSRC2:TGID_Z_EN: 0
; COMPUTE_PGM_RSRC2:TIDIG_COMP_CNT: 0
	.section	.text._Z6kernelI14inclusive_scanILN6hipcub18BlockScanAlgorithmE1EEdLj256ELj3ELj100EEvPKT0_PS4_S4_,"axG",@progbits,_Z6kernelI14inclusive_scanILN6hipcub18BlockScanAlgorithmE1EEdLj256ELj3ELj100EEvPKT0_PS4_S4_,comdat
	.protected	_Z6kernelI14inclusive_scanILN6hipcub18BlockScanAlgorithmE1EEdLj256ELj3ELj100EEvPKT0_PS4_S4_ ; -- Begin function _Z6kernelI14inclusive_scanILN6hipcub18BlockScanAlgorithmE1EEdLj256ELj3ELj100EEvPKT0_PS4_S4_
	.globl	_Z6kernelI14inclusive_scanILN6hipcub18BlockScanAlgorithmE1EEdLj256ELj3ELj100EEvPKT0_PS4_S4_
	.p2align	8
	.type	_Z6kernelI14inclusive_scanILN6hipcub18BlockScanAlgorithmE1EEdLj256ELj3ELj100EEvPKT0_PS4_S4_,@function
_Z6kernelI14inclusive_scanILN6hipcub18BlockScanAlgorithmE1EEdLj256ELj3ELj100EEvPKT0_PS4_S4_: ; @_Z6kernelI14inclusive_scanILN6hipcub18BlockScanAlgorithmE1EEdLj256ELj3ELj100EEvPKT0_PS4_S4_
; %bb.0:
	s_clause 0x1
	s_load_b32 s2, s[0:1], 0x24
	s_load_b128 s[4:7], s[0:1], 0x0
	v_mbcnt_lo_u32_b32 v35, -1, 0
	v_cmp_eq_u32_e64 s0, 0, v0
	v_cmp_ne_u32_e64 s1, 0, v0
	s_movk_i32 s3, 0x64
	s_delay_alu instid0(VALU_DEP_3) | instskip(SKIP_2) | instid1(SALU_CYCLE_1)
	v_and_b32_e32 v38, 15, v35
	s_waitcnt lgkmcnt(0)
	s_and_b32 s2, s2, 0xffff
	v_mad_u64_u32 v[1:2], null, s15, s2, v[0:1]
	s_delay_alu instid0(VALU_DEP_1) | instskip(NEXT) | instid1(VALU_DEP_1)
	v_lshl_add_u32 v1, v1, 1, v1
	v_dual_mov_b32 v2, 0 :: v_dual_add_nc_u32 v3, 1, v1
	s_delay_alu instid0(VALU_DEP_1) | instskip(SKIP_2) | instid1(VALU_DEP_3)
	v_mov_b32_e32 v4, v2
	v_lshlrev_b64 v[16:17], 3, v[1:2]
	v_add_nc_u32_e32 v1, 2, v1
	v_lshlrev_b64 v[20:21], 3, v[3:4]
	s_delay_alu instid0(VALU_DEP_2) | instskip(NEXT) | instid1(VALU_DEP_4)
	v_lshlrev_b64 v[18:19], 3, v[1:2]
	v_add_co_u32 v1, vcc_lo, s4, v16
	v_add_co_ci_u32_e32 v2, vcc_lo, s5, v17, vcc_lo
	s_delay_alu instid0(VALU_DEP_4)
	v_add_co_u32 v3, vcc_lo, s4, v20
	v_add_co_ci_u32_e32 v4, vcc_lo, s5, v21, vcc_lo
	v_add_co_u32 v5, vcc_lo, s4, v18
	v_add_co_ci_u32_e32 v6, vcc_lo, s5, v19, vcc_lo
	s_clause 0x2
	global_load_b64 v[22:23], v[1:2], off
	global_load_b64 v[24:25], v[3:4], off
	;; [unrolled: 1-line block ×3, first 2 shown]
	v_lshrrev_b32_e32 v1, 5, v0
	v_add_nc_u32_e32 v2, -1, v0
	v_lshrrev_b32_e32 v3, 2, v0
	v_cmp_gt_u32_e32 vcc_lo, 32, v0
	s_delay_alu instid0(VALU_DEP_4) | instskip(SKIP_2) | instid1(VALU_DEP_2)
	v_add_lshl_u32 v34, v1, v0, 3
	v_lshlrev_b32_e32 v1, 3, v0
	v_lshrrev_b32_e32 v4, 5, v2
	v_add_lshl_u32 v36, v3, v1, 3
	s_delay_alu instid0(VALU_DEP_2)
	v_add_lshl_u32 v37, v4, v2, 3
	s_branch .LBB37_2
.LBB37_1:                               ;   in Loop: Header=BB37_2 Depth=1
	s_or_b32 exec_lo, exec_lo, s2
	s_waitcnt lgkmcnt(0)
	v_add_f64 v[0:1], v[22:23], v[28:29]
	s_add_i32 s3, s3, -1
	s_delay_alu instid0(SALU_CYCLE_1) | instskip(NEXT) | instid1(VALU_DEP_1)
	s_cmp_lg_u32 s3, 0
	v_cndmask_b32_e64 v23, v1, v23, s0
	s_delay_alu instid0(VALU_DEP_2) | instskip(NEXT) | instid1(VALU_DEP_1)
	v_cndmask_b32_e64 v22, v0, v22, s0
	v_add_f64 v[24:25], v[24:25], v[22:23]
	s_delay_alu instid0(VALU_DEP_1)
	v_add_f64 v[26:27], v[26:27], v[24:25]
	s_cbranch_scc0 .LBB37_16
.LBB37_2:                               ; =>This Inner Loop Header: Depth=1
	s_waitcnt vmcnt(1)
	v_add_f64 v[0:1], v[22:23], v[24:25]
	s_waitcnt vmcnt(0)
	s_delay_alu instid0(VALU_DEP_1)
	v_add_f64 v[28:29], v[26:27], v[0:1]
	ds_store_b64 v34, v[28:29]
	s_waitcnt lgkmcnt(0)
	s_barrier
	buffer_gl0_inv
	s_and_saveexec_b32 s4, vcc_lo
	s_cbranch_execz .LBB37_14
; %bb.3:                                ;   in Loop: Header=BB37_2 Depth=1
	ds_load_2addr_b64 v[4:7], v36 offset1:1
	ds_load_2addr_b64 v[0:3], v36 offset0:2 offset1:3
	s_mov_b32 s5, exec_lo
	s_waitcnt lgkmcnt(1)
	v_add_f64 v[8:9], v[4:5], v[6:7]
	s_waitcnt lgkmcnt(0)
	s_delay_alu instid0(VALU_DEP_1) | instskip(NEXT) | instid1(VALU_DEP_1)
	v_add_f64 v[8:9], v[8:9], v[0:1]
	v_add_f64 v[30:31], v[8:9], v[2:3]
	ds_load_2addr_b64 v[8:11], v36 offset0:4 offset1:5
	ds_load_2addr_b64 v[12:15], v36 offset0:6 offset1:7
	s_waitcnt lgkmcnt(1)
	v_add_f64 v[30:31], v[30:31], v[8:9]
	s_delay_alu instid0(VALU_DEP_1) | instskip(SKIP_1) | instid1(VALU_DEP_1)
	v_add_f64 v[30:31], v[30:31], v[10:11]
	s_waitcnt lgkmcnt(0)
	v_add_f64 v[30:31], v[30:31], v[12:13]
	s_delay_alu instid0(VALU_DEP_1) | instskip(NEXT) | instid1(VALU_DEP_1)
	v_add_f64 v[30:31], v[30:31], v[14:15]
	v_mov_b32_dpp v32, v30 row_shr:1 row_mask:0xf bank_mask:0xf
	s_delay_alu instid0(VALU_DEP_2)
	v_mov_b32_dpp v33, v31 row_shr:1 row_mask:0xf bank_mask:0xf
	v_cmpx_ne_u32_e32 0, v38
; %bb.4:                                ;   in Loop: Header=BB37_2 Depth=1
	s_delay_alu instid0(VALU_DEP_2)
	v_add_f64 v[30:31], v[30:31], v[32:33]
; %bb.5:                                ;   in Loop: Header=BB37_2 Depth=1
	s_or_b32 exec_lo, exec_lo, s5
	s_delay_alu instid0(VALU_DEP_1) | instskip(NEXT) | instid1(VALU_DEP_2)
	v_mov_b32_dpp v32, v30 row_shr:2 row_mask:0xf bank_mask:0xf
	v_mov_b32_dpp v33, v31 row_shr:2 row_mask:0xf bank_mask:0xf
	s_mov_b32 s5, exec_lo
	v_cmpx_lt_u32_e32 1, v38
; %bb.6:                                ;   in Loop: Header=BB37_2 Depth=1
	s_delay_alu instid0(VALU_DEP_2)
	v_add_f64 v[30:31], v[30:31], v[32:33]
; %bb.7:                                ;   in Loop: Header=BB37_2 Depth=1
	s_or_b32 exec_lo, exec_lo, s5
	s_delay_alu instid0(VALU_DEP_1) | instskip(NEXT) | instid1(VALU_DEP_2)
	v_mov_b32_dpp v32, v30 row_shr:4 row_mask:0xf bank_mask:0xf
	v_mov_b32_dpp v33, v31 row_shr:4 row_mask:0xf bank_mask:0xf
	s_mov_b32 s5, exec_lo
	v_cmpx_lt_u32_e32 3, v38
; %bb.8:                                ;   in Loop: Header=BB37_2 Depth=1
	s_delay_alu instid0(VALU_DEP_2)
	v_add_f64 v[30:31], v[30:31], v[32:33]
; %bb.9:                                ;   in Loop: Header=BB37_2 Depth=1
	s_or_b32 exec_lo, exec_lo, s5
	s_delay_alu instid0(VALU_DEP_1) | instskip(NEXT) | instid1(VALU_DEP_2)
	v_mov_b32_dpp v32, v30 row_shr:8 row_mask:0xf bank_mask:0xf
	v_mov_b32_dpp v33, v31 row_shr:8 row_mask:0xf bank_mask:0xf
	s_mov_b32 s5, exec_lo
	v_cmpx_lt_u32_e32 7, v38
; %bb.10:                               ;   in Loop: Header=BB37_2 Depth=1
	s_delay_alu instid0(VALU_DEP_2)
	v_add_f64 v[30:31], v[30:31], v[32:33]
; %bb.11:                               ;   in Loop: Header=BB37_2 Depth=1
	s_or_b32 exec_lo, exec_lo, s5
	ds_swizzle_b32 v32, v30 offset:swizzle(BROADCAST,32,15)
	ds_swizzle_b32 v33, v31 offset:swizzle(BROADCAST,32,15)
	v_and_b32_e32 v39, 16, v35
	s_mov_b32 s5, exec_lo
	s_delay_alu instid0(VALU_DEP_1)
	v_cmpx_ne_u32_e32 0, v39
	s_cbranch_execz .LBB37_13
; %bb.12:                               ;   in Loop: Header=BB37_2 Depth=1
	s_waitcnt lgkmcnt(0)
	v_add_f64 v[30:31], v[30:31], v[32:33]
.LBB37_13:                              ;   in Loop: Header=BB37_2 Depth=1
	s_or_b32 exec_lo, exec_lo, s5
	s_waitcnt lgkmcnt(1)
	v_add_nc_u32_e32 v32, -1, v35
	s_delay_alu instid0(VALU_DEP_1) | instskip(NEXT) | instid1(VALU_DEP_1)
	v_cmp_gt_i32_e64 s2, 0, v32
	v_cndmask_b32_e64 v32, v32, v35, s2
	s_delay_alu instid0(VALU_DEP_1) | instskip(SKIP_4) | instid1(VALU_DEP_1)
	v_lshlrev_b32_e32 v32, 2, v32
	ds_bpermute_b32 v30, v32, v30
	ds_bpermute_b32 v31, v32, v31
	s_waitcnt lgkmcnt(0)
	v_add_f64 v[4:5], v[4:5], v[30:31]
	v_cndmask_b32_e64 v5, v5, v29, s0
	s_delay_alu instid0(VALU_DEP_2) | instskip(NEXT) | instid1(VALU_DEP_1)
	v_cndmask_b32_e64 v4, v4, v28, s0
	v_add_f64 v[6:7], v[6:7], v[4:5]
	s_delay_alu instid0(VALU_DEP_1) | instskip(NEXT) | instid1(VALU_DEP_1)
	v_add_f64 v[0:1], v[0:1], v[6:7]
	v_add_f64 v[2:3], v[2:3], v[0:1]
	s_delay_alu instid0(VALU_DEP_1) | instskip(NEXT) | instid1(VALU_DEP_1)
	v_add_f64 v[8:9], v[8:9], v[2:3]
	;; [unrolled: 3-line block ×3, first 2 shown]
	v_add_f64 v[14:15], v[14:15], v[12:13]
	ds_store_2addr_b64 v36, v[4:5], v[6:7] offset1:1
	ds_store_2addr_b64 v36, v[0:1], v[2:3] offset0:2 offset1:3
	ds_store_2addr_b64 v36, v[8:9], v[10:11] offset0:4 offset1:5
	;; [unrolled: 1-line block ×3, first 2 shown]
.LBB37_14:                              ;   in Loop: Header=BB37_2 Depth=1
	s_or_b32 exec_lo, exec_lo, s4
	s_waitcnt lgkmcnt(0)
	s_barrier
	buffer_gl0_inv
	s_and_saveexec_b32 s2, s1
	s_cbranch_execz .LBB37_1
; %bb.15:                               ;   in Loop: Header=BB37_2 Depth=1
	ds_load_b64 v[28:29], v37
	s_branch .LBB37_1
.LBB37_16:
	v_add_co_u32 v0, vcc_lo, s6, v16
	v_add_co_ci_u32_e32 v1, vcc_lo, s7, v17, vcc_lo
	v_add_co_u32 v2, vcc_lo, s6, v20
	v_add_co_ci_u32_e32 v3, vcc_lo, s7, v21, vcc_lo
	;; [unrolled: 2-line block ×3, first 2 shown]
	s_clause 0x2
	global_store_b64 v[0:1], v[22:23], off
	global_store_b64 v[2:3], v[24:25], off
	;; [unrolled: 1-line block ×3, first 2 shown]
	s_nop 0
	s_sendmsg sendmsg(MSG_DEALLOC_VGPRS)
	s_endpgm
	.section	.rodata,"a",@progbits
	.p2align	6, 0x0
	.amdhsa_kernel _Z6kernelI14inclusive_scanILN6hipcub18BlockScanAlgorithmE1EEdLj256ELj3ELj100EEvPKT0_PS4_S4_
		.amdhsa_group_segment_fixed_size 2112
		.amdhsa_private_segment_fixed_size 0
		.amdhsa_kernarg_size 280
		.amdhsa_user_sgpr_count 15
		.amdhsa_user_sgpr_dispatch_ptr 0
		.amdhsa_user_sgpr_queue_ptr 0
		.amdhsa_user_sgpr_kernarg_segment_ptr 1
		.amdhsa_user_sgpr_dispatch_id 0
		.amdhsa_user_sgpr_private_segment_size 0
		.amdhsa_wavefront_size32 1
		.amdhsa_uses_dynamic_stack 0
		.amdhsa_enable_private_segment 0
		.amdhsa_system_sgpr_workgroup_id_x 1
		.amdhsa_system_sgpr_workgroup_id_y 0
		.amdhsa_system_sgpr_workgroup_id_z 0
		.amdhsa_system_sgpr_workgroup_info 0
		.amdhsa_system_vgpr_workitem_id 0
		.amdhsa_next_free_vgpr 40
		.amdhsa_next_free_sgpr 16
		.amdhsa_reserve_vcc 1
		.amdhsa_float_round_mode_32 0
		.amdhsa_float_round_mode_16_64 0
		.amdhsa_float_denorm_mode_32 3
		.amdhsa_float_denorm_mode_16_64 3
		.amdhsa_dx10_clamp 1
		.amdhsa_ieee_mode 1
		.amdhsa_fp16_overflow 0
		.amdhsa_workgroup_processor_mode 1
		.amdhsa_memory_ordered 1
		.amdhsa_forward_progress 0
		.amdhsa_shared_vgpr_count 0
		.amdhsa_exception_fp_ieee_invalid_op 0
		.amdhsa_exception_fp_denorm_src 0
		.amdhsa_exception_fp_ieee_div_zero 0
		.amdhsa_exception_fp_ieee_overflow 0
		.amdhsa_exception_fp_ieee_underflow 0
		.amdhsa_exception_fp_ieee_inexact 0
		.amdhsa_exception_int_div_zero 0
	.end_amdhsa_kernel
	.section	.text._Z6kernelI14inclusive_scanILN6hipcub18BlockScanAlgorithmE1EEdLj256ELj3ELj100EEvPKT0_PS4_S4_,"axG",@progbits,_Z6kernelI14inclusive_scanILN6hipcub18BlockScanAlgorithmE1EEdLj256ELj3ELj100EEvPKT0_PS4_S4_,comdat
.Lfunc_end37:
	.size	_Z6kernelI14inclusive_scanILN6hipcub18BlockScanAlgorithmE1EEdLj256ELj3ELj100EEvPKT0_PS4_S4_, .Lfunc_end37-_Z6kernelI14inclusive_scanILN6hipcub18BlockScanAlgorithmE1EEdLj256ELj3ELj100EEvPKT0_PS4_S4_
                                        ; -- End function
	.section	.AMDGPU.csdata,"",@progbits
; Kernel info:
; codeLenInByte = 1040
; NumSgprs: 18
; NumVgprs: 40
; ScratchSize: 0
; MemoryBound: 0
; FloatMode: 240
; IeeeMode: 1
; LDSByteSize: 2112 bytes/workgroup (compile time only)
; SGPRBlocks: 2
; VGPRBlocks: 4
; NumSGPRsForWavesPerEU: 18
; NumVGPRsForWavesPerEU: 40
; Occupancy: 16
; WaveLimiterHint : 0
; COMPUTE_PGM_RSRC2:SCRATCH_EN: 0
; COMPUTE_PGM_RSRC2:USER_SGPR: 15
; COMPUTE_PGM_RSRC2:TRAP_HANDLER: 0
; COMPUTE_PGM_RSRC2:TGID_X_EN: 1
; COMPUTE_PGM_RSRC2:TGID_Y_EN: 0
; COMPUTE_PGM_RSRC2:TGID_Z_EN: 0
; COMPUTE_PGM_RSRC2:TIDIG_COMP_CNT: 0
	.section	.text._Z6kernelI14inclusive_scanILN6hipcub18BlockScanAlgorithmE1EEdLj256ELj4ELj100EEvPKT0_PS4_S4_,"axG",@progbits,_Z6kernelI14inclusive_scanILN6hipcub18BlockScanAlgorithmE1EEdLj256ELj4ELj100EEvPKT0_PS4_S4_,comdat
	.protected	_Z6kernelI14inclusive_scanILN6hipcub18BlockScanAlgorithmE1EEdLj256ELj4ELj100EEvPKT0_PS4_S4_ ; -- Begin function _Z6kernelI14inclusive_scanILN6hipcub18BlockScanAlgorithmE1EEdLj256ELj4ELj100EEvPKT0_PS4_S4_
	.globl	_Z6kernelI14inclusive_scanILN6hipcub18BlockScanAlgorithmE1EEdLj256ELj4ELj100EEvPKT0_PS4_S4_
	.p2align	8
	.type	_Z6kernelI14inclusive_scanILN6hipcub18BlockScanAlgorithmE1EEdLj256ELj4ELj100EEvPKT0_PS4_S4_,@function
_Z6kernelI14inclusive_scanILN6hipcub18BlockScanAlgorithmE1EEdLj256ELj4ELj100EEvPKT0_PS4_S4_: ; @_Z6kernelI14inclusive_scanILN6hipcub18BlockScanAlgorithmE1EEdLj256ELj4ELj100EEvPKT0_PS4_S4_
; %bb.0:
	s_clause 0x1
	s_load_b32 s2, s[0:1], 0x24
	s_load_b128 s[4:7], s[0:1], 0x0
	v_mov_b32_e32 v2, 0
	v_lshrrev_b32_e32 v9, 5, v0
	v_add_nc_u32_e32 v10, -1, v0
	v_lshrrev_b32_e32 v11, 2, v0
	v_mbcnt_lo_u32_b32 v34, -1, 0
	v_cmp_ne_u32_e64 s1, 0, v0
	v_add_lshl_u32 v33, v9, v0, 3
	v_lshlrev_b32_e32 v9, 3, v0
	v_lshrrev_b32_e32 v12, 5, v10
	v_and_b32_e32 v36, 15, v34
	s_movk_i32 s3, 0x64
	s_delay_alu instid0(VALU_DEP_2) | instskip(SKIP_2) | instid1(SALU_CYCLE_1)
	v_add_lshl_u32 v35, v12, v10, 3
	s_waitcnt lgkmcnt(0)
	s_and_b32 s0, s2, 0xffff
	s_mul_i32 s15, s15, s0
	v_cmp_eq_u32_e64 s0, 0, v0
	v_add_lshl_u32 v1, s15, v0, 2
	s_delay_alu instid0(VALU_DEP_1) | instskip(NEXT) | instid1(VALU_DEP_1)
	v_lshlrev_b64 v[25:26], 3, v[1:2]
	v_add_co_u32 v5, vcc_lo, s4, v25
	s_delay_alu instid0(VALU_DEP_2)
	v_add_co_ci_u32_e32 v6, vcc_lo, s5, v26, vcc_lo
	v_cmp_gt_u32_e32 vcc_lo, 32, v0
	v_add_lshl_u32 v0, v11, v9, 3
	s_clause 0x1
	global_load_b128 v[1:4], v[5:6], off offset:16
	global_load_b128 v[5:8], v[5:6], off
	s_branch .LBB38_2
.LBB38_1:                               ;   in Loop: Header=BB38_2 Depth=1
	s_or_b32 exec_lo, exec_lo, s2
	s_waitcnt lgkmcnt(0)
	v_add_f64 v[9:10], v[5:6], v[27:28]
	s_add_i32 s3, s3, -1
	s_delay_alu instid0(SALU_CYCLE_1) | instskip(NEXT) | instid1(VALU_DEP_1)
	s_cmp_lg_u32 s3, 0
	v_cndmask_b32_e64 v6, v10, v6, s0
	s_delay_alu instid0(VALU_DEP_2) | instskip(NEXT) | instid1(VALU_DEP_1)
	v_cndmask_b32_e64 v5, v9, v5, s0
	v_add_f64 v[7:8], v[7:8], v[5:6]
	s_delay_alu instid0(VALU_DEP_1) | instskip(NEXT) | instid1(VALU_DEP_1)
	v_add_f64 v[1:2], v[1:2], v[7:8]
	v_add_f64 v[3:4], v[3:4], v[1:2]
	s_cbranch_scc0 .LBB38_16
.LBB38_2:                               ; =>This Inner Loop Header: Depth=1
	s_waitcnt vmcnt(0)
	v_add_f64 v[9:10], v[5:6], v[7:8]
	s_delay_alu instid0(VALU_DEP_1) | instskip(NEXT) | instid1(VALU_DEP_1)
	v_add_f64 v[9:10], v[1:2], v[9:10]
	v_add_f64 v[27:28], v[3:4], v[9:10]
	ds_store_b64 v33, v[27:28]
	s_waitcnt lgkmcnt(0)
	s_barrier
	buffer_gl0_inv
	s_and_saveexec_b32 s4, vcc_lo
	s_cbranch_execz .LBB38_14
; %bb.3:                                ;   in Loop: Header=BB38_2 Depth=1
	ds_load_2addr_b64 v[13:16], v0 offset1:1
	ds_load_2addr_b64 v[9:12], v0 offset0:2 offset1:3
	s_mov_b32 s5, exec_lo
	s_waitcnt lgkmcnt(1)
	v_add_f64 v[17:18], v[13:14], v[15:16]
	s_waitcnt lgkmcnt(0)
	s_delay_alu instid0(VALU_DEP_1) | instskip(NEXT) | instid1(VALU_DEP_1)
	v_add_f64 v[17:18], v[17:18], v[9:10]
	v_add_f64 v[29:30], v[17:18], v[11:12]
	ds_load_2addr_b64 v[17:20], v0 offset0:4 offset1:5
	ds_load_2addr_b64 v[21:24], v0 offset0:6 offset1:7
	s_waitcnt lgkmcnt(1)
	v_add_f64 v[29:30], v[29:30], v[17:18]
	s_delay_alu instid0(VALU_DEP_1) | instskip(SKIP_1) | instid1(VALU_DEP_1)
	v_add_f64 v[29:30], v[29:30], v[19:20]
	s_waitcnt lgkmcnt(0)
	v_add_f64 v[29:30], v[29:30], v[21:22]
	s_delay_alu instid0(VALU_DEP_1) | instskip(NEXT) | instid1(VALU_DEP_1)
	v_add_f64 v[29:30], v[29:30], v[23:24]
	v_mov_b32_dpp v31, v29 row_shr:1 row_mask:0xf bank_mask:0xf
	s_delay_alu instid0(VALU_DEP_2)
	v_mov_b32_dpp v32, v30 row_shr:1 row_mask:0xf bank_mask:0xf
	v_cmpx_ne_u32_e32 0, v36
; %bb.4:                                ;   in Loop: Header=BB38_2 Depth=1
	s_delay_alu instid0(VALU_DEP_2)
	v_add_f64 v[29:30], v[29:30], v[31:32]
; %bb.5:                                ;   in Loop: Header=BB38_2 Depth=1
	s_or_b32 exec_lo, exec_lo, s5
	s_delay_alu instid0(VALU_DEP_1) | instskip(NEXT) | instid1(VALU_DEP_2)
	v_mov_b32_dpp v31, v29 row_shr:2 row_mask:0xf bank_mask:0xf
	v_mov_b32_dpp v32, v30 row_shr:2 row_mask:0xf bank_mask:0xf
	s_mov_b32 s5, exec_lo
	v_cmpx_lt_u32_e32 1, v36
; %bb.6:                                ;   in Loop: Header=BB38_2 Depth=1
	s_delay_alu instid0(VALU_DEP_2)
	v_add_f64 v[29:30], v[29:30], v[31:32]
; %bb.7:                                ;   in Loop: Header=BB38_2 Depth=1
	s_or_b32 exec_lo, exec_lo, s5
	s_delay_alu instid0(VALU_DEP_1) | instskip(NEXT) | instid1(VALU_DEP_2)
	v_mov_b32_dpp v31, v29 row_shr:4 row_mask:0xf bank_mask:0xf
	v_mov_b32_dpp v32, v30 row_shr:4 row_mask:0xf bank_mask:0xf
	s_mov_b32 s5, exec_lo
	v_cmpx_lt_u32_e32 3, v36
	;; [unrolled: 10-line block ×3, first 2 shown]
; %bb.10:                               ;   in Loop: Header=BB38_2 Depth=1
	s_delay_alu instid0(VALU_DEP_2)
	v_add_f64 v[29:30], v[29:30], v[31:32]
; %bb.11:                               ;   in Loop: Header=BB38_2 Depth=1
	s_or_b32 exec_lo, exec_lo, s5
	ds_swizzle_b32 v31, v29 offset:swizzle(BROADCAST,32,15)
	ds_swizzle_b32 v32, v30 offset:swizzle(BROADCAST,32,15)
	v_and_b32_e32 v37, 16, v34
	s_mov_b32 s5, exec_lo
	s_delay_alu instid0(VALU_DEP_1)
	v_cmpx_ne_u32_e32 0, v37
	s_cbranch_execz .LBB38_13
; %bb.12:                               ;   in Loop: Header=BB38_2 Depth=1
	s_waitcnt lgkmcnt(0)
	v_add_f64 v[29:30], v[29:30], v[31:32]
.LBB38_13:                              ;   in Loop: Header=BB38_2 Depth=1
	s_or_b32 exec_lo, exec_lo, s5
	s_waitcnt lgkmcnt(1)
	v_add_nc_u32_e32 v31, -1, v34
	s_delay_alu instid0(VALU_DEP_1) | instskip(NEXT) | instid1(VALU_DEP_1)
	v_cmp_gt_i32_e64 s2, 0, v31
	v_cndmask_b32_e64 v31, v31, v34, s2
	s_delay_alu instid0(VALU_DEP_1) | instskip(SKIP_4) | instid1(VALU_DEP_1)
	v_lshlrev_b32_e32 v31, 2, v31
	ds_bpermute_b32 v29, v31, v29
	ds_bpermute_b32 v30, v31, v30
	s_waitcnt lgkmcnt(0)
	v_add_f64 v[13:14], v[13:14], v[29:30]
	v_cndmask_b32_e64 v14, v14, v28, s0
	s_delay_alu instid0(VALU_DEP_2) | instskip(NEXT) | instid1(VALU_DEP_1)
	v_cndmask_b32_e64 v13, v13, v27, s0
	v_add_f64 v[15:16], v[15:16], v[13:14]
	s_delay_alu instid0(VALU_DEP_1) | instskip(NEXT) | instid1(VALU_DEP_1)
	v_add_f64 v[9:10], v[9:10], v[15:16]
	v_add_f64 v[11:12], v[11:12], v[9:10]
	s_delay_alu instid0(VALU_DEP_1) | instskip(NEXT) | instid1(VALU_DEP_1)
	v_add_f64 v[17:18], v[17:18], v[11:12]
	;; [unrolled: 3-line block ×3, first 2 shown]
	v_add_f64 v[23:24], v[23:24], v[21:22]
	ds_store_2addr_b64 v0, v[13:14], v[15:16] offset1:1
	ds_store_2addr_b64 v0, v[9:10], v[11:12] offset0:2 offset1:3
	ds_store_2addr_b64 v0, v[17:18], v[19:20] offset0:4 offset1:5
	;; [unrolled: 1-line block ×3, first 2 shown]
.LBB38_14:                              ;   in Loop: Header=BB38_2 Depth=1
	s_or_b32 exec_lo, exec_lo, s4
	s_waitcnt lgkmcnt(0)
	s_barrier
	buffer_gl0_inv
	s_and_saveexec_b32 s2, s1
	s_cbranch_execz .LBB38_1
; %bb.15:                               ;   in Loop: Header=BB38_2 Depth=1
	ds_load_b64 v[27:28], v35
	s_branch .LBB38_1
.LBB38_16:
	v_add_co_u32 v9, vcc_lo, s6, v25
	v_add_co_ci_u32_e32 v10, vcc_lo, s7, v26, vcc_lo
	s_clause 0x1
	global_store_b128 v[9:10], v[5:8], off
	global_store_b128 v[9:10], v[1:4], off offset:16
	s_nop 0
	s_sendmsg sendmsg(MSG_DEALLOC_VGPRS)
	s_endpgm
	.section	.rodata,"a",@progbits
	.p2align	6, 0x0
	.amdhsa_kernel _Z6kernelI14inclusive_scanILN6hipcub18BlockScanAlgorithmE1EEdLj256ELj4ELj100EEvPKT0_PS4_S4_
		.amdhsa_group_segment_fixed_size 2112
		.amdhsa_private_segment_fixed_size 0
		.amdhsa_kernarg_size 280
		.amdhsa_user_sgpr_count 15
		.amdhsa_user_sgpr_dispatch_ptr 0
		.amdhsa_user_sgpr_queue_ptr 0
		.amdhsa_user_sgpr_kernarg_segment_ptr 1
		.amdhsa_user_sgpr_dispatch_id 0
		.amdhsa_user_sgpr_private_segment_size 0
		.amdhsa_wavefront_size32 1
		.amdhsa_uses_dynamic_stack 0
		.amdhsa_enable_private_segment 0
		.amdhsa_system_sgpr_workgroup_id_x 1
		.amdhsa_system_sgpr_workgroup_id_y 0
		.amdhsa_system_sgpr_workgroup_id_z 0
		.amdhsa_system_sgpr_workgroup_info 0
		.amdhsa_system_vgpr_workitem_id 0
		.amdhsa_next_free_vgpr 38
		.amdhsa_next_free_sgpr 16
		.amdhsa_reserve_vcc 1
		.amdhsa_float_round_mode_32 0
		.amdhsa_float_round_mode_16_64 0
		.amdhsa_float_denorm_mode_32 3
		.amdhsa_float_denorm_mode_16_64 3
		.amdhsa_dx10_clamp 1
		.amdhsa_ieee_mode 1
		.amdhsa_fp16_overflow 0
		.amdhsa_workgroup_processor_mode 1
		.amdhsa_memory_ordered 1
		.amdhsa_forward_progress 0
		.amdhsa_shared_vgpr_count 0
		.amdhsa_exception_fp_ieee_invalid_op 0
		.amdhsa_exception_fp_denorm_src 0
		.amdhsa_exception_fp_ieee_div_zero 0
		.amdhsa_exception_fp_ieee_overflow 0
		.amdhsa_exception_fp_ieee_underflow 0
		.amdhsa_exception_fp_ieee_inexact 0
		.amdhsa_exception_int_div_zero 0
	.end_amdhsa_kernel
	.section	.text._Z6kernelI14inclusive_scanILN6hipcub18BlockScanAlgorithmE1EEdLj256ELj4ELj100EEvPKT0_PS4_S4_,"axG",@progbits,_Z6kernelI14inclusive_scanILN6hipcub18BlockScanAlgorithmE1EEdLj256ELj4ELj100EEvPKT0_PS4_S4_,comdat
.Lfunc_end38:
	.size	_Z6kernelI14inclusive_scanILN6hipcub18BlockScanAlgorithmE1EEdLj256ELj4ELj100EEvPKT0_PS4_S4_, .Lfunc_end38-_Z6kernelI14inclusive_scanILN6hipcub18BlockScanAlgorithmE1EEdLj256ELj4ELj100EEvPKT0_PS4_S4_
                                        ; -- End function
	.section	.AMDGPU.csdata,"",@progbits
; Kernel info:
; codeLenInByte = 940
; NumSgprs: 18
; NumVgprs: 38
; ScratchSize: 0
; MemoryBound: 0
; FloatMode: 240
; IeeeMode: 1
; LDSByteSize: 2112 bytes/workgroup (compile time only)
; SGPRBlocks: 2
; VGPRBlocks: 4
; NumSGPRsForWavesPerEU: 18
; NumVGPRsForWavesPerEU: 38
; Occupancy: 16
; WaveLimiterHint : 0
; COMPUTE_PGM_RSRC2:SCRATCH_EN: 0
; COMPUTE_PGM_RSRC2:USER_SGPR: 15
; COMPUTE_PGM_RSRC2:TRAP_HANDLER: 0
; COMPUTE_PGM_RSRC2:TGID_X_EN: 1
; COMPUTE_PGM_RSRC2:TGID_Y_EN: 0
; COMPUTE_PGM_RSRC2:TGID_Z_EN: 0
; COMPUTE_PGM_RSRC2:TIDIG_COMP_CNT: 0
	.section	.text._Z6kernelI14inclusive_scanILN6hipcub18BlockScanAlgorithmE1EEdLj256ELj8ELj100EEvPKT0_PS4_S4_,"axG",@progbits,_Z6kernelI14inclusive_scanILN6hipcub18BlockScanAlgorithmE1EEdLj256ELj8ELj100EEvPKT0_PS4_S4_,comdat
	.protected	_Z6kernelI14inclusive_scanILN6hipcub18BlockScanAlgorithmE1EEdLj256ELj8ELj100EEvPKT0_PS4_S4_ ; -- Begin function _Z6kernelI14inclusive_scanILN6hipcub18BlockScanAlgorithmE1EEdLj256ELj8ELj100EEvPKT0_PS4_S4_
	.globl	_Z6kernelI14inclusive_scanILN6hipcub18BlockScanAlgorithmE1EEdLj256ELj8ELj100EEvPKT0_PS4_S4_
	.p2align	8
	.type	_Z6kernelI14inclusive_scanILN6hipcub18BlockScanAlgorithmE1EEdLj256ELj8ELj100EEvPKT0_PS4_S4_,@function
_Z6kernelI14inclusive_scanILN6hipcub18BlockScanAlgorithmE1EEdLj256ELj8ELj100EEvPKT0_PS4_S4_: ; @_Z6kernelI14inclusive_scanILN6hipcub18BlockScanAlgorithmE1EEdLj256ELj8ELj100EEvPKT0_PS4_S4_
; %bb.0:
	s_clause 0x1
	s_load_b32 s2, s[0:1], 0x24
	s_load_b128 s[4:7], s[0:1], 0x0
	v_mov_b32_e32 v2, 0
	v_lshrrev_b32_e32 v17, 5, v0
	v_add_nc_u32_e32 v18, -1, v0
	v_lshrrev_b32_e32 v19, 2, v0
	v_mbcnt_lo_u32_b32 v42, -1, 0
	v_cmp_ne_u32_e64 s1, 0, v0
	v_add_lshl_u32 v41, v17, v0, 3
	v_lshlrev_b32_e32 v17, 3, v0
	v_lshrrev_b32_e32 v20, 5, v18
	v_and_b32_e32 v44, 15, v42
	s_movk_i32 s3, 0x64
	s_delay_alu instid0(VALU_DEP_2) | instskip(SKIP_2) | instid1(SALU_CYCLE_1)
	v_add_lshl_u32 v43, v20, v18, 3
	s_waitcnt lgkmcnt(0)
	s_and_b32 s0, s2, 0xffff
	s_mul_i32 s15, s15, s0
	v_cmp_eq_u32_e64 s0, 0, v0
	v_add_lshl_u32 v1, s15, v0, 3
	s_delay_alu instid0(VALU_DEP_1) | instskip(NEXT) | instid1(VALU_DEP_1)
	v_lshlrev_b64 v[33:34], 3, v[1:2]
	v_add_co_u32 v13, vcc_lo, s4, v33
	s_delay_alu instid0(VALU_DEP_2)
	v_add_co_ci_u32_e32 v14, vcc_lo, s5, v34, vcc_lo
	v_cmp_gt_u32_e32 vcc_lo, 32, v0
	v_add_lshl_u32 v0, v19, v17, 3
	s_clause 0x3
	global_load_b128 v[1:4], v[13:14], off offset:48
	global_load_b128 v[5:8], v[13:14], off offset:32
	;; [unrolled: 1-line block ×3, first 2 shown]
	global_load_b128 v[13:16], v[13:14], off
	s_branch .LBB39_2
.LBB39_1:                               ;   in Loop: Header=BB39_2 Depth=1
	s_or_b32 exec_lo, exec_lo, s2
	s_waitcnt lgkmcnt(0)
	v_add_f64 v[17:18], v[13:14], v[35:36]
	s_add_i32 s3, s3, -1
	s_delay_alu instid0(SALU_CYCLE_1) | instskip(NEXT) | instid1(VALU_DEP_1)
	s_cmp_lg_u32 s3, 0
	v_cndmask_b32_e64 v14, v18, v14, s0
	s_delay_alu instid0(VALU_DEP_2) | instskip(NEXT) | instid1(VALU_DEP_1)
	v_cndmask_b32_e64 v13, v17, v13, s0
	v_add_f64 v[15:16], v[15:16], v[13:14]
	s_delay_alu instid0(VALU_DEP_1) | instskip(NEXT) | instid1(VALU_DEP_1)
	v_add_f64 v[9:10], v[9:10], v[15:16]
	v_add_f64 v[11:12], v[11:12], v[9:10]
	s_delay_alu instid0(VALU_DEP_1) | instskip(NEXT) | instid1(VALU_DEP_1)
	v_add_f64 v[5:6], v[5:6], v[11:12]
	;; [unrolled: 3-line block ×3, first 2 shown]
	v_add_f64 v[3:4], v[3:4], v[1:2]
	s_cbranch_scc0 .LBB39_16
.LBB39_2:                               ; =>This Inner Loop Header: Depth=1
	s_waitcnt vmcnt(0)
	v_add_f64 v[17:18], v[15:16], v[13:14]
	s_delay_alu instid0(VALU_DEP_1) | instskip(NEXT) | instid1(VALU_DEP_1)
	v_add_f64 v[17:18], v[9:10], v[17:18]
	v_add_f64 v[17:18], v[11:12], v[17:18]
	s_delay_alu instid0(VALU_DEP_1) | instskip(NEXT) | instid1(VALU_DEP_1)
	v_add_f64 v[17:18], v[5:6], v[17:18]
	;; [unrolled: 3-line block ×3, first 2 shown]
	v_add_f64 v[35:36], v[3:4], v[17:18]
	ds_store_b64 v41, v[35:36]
	s_waitcnt lgkmcnt(0)
	s_barrier
	buffer_gl0_inv
	s_and_saveexec_b32 s4, vcc_lo
	s_cbranch_execz .LBB39_14
; %bb.3:                                ;   in Loop: Header=BB39_2 Depth=1
	ds_load_2addr_b64 v[21:24], v0 offset1:1
	ds_load_2addr_b64 v[17:20], v0 offset0:2 offset1:3
	s_mov_b32 s5, exec_lo
	s_waitcnt lgkmcnt(1)
	v_add_f64 v[25:26], v[21:22], v[23:24]
	s_waitcnt lgkmcnt(0)
	s_delay_alu instid0(VALU_DEP_1) | instskip(NEXT) | instid1(VALU_DEP_1)
	v_add_f64 v[25:26], v[25:26], v[17:18]
	v_add_f64 v[37:38], v[25:26], v[19:20]
	ds_load_2addr_b64 v[25:28], v0 offset0:4 offset1:5
	ds_load_2addr_b64 v[29:32], v0 offset0:6 offset1:7
	s_waitcnt lgkmcnt(1)
	v_add_f64 v[37:38], v[37:38], v[25:26]
	s_delay_alu instid0(VALU_DEP_1) | instskip(SKIP_1) | instid1(VALU_DEP_1)
	v_add_f64 v[37:38], v[37:38], v[27:28]
	s_waitcnt lgkmcnt(0)
	v_add_f64 v[37:38], v[37:38], v[29:30]
	s_delay_alu instid0(VALU_DEP_1) | instskip(NEXT) | instid1(VALU_DEP_1)
	v_add_f64 v[37:38], v[37:38], v[31:32]
	v_mov_b32_dpp v39, v37 row_shr:1 row_mask:0xf bank_mask:0xf
	s_delay_alu instid0(VALU_DEP_2)
	v_mov_b32_dpp v40, v38 row_shr:1 row_mask:0xf bank_mask:0xf
	v_cmpx_ne_u32_e32 0, v44
; %bb.4:                                ;   in Loop: Header=BB39_2 Depth=1
	s_delay_alu instid0(VALU_DEP_2)
	v_add_f64 v[37:38], v[37:38], v[39:40]
; %bb.5:                                ;   in Loop: Header=BB39_2 Depth=1
	s_or_b32 exec_lo, exec_lo, s5
	s_delay_alu instid0(VALU_DEP_1) | instskip(NEXT) | instid1(VALU_DEP_2)
	v_mov_b32_dpp v39, v37 row_shr:2 row_mask:0xf bank_mask:0xf
	v_mov_b32_dpp v40, v38 row_shr:2 row_mask:0xf bank_mask:0xf
	s_mov_b32 s5, exec_lo
	v_cmpx_lt_u32_e32 1, v44
; %bb.6:                                ;   in Loop: Header=BB39_2 Depth=1
	s_delay_alu instid0(VALU_DEP_2)
	v_add_f64 v[37:38], v[37:38], v[39:40]
; %bb.7:                                ;   in Loop: Header=BB39_2 Depth=1
	s_or_b32 exec_lo, exec_lo, s5
	s_delay_alu instid0(VALU_DEP_1) | instskip(NEXT) | instid1(VALU_DEP_2)
	v_mov_b32_dpp v39, v37 row_shr:4 row_mask:0xf bank_mask:0xf
	v_mov_b32_dpp v40, v38 row_shr:4 row_mask:0xf bank_mask:0xf
	s_mov_b32 s5, exec_lo
	v_cmpx_lt_u32_e32 3, v44
	;; [unrolled: 10-line block ×3, first 2 shown]
; %bb.10:                               ;   in Loop: Header=BB39_2 Depth=1
	s_delay_alu instid0(VALU_DEP_2)
	v_add_f64 v[37:38], v[37:38], v[39:40]
; %bb.11:                               ;   in Loop: Header=BB39_2 Depth=1
	s_or_b32 exec_lo, exec_lo, s5
	ds_swizzle_b32 v39, v37 offset:swizzle(BROADCAST,32,15)
	ds_swizzle_b32 v40, v38 offset:swizzle(BROADCAST,32,15)
	v_and_b32_e32 v45, 16, v42
	s_mov_b32 s5, exec_lo
	s_delay_alu instid0(VALU_DEP_1)
	v_cmpx_ne_u32_e32 0, v45
	s_cbranch_execz .LBB39_13
; %bb.12:                               ;   in Loop: Header=BB39_2 Depth=1
	s_waitcnt lgkmcnt(0)
	v_add_f64 v[37:38], v[37:38], v[39:40]
.LBB39_13:                              ;   in Loop: Header=BB39_2 Depth=1
	s_or_b32 exec_lo, exec_lo, s5
	s_waitcnt lgkmcnt(1)
	v_add_nc_u32_e32 v39, -1, v42
	s_delay_alu instid0(VALU_DEP_1) | instskip(NEXT) | instid1(VALU_DEP_1)
	v_cmp_gt_i32_e64 s2, 0, v39
	v_cndmask_b32_e64 v39, v39, v42, s2
	s_delay_alu instid0(VALU_DEP_1) | instskip(SKIP_4) | instid1(VALU_DEP_1)
	v_lshlrev_b32_e32 v39, 2, v39
	ds_bpermute_b32 v37, v39, v37
	ds_bpermute_b32 v38, v39, v38
	s_waitcnt lgkmcnt(0)
	v_add_f64 v[21:22], v[21:22], v[37:38]
	v_cndmask_b32_e64 v22, v22, v36, s0
	s_delay_alu instid0(VALU_DEP_2) | instskip(NEXT) | instid1(VALU_DEP_1)
	v_cndmask_b32_e64 v21, v21, v35, s0
	v_add_f64 v[23:24], v[23:24], v[21:22]
	s_delay_alu instid0(VALU_DEP_1) | instskip(NEXT) | instid1(VALU_DEP_1)
	v_add_f64 v[17:18], v[17:18], v[23:24]
	v_add_f64 v[19:20], v[19:20], v[17:18]
	s_delay_alu instid0(VALU_DEP_1) | instskip(NEXT) | instid1(VALU_DEP_1)
	v_add_f64 v[25:26], v[25:26], v[19:20]
	v_add_f64 v[27:28], v[27:28], v[25:26]
	s_delay_alu instid0(VALU_DEP_1) | instskip(NEXT) | instid1(VALU_DEP_1)
	v_add_f64 v[29:30], v[29:30], v[27:28]
	v_add_f64 v[31:32], v[31:32], v[29:30]
	ds_store_2addr_b64 v0, v[21:22], v[23:24] offset1:1
	ds_store_2addr_b64 v0, v[17:18], v[19:20] offset0:2 offset1:3
	ds_store_2addr_b64 v0, v[25:26], v[27:28] offset0:4 offset1:5
	ds_store_2addr_b64 v0, v[29:30], v[31:32] offset0:6 offset1:7
.LBB39_14:                              ;   in Loop: Header=BB39_2 Depth=1
	s_or_b32 exec_lo, exec_lo, s4
	s_waitcnt lgkmcnt(0)
	s_barrier
	buffer_gl0_inv
	s_and_saveexec_b32 s2, s1
	s_cbranch_execz .LBB39_1
; %bb.15:                               ;   in Loop: Header=BB39_2 Depth=1
	ds_load_b64 v[35:36], v43
	s_branch .LBB39_1
.LBB39_16:
	v_add_co_u32 v17, vcc_lo, s6, v33
	v_add_co_ci_u32_e32 v18, vcc_lo, s7, v34, vcc_lo
	s_clause 0x3
	global_store_b128 v[17:18], v[13:16], off
	global_store_b128 v[17:18], v[9:12], off offset:16
	global_store_b128 v[17:18], v[5:8], off offset:32
	;; [unrolled: 1-line block ×3, first 2 shown]
	s_nop 0
	s_sendmsg sendmsg(MSG_DEALLOC_VGPRS)
	s_endpgm
	.section	.rodata,"a",@progbits
	.p2align	6, 0x0
	.amdhsa_kernel _Z6kernelI14inclusive_scanILN6hipcub18BlockScanAlgorithmE1EEdLj256ELj8ELj100EEvPKT0_PS4_S4_
		.amdhsa_group_segment_fixed_size 2112
		.amdhsa_private_segment_fixed_size 0
		.amdhsa_kernarg_size 280
		.amdhsa_user_sgpr_count 15
		.amdhsa_user_sgpr_dispatch_ptr 0
		.amdhsa_user_sgpr_queue_ptr 0
		.amdhsa_user_sgpr_kernarg_segment_ptr 1
		.amdhsa_user_sgpr_dispatch_id 0
		.amdhsa_user_sgpr_private_segment_size 0
		.amdhsa_wavefront_size32 1
		.amdhsa_uses_dynamic_stack 0
		.amdhsa_enable_private_segment 0
		.amdhsa_system_sgpr_workgroup_id_x 1
		.amdhsa_system_sgpr_workgroup_id_y 0
		.amdhsa_system_sgpr_workgroup_id_z 0
		.amdhsa_system_sgpr_workgroup_info 0
		.amdhsa_system_vgpr_workitem_id 0
		.amdhsa_next_free_vgpr 46
		.amdhsa_next_free_sgpr 16
		.amdhsa_reserve_vcc 1
		.amdhsa_float_round_mode_32 0
		.amdhsa_float_round_mode_16_64 0
		.amdhsa_float_denorm_mode_32 3
		.amdhsa_float_denorm_mode_16_64 3
		.amdhsa_dx10_clamp 1
		.amdhsa_ieee_mode 1
		.amdhsa_fp16_overflow 0
		.amdhsa_workgroup_processor_mode 1
		.amdhsa_memory_ordered 1
		.amdhsa_forward_progress 0
		.amdhsa_shared_vgpr_count 0
		.amdhsa_exception_fp_ieee_invalid_op 0
		.amdhsa_exception_fp_denorm_src 0
		.amdhsa_exception_fp_ieee_div_zero 0
		.amdhsa_exception_fp_ieee_overflow 0
		.amdhsa_exception_fp_ieee_underflow 0
		.amdhsa_exception_fp_ieee_inexact 0
		.amdhsa_exception_int_div_zero 0
	.end_amdhsa_kernel
	.section	.text._Z6kernelI14inclusive_scanILN6hipcub18BlockScanAlgorithmE1EEdLj256ELj8ELj100EEvPKT0_PS4_S4_,"axG",@progbits,_Z6kernelI14inclusive_scanILN6hipcub18BlockScanAlgorithmE1EEdLj256ELj8ELj100EEvPKT0_PS4_S4_,comdat
.Lfunc_end39:
	.size	_Z6kernelI14inclusive_scanILN6hipcub18BlockScanAlgorithmE1EEdLj256ELj8ELj100EEvPKT0_PS4_S4_, .Lfunc_end39-_Z6kernelI14inclusive_scanILN6hipcub18BlockScanAlgorithmE1EEdLj256ELj8ELj100EEvPKT0_PS4_S4_
                                        ; -- End function
	.section	.AMDGPU.csdata,"",@progbits
; Kernel info:
; codeLenInByte = 1052
; NumSgprs: 18
; NumVgprs: 46
; ScratchSize: 0
; MemoryBound: 0
; FloatMode: 240
; IeeeMode: 1
; LDSByteSize: 2112 bytes/workgroup (compile time only)
; SGPRBlocks: 2
; VGPRBlocks: 5
; NumSGPRsForWavesPerEU: 18
; NumVGPRsForWavesPerEU: 46
; Occupancy: 16
; WaveLimiterHint : 0
; COMPUTE_PGM_RSRC2:SCRATCH_EN: 0
; COMPUTE_PGM_RSRC2:USER_SGPR: 15
; COMPUTE_PGM_RSRC2:TRAP_HANDLER: 0
; COMPUTE_PGM_RSRC2:TGID_X_EN: 1
; COMPUTE_PGM_RSRC2:TGID_Y_EN: 0
; COMPUTE_PGM_RSRC2:TGID_Z_EN: 0
; COMPUTE_PGM_RSRC2:TIDIG_COMP_CNT: 0
	.section	.text._Z6kernelI14inclusive_scanILN6hipcub18BlockScanAlgorithmE1EEdLj256ELj11ELj100EEvPKT0_PS4_S4_,"axG",@progbits,_Z6kernelI14inclusive_scanILN6hipcub18BlockScanAlgorithmE1EEdLj256ELj11ELj100EEvPKT0_PS4_S4_,comdat
	.protected	_Z6kernelI14inclusive_scanILN6hipcub18BlockScanAlgorithmE1EEdLj256ELj11ELj100EEvPKT0_PS4_S4_ ; -- Begin function _Z6kernelI14inclusive_scanILN6hipcub18BlockScanAlgorithmE1EEdLj256ELj11ELj100EEvPKT0_PS4_S4_
	.globl	_Z6kernelI14inclusive_scanILN6hipcub18BlockScanAlgorithmE1EEdLj256ELj11ELj100EEvPKT0_PS4_S4_
	.p2align	8
	.type	_Z6kernelI14inclusive_scanILN6hipcub18BlockScanAlgorithmE1EEdLj256ELj11ELj100EEvPKT0_PS4_S4_,@function
_Z6kernelI14inclusive_scanILN6hipcub18BlockScanAlgorithmE1EEdLj256ELj11ELj100EEvPKT0_PS4_S4_: ; @_Z6kernelI14inclusive_scanILN6hipcub18BlockScanAlgorithmE1EEdLj256ELj11ELj100EEvPKT0_PS4_S4_
; %bb.0:
	s_clause 0x1
	s_load_b32 s2, s[0:1], 0x24
	s_load_b128 s[4:7], s[0:1], 0x0
	v_cmp_eq_u32_e64 s0, 0, v0
	v_cmp_ne_u32_e64 s1, 0, v0
	v_mbcnt_lo_u32_b32 v69, -1, 0
	s_movk_i32 s3, 0x64
	s_waitcnt lgkmcnt(0)
	s_and_b32 s2, s2, 0xffff
	s_delay_alu instid0(SALU_CYCLE_1) | instskip(NEXT) | instid1(VALU_DEP_1)
	v_mad_u64_u32 v[1:2], null, s15, s2, v[0:1]
	v_mul_lo_u32 v1, v1, 11
	s_delay_alu instid0(VALU_DEP_1) | instskip(NEXT) | instid1(VALU_DEP_1)
	v_dual_mov_b32 v2, 0 :: v_dual_add_nc_u32 v3, 1, v1
	v_dual_mov_b32 v4, v2 :: v_dual_add_nc_u32 v5, 2, v1
	v_lshlrev_b64 v[30:31], 3, v[1:2]
	v_dual_mov_b32 v6, v2 :: v_dual_add_nc_u32 v7, 3, v1
	s_delay_alu instid0(VALU_DEP_3) | instskip(SKIP_1) | instid1(VALU_DEP_3)
	v_lshlrev_b64 v[32:33], 3, v[3:4]
	v_dual_mov_b32 v8, v2 :: v_dual_add_nc_u32 v9, 4, v1
	v_lshlrev_b64 v[28:29], 3, v[5:6]
	v_add_co_u32 v3, vcc_lo, s4, v30
	v_add_co_ci_u32_e32 v4, vcc_lo, s5, v31, vcc_lo
	v_dual_mov_b32 v10, v2 :: v_dual_add_nc_u32 v11, 5, v1
	v_lshlrev_b64 v[24:25], 3, v[7:8]
	v_add_co_u32 v5, vcc_lo, s4, v32
	v_add_co_ci_u32_e32 v6, vcc_lo, s5, v33, vcc_lo
	v_dual_mov_b32 v12, v2 :: v_dual_add_nc_u32 v13, 6, v1
	v_add_co_u32 v7, vcc_lo, s4, v28
	v_lshlrev_b64 v[20:21], 3, v[9:10]
	v_add_co_ci_u32_e32 v8, vcc_lo, s5, v29, vcc_lo
	v_mov_b32_e32 v14, v2
	v_add_co_u32 v9, vcc_lo, s4, v24
	v_lshlrev_b64 v[18:19], 3, v[11:12]
	v_add_co_ci_u32_e32 v10, vcc_lo, s5, v25, vcc_lo
	v_dual_mov_b32 v23, v2 :: v_dual_add_nc_u32 v22, 7, v1
	s_clause 0x3
	global_load_b64 v[42:43], v[3:4], off
	global_load_b64 v[40:41], v[5:6], off
	;; [unrolled: 1-line block ×4, first 2 shown]
	v_dual_mov_b32 v6, v2 :: v_dual_add_nc_u32 v5, 8, v1
	v_lshlrev_b64 v[16:17], 3, v[13:14]
	v_add_co_u32 v11, vcc_lo, s4, v20
	v_add_co_ci_u32_e32 v12, vcc_lo, s5, v21, vcc_lo
	v_add_co_u32 v3, vcc_lo, s4, v18
	v_lshlrev_b64 v[22:23], 3, v[22:23]
	v_lshlrev_b64 v[26:27], 3, v[5:6]
	v_add_nc_u32_e32 v5, 9, v1
	v_add_co_ci_u32_e32 v4, vcc_lo, s5, v19, vcc_lo
	v_add_co_u32 v7, vcc_lo, s4, v16
	v_add_nc_u32_e32 v1, 10, v1
	v_add_co_ci_u32_e32 v8, vcc_lo, s5, v17, vcc_lo
	v_add_co_u32 v9, vcc_lo, s4, v22
	v_lshlrev_b64 v[34:35], 3, v[5:6]
	v_add_co_ci_u32_e32 v10, vcc_lo, s5, v23, vcc_lo
	v_add_co_u32 v5, vcc_lo, s4, v26
	v_lshlrev_b64 v[44:45], 3, v[1:2]
	v_add_co_ci_u32_e32 v6, vcc_lo, s5, v27, vcc_lo
	v_add_co_u32 v1, vcc_lo, s4, v34
	v_add_co_ci_u32_e32 v2, vcc_lo, s5, v35, vcc_lo
	s_delay_alu instid0(VALU_DEP_4)
	v_add_co_u32 v13, vcc_lo, s4, v44
	v_add_co_ci_u32_e32 v14, vcc_lo, s5, v45, vcc_lo
	s_clause 0x6
	global_load_b64 v[58:59], v[11:12], off
	global_load_b64 v[56:57], v[3:4], off
	;; [unrolled: 1-line block ×7, first 2 shown]
	v_lshrrev_b32_e32 v1, 5, v0
	v_add_nc_u32_e32 v2, -1, v0
	v_lshrrev_b32_e32 v3, 2, v0
	v_cmp_gt_u32_e32 vcc_lo, 32, v0
	s_delay_alu instid0(VALU_DEP_4) | instskip(SKIP_2) | instid1(VALU_DEP_2)
	v_add_lshl_u32 v66, v1, v0, 3
	v_lshlrev_b32_e32 v1, 3, v0
	v_lshrrev_b32_e32 v4, 5, v2
	v_add_lshl_u32 v67, v3, v1, 3
	s_delay_alu instid0(VALU_DEP_2)
	v_add_lshl_u32 v68, v4, v2, 3
	s_branch .LBB40_2
.LBB40_1:                               ;   in Loop: Header=BB40_2 Depth=1
	s_or_b32 exec_lo, exec_lo, s2
	s_waitcnt lgkmcnt(0)
	v_add_f64 v[0:1], v[42:43], v[60:61]
	s_add_i32 s3, s3, -1
	s_delay_alu instid0(SALU_CYCLE_1) | instskip(NEXT) | instid1(VALU_DEP_1)
	s_cmp_lg_u32 s3, 0
	v_cndmask_b32_e64 v43, v1, v43, s0
	s_delay_alu instid0(VALU_DEP_2) | instskip(NEXT) | instid1(VALU_DEP_1)
	v_cndmask_b32_e64 v42, v0, v42, s0
	v_add_f64 v[40:41], v[40:41], v[42:43]
	s_delay_alu instid0(VALU_DEP_1) | instskip(NEXT) | instid1(VALU_DEP_1)
	v_add_f64 v[38:39], v[38:39], v[40:41]
	v_add_f64 v[36:37], v[36:37], v[38:39]
	s_delay_alu instid0(VALU_DEP_1) | instskip(NEXT) | instid1(VALU_DEP_1)
	v_add_f64 v[58:59], v[58:59], v[36:37]
	;; [unrolled: 3-line block ×4, first 2 shown]
	v_add_f64 v[48:49], v[48:49], v[50:51]
	s_delay_alu instid0(VALU_DEP_1)
	v_add_f64 v[46:47], v[46:47], v[48:49]
	s_cbranch_scc0 .LBB40_16
.LBB40_2:                               ; =>This Inner Loop Header: Depth=1
	s_waitcnt vmcnt(9)
	v_add_f64 v[0:1], v[40:41], v[42:43]
	s_waitcnt vmcnt(8)
	s_delay_alu instid0(VALU_DEP_1) | instskip(SKIP_1) | instid1(VALU_DEP_1)
	v_add_f64 v[0:1], v[38:39], v[0:1]
	s_waitcnt vmcnt(7)
	v_add_f64 v[0:1], v[36:37], v[0:1]
	s_waitcnt vmcnt(6)
	s_delay_alu instid0(VALU_DEP_1) | instskip(SKIP_1) | instid1(VALU_DEP_1)
	v_add_f64 v[0:1], v[58:59], v[0:1]
	;; [unrolled: 5-line block ×4, first 2 shown]
	s_waitcnt vmcnt(1)
	v_add_f64 v[0:1], v[48:49], v[0:1]
	s_waitcnt vmcnt(0)
	s_delay_alu instid0(VALU_DEP_1)
	v_add_f64 v[60:61], v[46:47], v[0:1]
	ds_store_b64 v66, v[60:61]
	s_waitcnt lgkmcnt(0)
	s_barrier
	buffer_gl0_inv
	s_and_saveexec_b32 s4, vcc_lo
	s_cbranch_execz .LBB40_14
; %bb.3:                                ;   in Loop: Header=BB40_2 Depth=1
	ds_load_2addr_b64 v[4:7], v67 offset1:1
	ds_load_2addr_b64 v[0:3], v67 offset0:2 offset1:3
	v_and_b32_e32 v70, 15, v69
	s_mov_b32 s5, exec_lo
	s_waitcnt lgkmcnt(1)
	v_add_f64 v[8:9], v[4:5], v[6:7]
	s_waitcnt lgkmcnt(0)
	s_delay_alu instid0(VALU_DEP_1) | instskip(NEXT) | instid1(VALU_DEP_1)
	v_add_f64 v[8:9], v[8:9], v[0:1]
	v_add_f64 v[62:63], v[8:9], v[2:3]
	ds_load_2addr_b64 v[8:11], v67 offset0:4 offset1:5
	ds_load_2addr_b64 v[12:15], v67 offset0:6 offset1:7
	s_waitcnt lgkmcnt(1)
	v_add_f64 v[62:63], v[62:63], v[8:9]
	s_delay_alu instid0(VALU_DEP_1) | instskip(SKIP_1) | instid1(VALU_DEP_1)
	v_add_f64 v[62:63], v[62:63], v[10:11]
	s_waitcnt lgkmcnt(0)
	v_add_f64 v[62:63], v[62:63], v[12:13]
	s_delay_alu instid0(VALU_DEP_1) | instskip(NEXT) | instid1(VALU_DEP_1)
	v_add_f64 v[62:63], v[62:63], v[14:15]
	v_mov_b32_dpp v64, v62 row_shr:1 row_mask:0xf bank_mask:0xf
	s_delay_alu instid0(VALU_DEP_2)
	v_mov_b32_dpp v65, v63 row_shr:1 row_mask:0xf bank_mask:0xf
	v_cmpx_ne_u32_e32 0, v70
; %bb.4:                                ;   in Loop: Header=BB40_2 Depth=1
	s_delay_alu instid0(VALU_DEP_2)
	v_add_f64 v[62:63], v[62:63], v[64:65]
; %bb.5:                                ;   in Loop: Header=BB40_2 Depth=1
	s_or_b32 exec_lo, exec_lo, s5
	s_delay_alu instid0(VALU_DEP_1) | instskip(NEXT) | instid1(VALU_DEP_2)
	v_mov_b32_dpp v64, v62 row_shr:2 row_mask:0xf bank_mask:0xf
	v_mov_b32_dpp v65, v63 row_shr:2 row_mask:0xf bank_mask:0xf
	s_mov_b32 s5, exec_lo
	v_cmpx_lt_u32_e32 1, v70
; %bb.6:                                ;   in Loop: Header=BB40_2 Depth=1
	s_delay_alu instid0(VALU_DEP_2)
	v_add_f64 v[62:63], v[62:63], v[64:65]
; %bb.7:                                ;   in Loop: Header=BB40_2 Depth=1
	s_or_b32 exec_lo, exec_lo, s5
	s_delay_alu instid0(VALU_DEP_1) | instskip(NEXT) | instid1(VALU_DEP_2)
	v_mov_b32_dpp v64, v62 row_shr:4 row_mask:0xf bank_mask:0xf
	v_mov_b32_dpp v65, v63 row_shr:4 row_mask:0xf bank_mask:0xf
	s_mov_b32 s5, exec_lo
	v_cmpx_lt_u32_e32 3, v70
	;; [unrolled: 10-line block ×3, first 2 shown]
; %bb.10:                               ;   in Loop: Header=BB40_2 Depth=1
	s_delay_alu instid0(VALU_DEP_2)
	v_add_f64 v[62:63], v[62:63], v[64:65]
; %bb.11:                               ;   in Loop: Header=BB40_2 Depth=1
	s_or_b32 exec_lo, exec_lo, s5
	ds_swizzle_b32 v64, v62 offset:swizzle(BROADCAST,32,15)
	ds_swizzle_b32 v65, v63 offset:swizzle(BROADCAST,32,15)
	v_and_b32_e32 v70, 16, v69
	s_mov_b32 s5, exec_lo
	s_delay_alu instid0(VALU_DEP_1)
	v_cmpx_ne_u32_e32 0, v70
	s_cbranch_execz .LBB40_13
; %bb.12:                               ;   in Loop: Header=BB40_2 Depth=1
	s_waitcnt lgkmcnt(0)
	v_add_f64 v[62:63], v[62:63], v[64:65]
.LBB40_13:                              ;   in Loop: Header=BB40_2 Depth=1
	s_or_b32 exec_lo, exec_lo, s5
	s_waitcnt lgkmcnt(1)
	v_add_nc_u32_e32 v64, -1, v69
	s_delay_alu instid0(VALU_DEP_1) | instskip(NEXT) | instid1(VALU_DEP_1)
	v_cmp_gt_i32_e64 s2, 0, v64
	v_cndmask_b32_e64 v64, v64, v69, s2
	s_delay_alu instid0(VALU_DEP_1) | instskip(SKIP_4) | instid1(VALU_DEP_1)
	v_lshlrev_b32_e32 v64, 2, v64
	ds_bpermute_b32 v62, v64, v62
	ds_bpermute_b32 v63, v64, v63
	s_waitcnt lgkmcnt(0)
	v_add_f64 v[4:5], v[4:5], v[62:63]
	v_cndmask_b32_e64 v5, v5, v61, s0
	s_delay_alu instid0(VALU_DEP_2) | instskip(NEXT) | instid1(VALU_DEP_1)
	v_cndmask_b32_e64 v4, v4, v60, s0
	v_add_f64 v[6:7], v[6:7], v[4:5]
	s_delay_alu instid0(VALU_DEP_1) | instskip(NEXT) | instid1(VALU_DEP_1)
	v_add_f64 v[0:1], v[0:1], v[6:7]
	v_add_f64 v[2:3], v[2:3], v[0:1]
	s_delay_alu instid0(VALU_DEP_1) | instskip(NEXT) | instid1(VALU_DEP_1)
	v_add_f64 v[8:9], v[8:9], v[2:3]
	;; [unrolled: 3-line block ×3, first 2 shown]
	v_add_f64 v[14:15], v[14:15], v[12:13]
	ds_store_2addr_b64 v67, v[4:5], v[6:7] offset1:1
	ds_store_2addr_b64 v67, v[0:1], v[2:3] offset0:2 offset1:3
	ds_store_2addr_b64 v67, v[8:9], v[10:11] offset0:4 offset1:5
	;; [unrolled: 1-line block ×3, first 2 shown]
.LBB40_14:                              ;   in Loop: Header=BB40_2 Depth=1
	s_or_b32 exec_lo, exec_lo, s4
	s_waitcnt lgkmcnt(0)
	s_barrier
	buffer_gl0_inv
	s_and_saveexec_b32 s2, s1
	s_cbranch_execz .LBB40_1
; %bb.15:                               ;   in Loop: Header=BB40_2 Depth=1
	ds_load_b64 v[60:61], v68
	s_branch .LBB40_1
.LBB40_16:
	v_add_co_u32 v0, vcc_lo, s6, v30
	v_add_co_ci_u32_e32 v1, vcc_lo, s7, v31, vcc_lo
	v_add_co_u32 v2, vcc_lo, s6, v32
	v_add_co_ci_u32_e32 v3, vcc_lo, s7, v33, vcc_lo
	;; [unrolled: 2-line block ×4, first 2 shown]
	s_clause 0x3
	global_store_b64 v[0:1], v[42:43], off
	global_store_b64 v[2:3], v[40:41], off
	;; [unrolled: 1-line block ×4, first 2 shown]
	v_add_co_u32 v0, vcc_lo, s6, v20
	v_add_co_ci_u32_e32 v1, vcc_lo, s7, v21, vcc_lo
	v_add_co_u32 v2, vcc_lo, s6, v18
	v_add_co_ci_u32_e32 v3, vcc_lo, s7, v19, vcc_lo
	v_add_co_u32 v4, vcc_lo, s6, v16
	v_add_co_ci_u32_e32 v5, vcc_lo, s7, v17, vcc_lo
	v_add_co_u32 v6, vcc_lo, s6, v22
	v_add_co_ci_u32_e32 v7, vcc_lo, s7, v23, vcc_lo
	v_add_co_u32 v8, vcc_lo, s6, v26
	v_add_co_ci_u32_e32 v9, vcc_lo, s7, v27, vcc_lo
	v_add_co_u32 v10, vcc_lo, s6, v34
	v_add_co_ci_u32_e32 v11, vcc_lo, s7, v35, vcc_lo
	v_add_co_u32 v12, vcc_lo, s6, v44
	v_add_co_ci_u32_e32 v13, vcc_lo, s7, v45, vcc_lo
	s_clause 0x6
	global_store_b64 v[0:1], v[58:59], off
	global_store_b64 v[2:3], v[56:57], off
	;; [unrolled: 1-line block ×7, first 2 shown]
	s_nop 0
	s_sendmsg sendmsg(MSG_DEALLOC_VGPRS)
	s_endpgm
	.section	.rodata,"a",@progbits
	.p2align	6, 0x0
	.amdhsa_kernel _Z6kernelI14inclusive_scanILN6hipcub18BlockScanAlgorithmE1EEdLj256ELj11ELj100EEvPKT0_PS4_S4_
		.amdhsa_group_segment_fixed_size 2112
		.amdhsa_private_segment_fixed_size 0
		.amdhsa_kernarg_size 280
		.amdhsa_user_sgpr_count 15
		.amdhsa_user_sgpr_dispatch_ptr 0
		.amdhsa_user_sgpr_queue_ptr 0
		.amdhsa_user_sgpr_kernarg_segment_ptr 1
		.amdhsa_user_sgpr_dispatch_id 0
		.amdhsa_user_sgpr_private_segment_size 0
		.amdhsa_wavefront_size32 1
		.amdhsa_uses_dynamic_stack 0
		.amdhsa_enable_private_segment 0
		.amdhsa_system_sgpr_workgroup_id_x 1
		.amdhsa_system_sgpr_workgroup_id_y 0
		.amdhsa_system_sgpr_workgroup_id_z 0
		.amdhsa_system_sgpr_workgroup_info 0
		.amdhsa_system_vgpr_workitem_id 0
		.amdhsa_next_free_vgpr 71
		.amdhsa_next_free_sgpr 16
		.amdhsa_reserve_vcc 1
		.amdhsa_float_round_mode_32 0
		.amdhsa_float_round_mode_16_64 0
		.amdhsa_float_denorm_mode_32 3
		.amdhsa_float_denorm_mode_16_64 3
		.amdhsa_dx10_clamp 1
		.amdhsa_ieee_mode 1
		.amdhsa_fp16_overflow 0
		.amdhsa_workgroup_processor_mode 1
		.amdhsa_memory_ordered 1
		.amdhsa_forward_progress 0
		.amdhsa_shared_vgpr_count 0
		.amdhsa_exception_fp_ieee_invalid_op 0
		.amdhsa_exception_fp_denorm_src 0
		.amdhsa_exception_fp_ieee_div_zero 0
		.amdhsa_exception_fp_ieee_overflow 0
		.amdhsa_exception_fp_ieee_underflow 0
		.amdhsa_exception_fp_ieee_inexact 0
		.amdhsa_exception_int_div_zero 0
	.end_amdhsa_kernel
	.section	.text._Z6kernelI14inclusive_scanILN6hipcub18BlockScanAlgorithmE1EEdLj256ELj11ELj100EEvPKT0_PS4_S4_,"axG",@progbits,_Z6kernelI14inclusive_scanILN6hipcub18BlockScanAlgorithmE1EEdLj256ELj11ELj100EEvPKT0_PS4_S4_,comdat
.Lfunc_end40:
	.size	_Z6kernelI14inclusive_scanILN6hipcub18BlockScanAlgorithmE1EEdLj256ELj11ELj100EEvPKT0_PS4_S4_, .Lfunc_end40-_Z6kernelI14inclusive_scanILN6hipcub18BlockScanAlgorithmE1EEdLj256ELj11ELj100EEvPKT0_PS4_S4_
                                        ; -- End function
	.section	.AMDGPU.csdata,"",@progbits
; Kernel info:
; codeLenInByte = 1680
; NumSgprs: 18
; NumVgprs: 71
; ScratchSize: 0
; MemoryBound: 0
; FloatMode: 240
; IeeeMode: 1
; LDSByteSize: 2112 bytes/workgroup (compile time only)
; SGPRBlocks: 2
; VGPRBlocks: 8
; NumSGPRsForWavesPerEU: 18
; NumVGPRsForWavesPerEU: 71
; Occupancy: 16
; WaveLimiterHint : 0
; COMPUTE_PGM_RSRC2:SCRATCH_EN: 0
; COMPUTE_PGM_RSRC2:USER_SGPR: 15
; COMPUTE_PGM_RSRC2:TRAP_HANDLER: 0
; COMPUTE_PGM_RSRC2:TGID_X_EN: 1
; COMPUTE_PGM_RSRC2:TGID_Y_EN: 0
; COMPUTE_PGM_RSRC2:TGID_Z_EN: 0
; COMPUTE_PGM_RSRC2:TIDIG_COMP_CNT: 0
	.section	.text._Z6kernelI14inclusive_scanILN6hipcub18BlockScanAlgorithmE1EEdLj256ELj16ELj100EEvPKT0_PS4_S4_,"axG",@progbits,_Z6kernelI14inclusive_scanILN6hipcub18BlockScanAlgorithmE1EEdLj256ELj16ELj100EEvPKT0_PS4_S4_,comdat
	.protected	_Z6kernelI14inclusive_scanILN6hipcub18BlockScanAlgorithmE1EEdLj256ELj16ELj100EEvPKT0_PS4_S4_ ; -- Begin function _Z6kernelI14inclusive_scanILN6hipcub18BlockScanAlgorithmE1EEdLj256ELj16ELj100EEvPKT0_PS4_S4_
	.globl	_Z6kernelI14inclusive_scanILN6hipcub18BlockScanAlgorithmE1EEdLj256ELj16ELj100EEvPKT0_PS4_S4_
	.p2align	8
	.type	_Z6kernelI14inclusive_scanILN6hipcub18BlockScanAlgorithmE1EEdLj256ELj16ELj100EEvPKT0_PS4_S4_,@function
_Z6kernelI14inclusive_scanILN6hipcub18BlockScanAlgorithmE1EEdLj256ELj16ELj100EEvPKT0_PS4_S4_: ; @_Z6kernelI14inclusive_scanILN6hipcub18BlockScanAlgorithmE1EEdLj256ELj16ELj100EEvPKT0_PS4_S4_
; %bb.0:
	s_clause 0x1
	s_load_b32 s2, s[0:1], 0x24
	s_load_b128 s[4:7], s[0:1], 0x0
	v_mov_b32_e32 v2, 0
	v_lshrrev_b32_e32 v33, 5, v0
	v_add_nc_u32_e32 v34, -1, v0
	v_lshrrev_b32_e32 v35, 2, v0
	v_cmp_ne_u32_e64 s1, 0, v0
	v_mbcnt_lo_u32_b32 v59, -1, 0
	v_add_lshl_u32 v57, v33, v0, 3
	v_lshlrev_b32_e32 v33, 3, v0
	v_lshrrev_b32_e32 v36, 5, v34
	s_movk_i32 s3, 0x64
	s_delay_alu instid0(VALU_DEP_1) | instskip(SKIP_2) | instid1(SALU_CYCLE_1)
	v_add_lshl_u32 v58, v36, v34, 3
	s_waitcnt lgkmcnt(0)
	s_and_b32 s0, s2, 0xffff
	s_mul_i32 s15, s15, s0
	v_cmp_eq_u32_e64 s0, 0, v0
	v_add_lshl_u32 v1, s15, v0, 4
	s_delay_alu instid0(VALU_DEP_1) | instskip(NEXT) | instid1(VALU_DEP_1)
	v_lshlrev_b64 v[49:50], 3, v[1:2]
	v_add_co_u32 v29, vcc_lo, s4, v49
	s_delay_alu instid0(VALU_DEP_2)
	v_add_co_ci_u32_e32 v30, vcc_lo, s5, v50, vcc_lo
	v_cmp_gt_u32_e32 vcc_lo, 32, v0
	v_add_lshl_u32 v0, v35, v33, 3
	s_clause 0x7
	global_load_b128 v[1:4], v[29:30], off offset:48
	global_load_b128 v[9:12], v[29:30], off offset:32
	;; [unrolled: 1-line block ×3, first 2 shown]
	global_load_b128 v[25:28], v[29:30], off
	global_load_b128 v[5:8], v[29:30], off offset:112
	global_load_b128 v[13:16], v[29:30], off offset:96
	;; [unrolled: 1-line block ×4, first 2 shown]
	s_branch .LBB41_2
.LBB41_1:                               ;   in Loop: Header=BB41_2 Depth=1
	s_or_b32 exec_lo, exec_lo, s2
	s_waitcnt lgkmcnt(0)
	v_add_f64 v[33:34], v[25:26], v[51:52]
	s_add_i32 s3, s3, -1
	s_delay_alu instid0(SALU_CYCLE_1) | instskip(NEXT) | instid1(VALU_DEP_1)
	s_cmp_lg_u32 s3, 0
	v_cndmask_b32_e64 v26, v34, v26, s0
	s_delay_alu instid0(VALU_DEP_2) | instskip(NEXT) | instid1(VALU_DEP_1)
	v_cndmask_b32_e64 v25, v33, v25, s0
	v_add_f64 v[27:28], v[27:28], v[25:26]
	s_delay_alu instid0(VALU_DEP_1) | instskip(NEXT) | instid1(VALU_DEP_1)
	v_add_f64 v[17:18], v[17:18], v[27:28]
	v_add_f64 v[19:20], v[19:20], v[17:18]
	s_delay_alu instid0(VALU_DEP_1) | instskip(NEXT) | instid1(VALU_DEP_1)
	v_add_f64 v[9:10], v[9:10], v[19:20]
	v_add_f64 v[11:12], v[11:12], v[9:10]
	s_delay_alu instid0(VALU_DEP_1) | instskip(NEXT) | instid1(VALU_DEP_1)
	v_add_f64 v[1:2], v[1:2], v[11:12]
	v_add_f64 v[3:4], v[3:4], v[1:2]
	s_delay_alu instid0(VALU_DEP_1) | instskip(NEXT) | instid1(VALU_DEP_1)
	v_add_f64 v[29:30], v[29:30], v[3:4]
	v_add_f64 v[31:32], v[31:32], v[29:30]
	s_delay_alu instid0(VALU_DEP_1) | instskip(NEXT) | instid1(VALU_DEP_1)
	v_add_f64 v[21:22], v[21:22], v[31:32]
	v_add_f64 v[23:24], v[23:24], v[21:22]
	s_delay_alu instid0(VALU_DEP_1) | instskip(NEXT) | instid1(VALU_DEP_1)
	v_add_f64 v[13:14], v[13:14], v[23:24]
	v_add_f64 v[15:16], v[15:16], v[13:14]
	s_delay_alu instid0(VALU_DEP_1) | instskip(NEXT) | instid1(VALU_DEP_1)
	v_add_f64 v[5:6], v[5:6], v[15:16]
	v_add_f64 v[7:8], v[7:8], v[5:6]
	s_cbranch_scc0 .LBB41_16
.LBB41_2:                               ; =>This Inner Loop Header: Depth=1
	s_waitcnt vmcnt(4)
	v_add_f64 v[33:34], v[27:28], v[25:26]
	s_delay_alu instid0(VALU_DEP_1) | instskip(NEXT) | instid1(VALU_DEP_1)
	v_add_f64 v[33:34], v[17:18], v[33:34]
	v_add_f64 v[33:34], v[19:20], v[33:34]
	s_delay_alu instid0(VALU_DEP_1) | instskip(NEXT) | instid1(VALU_DEP_1)
	v_add_f64 v[33:34], v[9:10], v[33:34]
	;; [unrolled: 3-line block ×3, first 2 shown]
	v_add_f64 v[33:34], v[3:4], v[33:34]
	s_waitcnt vmcnt(0)
	s_delay_alu instid0(VALU_DEP_1) | instskip(NEXT) | instid1(VALU_DEP_1)
	v_add_f64 v[33:34], v[29:30], v[33:34]
	v_add_f64 v[33:34], v[31:32], v[33:34]
	s_delay_alu instid0(VALU_DEP_1) | instskip(NEXT) | instid1(VALU_DEP_1)
	v_add_f64 v[33:34], v[21:22], v[33:34]
	v_add_f64 v[33:34], v[23:24], v[33:34]
	s_delay_alu instid0(VALU_DEP_1) | instskip(NEXT) | instid1(VALU_DEP_1)
	v_add_f64 v[33:34], v[13:14], v[33:34]
	v_add_f64 v[33:34], v[15:16], v[33:34]
	s_delay_alu instid0(VALU_DEP_1) | instskip(NEXT) | instid1(VALU_DEP_1)
	v_add_f64 v[33:34], v[5:6], v[33:34]
	v_add_f64 v[51:52], v[7:8], v[33:34]
	ds_store_b64 v57, v[51:52]
	s_waitcnt lgkmcnt(0)
	s_barrier
	buffer_gl0_inv
	s_and_saveexec_b32 s4, vcc_lo
	s_cbranch_execz .LBB41_14
; %bb.3:                                ;   in Loop: Header=BB41_2 Depth=1
	ds_load_2addr_b64 v[37:40], v0 offset1:1
	ds_load_2addr_b64 v[33:36], v0 offset0:2 offset1:3
	v_and_b32_e32 v60, 15, v59
	s_mov_b32 s5, exec_lo
	s_waitcnt lgkmcnt(1)
	v_add_f64 v[41:42], v[37:38], v[39:40]
	s_waitcnt lgkmcnt(0)
	s_delay_alu instid0(VALU_DEP_1) | instskip(NEXT) | instid1(VALU_DEP_1)
	v_add_f64 v[41:42], v[41:42], v[33:34]
	v_add_f64 v[53:54], v[41:42], v[35:36]
	ds_load_2addr_b64 v[41:44], v0 offset0:4 offset1:5
	ds_load_2addr_b64 v[45:48], v0 offset0:6 offset1:7
	s_waitcnt lgkmcnt(1)
	v_add_f64 v[53:54], v[53:54], v[41:42]
	s_delay_alu instid0(VALU_DEP_1) | instskip(SKIP_1) | instid1(VALU_DEP_1)
	v_add_f64 v[53:54], v[53:54], v[43:44]
	s_waitcnt lgkmcnt(0)
	v_add_f64 v[53:54], v[53:54], v[45:46]
	s_delay_alu instid0(VALU_DEP_1) | instskip(NEXT) | instid1(VALU_DEP_1)
	v_add_f64 v[53:54], v[53:54], v[47:48]
	v_mov_b32_dpp v55, v53 row_shr:1 row_mask:0xf bank_mask:0xf
	s_delay_alu instid0(VALU_DEP_2)
	v_mov_b32_dpp v56, v54 row_shr:1 row_mask:0xf bank_mask:0xf
	v_cmpx_ne_u32_e32 0, v60
; %bb.4:                                ;   in Loop: Header=BB41_2 Depth=1
	s_delay_alu instid0(VALU_DEP_2)
	v_add_f64 v[53:54], v[53:54], v[55:56]
; %bb.5:                                ;   in Loop: Header=BB41_2 Depth=1
	s_or_b32 exec_lo, exec_lo, s5
	s_delay_alu instid0(VALU_DEP_1) | instskip(NEXT) | instid1(VALU_DEP_2)
	v_mov_b32_dpp v55, v53 row_shr:2 row_mask:0xf bank_mask:0xf
	v_mov_b32_dpp v56, v54 row_shr:2 row_mask:0xf bank_mask:0xf
	s_mov_b32 s5, exec_lo
	v_cmpx_lt_u32_e32 1, v60
; %bb.6:                                ;   in Loop: Header=BB41_2 Depth=1
	s_delay_alu instid0(VALU_DEP_2)
	v_add_f64 v[53:54], v[53:54], v[55:56]
; %bb.7:                                ;   in Loop: Header=BB41_2 Depth=1
	s_or_b32 exec_lo, exec_lo, s5
	s_delay_alu instid0(VALU_DEP_1) | instskip(NEXT) | instid1(VALU_DEP_2)
	v_mov_b32_dpp v55, v53 row_shr:4 row_mask:0xf bank_mask:0xf
	v_mov_b32_dpp v56, v54 row_shr:4 row_mask:0xf bank_mask:0xf
	s_mov_b32 s5, exec_lo
	v_cmpx_lt_u32_e32 3, v60
	;; [unrolled: 10-line block ×3, first 2 shown]
; %bb.10:                               ;   in Loop: Header=BB41_2 Depth=1
	s_delay_alu instid0(VALU_DEP_2)
	v_add_f64 v[53:54], v[53:54], v[55:56]
; %bb.11:                               ;   in Loop: Header=BB41_2 Depth=1
	s_or_b32 exec_lo, exec_lo, s5
	ds_swizzle_b32 v55, v53 offset:swizzle(BROADCAST,32,15)
	ds_swizzle_b32 v56, v54 offset:swizzle(BROADCAST,32,15)
	v_and_b32_e32 v60, 16, v59
	s_mov_b32 s5, exec_lo
	s_delay_alu instid0(VALU_DEP_1)
	v_cmpx_ne_u32_e32 0, v60
	s_cbranch_execz .LBB41_13
; %bb.12:                               ;   in Loop: Header=BB41_2 Depth=1
	s_waitcnt lgkmcnt(0)
	v_add_f64 v[53:54], v[53:54], v[55:56]
.LBB41_13:                              ;   in Loop: Header=BB41_2 Depth=1
	s_or_b32 exec_lo, exec_lo, s5
	s_waitcnt lgkmcnt(1)
	v_add_nc_u32_e32 v55, -1, v59
	s_delay_alu instid0(VALU_DEP_1) | instskip(NEXT) | instid1(VALU_DEP_1)
	v_cmp_gt_i32_e64 s2, 0, v55
	v_cndmask_b32_e64 v55, v55, v59, s2
	s_delay_alu instid0(VALU_DEP_1) | instskip(SKIP_4) | instid1(VALU_DEP_1)
	v_lshlrev_b32_e32 v55, 2, v55
	ds_bpermute_b32 v53, v55, v53
	ds_bpermute_b32 v54, v55, v54
	s_waitcnt lgkmcnt(0)
	v_add_f64 v[37:38], v[37:38], v[53:54]
	v_cndmask_b32_e64 v38, v38, v52, s0
	s_delay_alu instid0(VALU_DEP_2) | instskip(NEXT) | instid1(VALU_DEP_1)
	v_cndmask_b32_e64 v37, v37, v51, s0
	v_add_f64 v[39:40], v[39:40], v[37:38]
	s_delay_alu instid0(VALU_DEP_1) | instskip(NEXT) | instid1(VALU_DEP_1)
	v_add_f64 v[33:34], v[33:34], v[39:40]
	v_add_f64 v[35:36], v[35:36], v[33:34]
	s_delay_alu instid0(VALU_DEP_1) | instskip(NEXT) | instid1(VALU_DEP_1)
	v_add_f64 v[41:42], v[41:42], v[35:36]
	;; [unrolled: 3-line block ×3, first 2 shown]
	v_add_f64 v[47:48], v[47:48], v[45:46]
	ds_store_2addr_b64 v0, v[37:38], v[39:40] offset1:1
	ds_store_2addr_b64 v0, v[33:34], v[35:36] offset0:2 offset1:3
	ds_store_2addr_b64 v0, v[41:42], v[43:44] offset0:4 offset1:5
	;; [unrolled: 1-line block ×3, first 2 shown]
.LBB41_14:                              ;   in Loop: Header=BB41_2 Depth=1
	s_or_b32 exec_lo, exec_lo, s4
	s_waitcnt lgkmcnt(0)
	s_barrier
	buffer_gl0_inv
	s_and_saveexec_b32 s2, s1
	s_cbranch_execz .LBB41_1
; %bb.15:                               ;   in Loop: Header=BB41_2 Depth=1
	ds_load_b64 v[51:52], v58
	s_branch .LBB41_1
.LBB41_16:
	v_add_co_u32 v33, vcc_lo, s6, v49
	v_add_co_ci_u32_e32 v34, vcc_lo, s7, v50, vcc_lo
	s_clause 0x7
	global_store_b128 v[33:34], v[25:28], off
	global_store_b128 v[33:34], v[17:20], off offset:16
	global_store_b128 v[33:34], v[9:12], off offset:32
	;; [unrolled: 1-line block ×7, first 2 shown]
	s_nop 0
	s_sendmsg sendmsg(MSG_DEALLOC_VGPRS)
	s_endpgm
	.section	.rodata,"a",@progbits
	.p2align	6, 0x0
	.amdhsa_kernel _Z6kernelI14inclusive_scanILN6hipcub18BlockScanAlgorithmE1EEdLj256ELj16ELj100EEvPKT0_PS4_S4_
		.amdhsa_group_segment_fixed_size 2112
		.amdhsa_private_segment_fixed_size 0
		.amdhsa_kernarg_size 280
		.amdhsa_user_sgpr_count 15
		.amdhsa_user_sgpr_dispatch_ptr 0
		.amdhsa_user_sgpr_queue_ptr 0
		.amdhsa_user_sgpr_kernarg_segment_ptr 1
		.amdhsa_user_sgpr_dispatch_id 0
		.amdhsa_user_sgpr_private_segment_size 0
		.amdhsa_wavefront_size32 1
		.amdhsa_uses_dynamic_stack 0
		.amdhsa_enable_private_segment 0
		.amdhsa_system_sgpr_workgroup_id_x 1
		.amdhsa_system_sgpr_workgroup_id_y 0
		.amdhsa_system_sgpr_workgroup_id_z 0
		.amdhsa_system_sgpr_workgroup_info 0
		.amdhsa_system_vgpr_workitem_id 0
		.amdhsa_next_free_vgpr 61
		.amdhsa_next_free_sgpr 16
		.amdhsa_reserve_vcc 1
		.amdhsa_float_round_mode_32 0
		.amdhsa_float_round_mode_16_64 0
		.amdhsa_float_denorm_mode_32 3
		.amdhsa_float_denorm_mode_16_64 3
		.amdhsa_dx10_clamp 1
		.amdhsa_ieee_mode 1
		.amdhsa_fp16_overflow 0
		.amdhsa_workgroup_processor_mode 1
		.amdhsa_memory_ordered 1
		.amdhsa_forward_progress 0
		.amdhsa_shared_vgpr_count 0
		.amdhsa_exception_fp_ieee_invalid_op 0
		.amdhsa_exception_fp_denorm_src 0
		.amdhsa_exception_fp_ieee_div_zero 0
		.amdhsa_exception_fp_ieee_overflow 0
		.amdhsa_exception_fp_ieee_underflow 0
		.amdhsa_exception_fp_ieee_inexact 0
		.amdhsa_exception_int_div_zero 0
	.end_amdhsa_kernel
	.section	.text._Z6kernelI14inclusive_scanILN6hipcub18BlockScanAlgorithmE1EEdLj256ELj16ELj100EEvPKT0_PS4_S4_,"axG",@progbits,_Z6kernelI14inclusive_scanILN6hipcub18BlockScanAlgorithmE1EEdLj256ELj16ELj100EEvPKT0_PS4_S4_,comdat
.Lfunc_end41:
	.size	_Z6kernelI14inclusive_scanILN6hipcub18BlockScanAlgorithmE1EEdLj256ELj16ELj100EEvPKT0_PS4_S4_, .Lfunc_end41-_Z6kernelI14inclusive_scanILN6hipcub18BlockScanAlgorithmE1EEdLj256ELj16ELj100EEvPKT0_PS4_S4_
                                        ; -- End function
	.section	.AMDGPU.csdata,"",@progbits
; Kernel info:
; codeLenInByte = 1280
; NumSgprs: 18
; NumVgprs: 61
; ScratchSize: 0
; MemoryBound: 1
; FloatMode: 240
; IeeeMode: 1
; LDSByteSize: 2112 bytes/workgroup (compile time only)
; SGPRBlocks: 2
; VGPRBlocks: 7
; NumSGPRsForWavesPerEU: 18
; NumVGPRsForWavesPerEU: 61
; Occupancy: 16
; WaveLimiterHint : 0
; COMPUTE_PGM_RSRC2:SCRATCH_EN: 0
; COMPUTE_PGM_RSRC2:USER_SGPR: 15
; COMPUTE_PGM_RSRC2:TRAP_HANDLER: 0
; COMPUTE_PGM_RSRC2:TGID_X_EN: 1
; COMPUTE_PGM_RSRC2:TGID_Y_EN: 0
; COMPUTE_PGM_RSRC2:TGID_Z_EN: 0
; COMPUTE_PGM_RSRC2:TIDIG_COMP_CNT: 0
	.section	.text._Z6kernelI14inclusive_scanILN6hipcub18BlockScanAlgorithmE1EEhLj256ELj1ELj100EEvPKT0_PS4_S4_,"axG",@progbits,_Z6kernelI14inclusive_scanILN6hipcub18BlockScanAlgorithmE1EEhLj256ELj1ELj100EEvPKT0_PS4_S4_,comdat
	.protected	_Z6kernelI14inclusive_scanILN6hipcub18BlockScanAlgorithmE1EEhLj256ELj1ELj100EEvPKT0_PS4_S4_ ; -- Begin function _Z6kernelI14inclusive_scanILN6hipcub18BlockScanAlgorithmE1EEhLj256ELj1ELj100EEvPKT0_PS4_S4_
	.globl	_Z6kernelI14inclusive_scanILN6hipcub18BlockScanAlgorithmE1EEhLj256ELj1ELj100EEvPKT0_PS4_S4_
	.p2align	8
	.type	_Z6kernelI14inclusive_scanILN6hipcub18BlockScanAlgorithmE1EEhLj256ELj1ELj100EEvPKT0_PS4_S4_,@function
_Z6kernelI14inclusive_scanILN6hipcub18BlockScanAlgorithmE1EEhLj256ELj1ELj100EEvPKT0_PS4_S4_: ; @_Z6kernelI14inclusive_scanILN6hipcub18BlockScanAlgorithmE1EEhLj256ELj1ELj100EEvPKT0_PS4_S4_
; %bb.0:
	s_clause 0x1
	s_load_b32 s4, s[0:1], 0x24
	s_load_b128 s[0:3], s[0:1], 0x0
	v_lshrrev_b32_e32 v3, 5, v0
	v_lshrrev_b32_e32 v4, 2, v0
	v_cmp_gt_u32_e32 vcc_lo, 32, v0
	s_delay_alu instid0(VALU_DEP_3) | instskip(NEXT) | instid1(VALU_DEP_3)
	v_add_nc_u32_e32 v3, v3, v0
	v_lshl_add_u32 v4, v0, 3, v4
	s_waitcnt lgkmcnt(0)
	s_and_b32 s4, s4, 0xffff
	s_delay_alu instid0(SALU_CYCLE_1) | instskip(SKIP_2) | instid1(VALU_DEP_1)
	v_mad_u64_u32 v[1:2], null, s15, s4, v[0:1]
	v_mbcnt_lo_u32_b32 v2, -1, 0
	s_movk_i32 s4, 0x64
	v_and_b32_e32 v5, 16, v2
	global_load_u8 v7, v1, s[0:1]
	v_cmp_eq_u32_e64 s0, 0, v0
	v_and_b32_e32 v0, 15, v2
	v_add_nc_u32_e32 v6, -1, v2
	s_branch .LBB42_2
.LBB42_1:                               ;   in Loop: Header=BB42_2 Depth=1
	s_or_b32 exec_lo, exec_lo, s5
	s_waitcnt lgkmcnt(0)
	s_barrier
	buffer_gl0_inv
	ds_load_u8 v7, v3
	s_add_i32 s4, s4, -1
	s_delay_alu instid0(SALU_CYCLE_1)
	s_cmp_lg_u32 s4, 0
	s_cbranch_scc0 .LBB42_4
.LBB42_2:                               ; =>This Inner Loop Header: Depth=1
	s_waitcnt vmcnt(0) lgkmcnt(0)
	ds_store_b8 v3, v7
	s_waitcnt lgkmcnt(0)
	s_barrier
	buffer_gl0_inv
	s_and_saveexec_b32 s5, vcc_lo
	s_cbranch_execz .LBB42_1
; %bb.3:                                ;   in Loop: Header=BB42_2 Depth=1
	ds_load_b64 v[8:9], v4
	v_cmp_ne_u32_e64 s1, 0, v0
	s_waitcnt lgkmcnt(0)
	v_lshrrev_b32_e32 v10, 8, v8
	v_lshrrev_b32_e32 v11, 16, v8
	;; [unrolled: 1-line block ×5, first 2 shown]
	v_add_nc_u16 v12, v10, v8
	v_lshrrev_b32_e32 v16, 24, v9
	s_delay_alu instid0(VALU_DEP_2) | instskip(NEXT) | instid1(VALU_DEP_1)
	v_add_nc_u16 v12, v12, v11
	v_add_nc_u16 v12, v12, v13
	s_delay_alu instid0(VALU_DEP_1) | instskip(NEXT) | instid1(VALU_DEP_1)
	v_add_nc_u16 v12, v12, v9
	v_add_nc_u16 v12, v12, v14
	s_delay_alu instid0(VALU_DEP_1) | instskip(NEXT) | instid1(VALU_DEP_1)
	v_add_nc_u16 v12, v12, v15
	v_add_nc_u16 v12, v12, v16
	s_delay_alu instid0(VALU_DEP_1) | instskip(NEXT) | instid1(VALU_DEP_1)
	v_and_b32_e32 v17, 0xff, v12
	v_mov_b32_dpp v17, v17 row_shr:1 row_mask:0xf bank_mask:0xf
	s_delay_alu instid0(VALU_DEP_1) | instskip(SKIP_1) | instid1(VALU_DEP_2)
	v_cndmask_b32_e64 v17, 0, v17, s1
	v_cmp_lt_u32_e64 s1, 1, v0
	v_add_nc_u16 v12, v17, v12
	s_delay_alu instid0(VALU_DEP_1) | instskip(NEXT) | instid1(VALU_DEP_1)
	v_and_b32_e32 v17, 0xff, v12
	v_mov_b32_dpp v17, v17 row_shr:2 row_mask:0xf bank_mask:0xf
	s_delay_alu instid0(VALU_DEP_1) | instskip(SKIP_1) | instid1(VALU_DEP_2)
	v_cndmask_b32_e64 v17, 0, v17, s1
	v_cmp_lt_u32_e64 s1, 3, v0
	v_add_nc_u16 v12, v12, v17
	s_delay_alu instid0(VALU_DEP_1) | instskip(NEXT) | instid1(VALU_DEP_1)
	;; [unrolled: 7-line block ×3, first 2 shown]
	v_and_b32_e32 v17, 0xff, v12
	v_mov_b32_dpp v17, v17 row_shr:8 row_mask:0xf bank_mask:0xf
	s_delay_alu instid0(VALU_DEP_1) | instskip(SKIP_1) | instid1(VALU_DEP_2)
	v_cndmask_b32_e64 v17, 0, v17, s1
	v_cmp_ne_u32_e64 s1, 0, v5
	v_add_nc_u16 v12, v12, v17
	s_delay_alu instid0(VALU_DEP_1) | instskip(SKIP_4) | instid1(VALU_DEP_2)
	v_and_b32_e32 v17, 0xff, v12
	ds_swizzle_b32 v17, v17 offset:swizzle(BROADCAST,32,15)
	s_waitcnt lgkmcnt(0)
	v_cndmask_b32_e64 v17, 0, v17, s1
	v_cmp_gt_i32_e64 s1, 0, v6
	v_add_nc_u16 v12, v12, v17
	s_delay_alu instid0(VALU_DEP_2) | instskip(NEXT) | instid1(VALU_DEP_2)
	v_cndmask_b32_e64 v18, v6, v2, s1
	v_and_b32_e32 v12, 0xff, v12
	s_delay_alu instid0(VALU_DEP_2) | instskip(SKIP_3) | instid1(VALU_DEP_1)
	v_lshlrev_b32_e32 v17, 2, v18
	ds_bpermute_b32 v12, v17, v12
	s_waitcnt lgkmcnt(0)
	v_add_nc_u16 v8, v8, v12
	v_cndmask_b32_e64 v7, v8, v7, s0
	s_delay_alu instid0(VALU_DEP_1) | instskip(SKIP_1) | instid1(VALU_DEP_2)
	v_add_nc_u16 v8, v7, v10
	v_and_b32_e32 v7, 0xff, v7
	v_add_nc_u16 v10, v8, v11
	v_lshlrev_b16 v8, 8, v8
	s_delay_alu instid0(VALU_DEP_2) | instskip(SKIP_1) | instid1(VALU_DEP_3)
	v_add_nc_u16 v11, v10, v13
	v_and_b32_e32 v10, 0xff, v10
	v_or_b32_e32 v7, v7, v8
	s_delay_alu instid0(VALU_DEP_3) | instskip(SKIP_1) | instid1(VALU_DEP_3)
	v_add_nc_u16 v9, v11, v9
	v_lshlrev_b16 v11, 8, v11
	v_and_b32_e32 v7, 0xffff, v7
	s_delay_alu instid0(VALU_DEP_3) | instskip(SKIP_1) | instid1(VALU_DEP_4)
	v_add_nc_u16 v12, v9, v14
	v_and_b32_e32 v9, 0xff, v9
	v_or_b32_e32 v8, v10, v11
	s_delay_alu instid0(VALU_DEP_3) | instskip(SKIP_1) | instid1(VALU_DEP_3)
	v_add_nc_u16 v13, v12, v15
	v_lshlrev_b16 v12, 8, v12
	v_lshlrev_b32_e32 v8, 16, v8
	s_delay_alu instid0(VALU_DEP_3) | instskip(SKIP_1) | instid1(VALU_DEP_4)
	v_add_nc_u16 v14, v13, v16
	v_and_b32_e32 v13, 0xff, v13
	v_or_b32_e32 v9, v9, v12
	s_delay_alu instid0(VALU_DEP_4) | instskip(NEXT) | instid1(VALU_DEP_4)
	v_or_b32_e32 v7, v7, v8
	v_lshlrev_b16 v14, 8, v14
	s_delay_alu instid0(VALU_DEP_3) | instskip(NEXT) | instid1(VALU_DEP_2)
	v_and_b32_e32 v9, 0xffff, v9
	v_or_b32_e32 v10, v13, v14
	s_delay_alu instid0(VALU_DEP_1) | instskip(NEXT) | instid1(VALU_DEP_1)
	v_lshlrev_b32_e32 v10, 16, v10
	v_or_b32_e32 v8, v9, v10
	ds_store_b64 v4, v[7:8]
	s_branch .LBB42_1
.LBB42_4:
	v_add_co_u32 v0, s0, s2, v1
	s_delay_alu instid0(VALU_DEP_1)
	v_add_co_ci_u32_e64 v1, null, s3, 0, s0
	s_waitcnt lgkmcnt(0)
	global_store_b8 v[0:1], v7, off
	s_nop 0
	s_sendmsg sendmsg(MSG_DEALLOC_VGPRS)
	s_endpgm
	.section	.rodata,"a",@progbits
	.p2align	6, 0x0
	.amdhsa_kernel _Z6kernelI14inclusive_scanILN6hipcub18BlockScanAlgorithmE1EEhLj256ELj1ELj100EEvPKT0_PS4_S4_
		.amdhsa_group_segment_fixed_size 264
		.amdhsa_private_segment_fixed_size 0
		.amdhsa_kernarg_size 280
		.amdhsa_user_sgpr_count 15
		.amdhsa_user_sgpr_dispatch_ptr 0
		.amdhsa_user_sgpr_queue_ptr 0
		.amdhsa_user_sgpr_kernarg_segment_ptr 1
		.amdhsa_user_sgpr_dispatch_id 0
		.amdhsa_user_sgpr_private_segment_size 0
		.amdhsa_wavefront_size32 1
		.amdhsa_uses_dynamic_stack 0
		.amdhsa_enable_private_segment 0
		.amdhsa_system_sgpr_workgroup_id_x 1
		.amdhsa_system_sgpr_workgroup_id_y 0
		.amdhsa_system_sgpr_workgroup_id_z 0
		.amdhsa_system_sgpr_workgroup_info 0
		.amdhsa_system_vgpr_workitem_id 0
		.amdhsa_next_free_vgpr 19
		.amdhsa_next_free_sgpr 16
		.amdhsa_reserve_vcc 1
		.amdhsa_float_round_mode_32 0
		.amdhsa_float_round_mode_16_64 0
		.amdhsa_float_denorm_mode_32 3
		.amdhsa_float_denorm_mode_16_64 3
		.amdhsa_dx10_clamp 1
		.amdhsa_ieee_mode 1
		.amdhsa_fp16_overflow 0
		.amdhsa_workgroup_processor_mode 1
		.amdhsa_memory_ordered 1
		.amdhsa_forward_progress 0
		.amdhsa_shared_vgpr_count 0
		.amdhsa_exception_fp_ieee_invalid_op 0
		.amdhsa_exception_fp_denorm_src 0
		.amdhsa_exception_fp_ieee_div_zero 0
		.amdhsa_exception_fp_ieee_overflow 0
		.amdhsa_exception_fp_ieee_underflow 0
		.amdhsa_exception_fp_ieee_inexact 0
		.amdhsa_exception_int_div_zero 0
	.end_amdhsa_kernel
	.section	.text._Z6kernelI14inclusive_scanILN6hipcub18BlockScanAlgorithmE1EEhLj256ELj1ELj100EEvPKT0_PS4_S4_,"axG",@progbits,_Z6kernelI14inclusive_scanILN6hipcub18BlockScanAlgorithmE1EEhLj256ELj1ELj100EEvPKT0_PS4_S4_,comdat
.Lfunc_end42:
	.size	_Z6kernelI14inclusive_scanILN6hipcub18BlockScanAlgorithmE1EEhLj256ELj1ELj100EEvPKT0_PS4_S4_, .Lfunc_end42-_Z6kernelI14inclusive_scanILN6hipcub18BlockScanAlgorithmE1EEhLj256ELj1ELj100EEvPKT0_PS4_S4_
                                        ; -- End function
	.section	.AMDGPU.csdata,"",@progbits
; Kernel info:
; codeLenInByte = 864
; NumSgprs: 18
; NumVgprs: 19
; ScratchSize: 0
; MemoryBound: 0
; FloatMode: 240
; IeeeMode: 1
; LDSByteSize: 264 bytes/workgroup (compile time only)
; SGPRBlocks: 2
; VGPRBlocks: 2
; NumSGPRsForWavesPerEU: 18
; NumVGPRsForWavesPerEU: 19
; Occupancy: 16
; WaveLimiterHint : 0
; COMPUTE_PGM_RSRC2:SCRATCH_EN: 0
; COMPUTE_PGM_RSRC2:USER_SGPR: 15
; COMPUTE_PGM_RSRC2:TRAP_HANDLER: 0
; COMPUTE_PGM_RSRC2:TGID_X_EN: 1
; COMPUTE_PGM_RSRC2:TGID_Y_EN: 0
; COMPUTE_PGM_RSRC2:TGID_Z_EN: 0
; COMPUTE_PGM_RSRC2:TIDIG_COMP_CNT: 0
	.section	.text._Z6kernelI14inclusive_scanILN6hipcub18BlockScanAlgorithmE1EEhLj256ELj3ELj100EEvPKT0_PS4_S4_,"axG",@progbits,_Z6kernelI14inclusive_scanILN6hipcub18BlockScanAlgorithmE1EEhLj256ELj3ELj100EEvPKT0_PS4_S4_,comdat
	.protected	_Z6kernelI14inclusive_scanILN6hipcub18BlockScanAlgorithmE1EEhLj256ELj3ELj100EEvPKT0_PS4_S4_ ; -- Begin function _Z6kernelI14inclusive_scanILN6hipcub18BlockScanAlgorithmE1EEhLj256ELj3ELj100EEvPKT0_PS4_S4_
	.globl	_Z6kernelI14inclusive_scanILN6hipcub18BlockScanAlgorithmE1EEhLj256ELj3ELj100EEvPKT0_PS4_S4_
	.p2align	8
	.type	_Z6kernelI14inclusive_scanILN6hipcub18BlockScanAlgorithmE1EEhLj256ELj3ELj100EEvPKT0_PS4_S4_,@function
_Z6kernelI14inclusive_scanILN6hipcub18BlockScanAlgorithmE1EEhLj256ELj3ELj100EEvPKT0_PS4_S4_: ; @_Z6kernelI14inclusive_scanILN6hipcub18BlockScanAlgorithmE1EEhLj256ELj3ELj100EEvPKT0_PS4_S4_
; %bb.0:
	s_clause 0x1
	s_load_b32 s2, s[0:1], 0x24
	s_load_b128 s[4:7], s[0:1], 0x0
	v_add_nc_u32_e32 v8, -1, v0
	v_mbcnt_lo_u32_b32 v4, -1, 0
	v_lshrrev_b32_e32 v7, 5, v0
	v_lshrrev_b32_e32 v10, 2, v0
	v_cmp_gt_u32_e32 vcc_lo, 32, v0
	v_lshrrev_b32_e32 v11, 5, v8
	v_cmp_ne_u32_e64 s1, 0, v0
	v_add_nc_u32_e32 v7, v7, v0
	s_movk_i32 s3, 0x64
	s_delay_alu instid0(VALU_DEP_3) | instskip(SKIP_2) | instid1(SALU_CYCLE_1)
	v_add_nc_u32_e32 v8, v11, v8
	s_waitcnt lgkmcnt(0)
	s_and_b32 s0, s2, 0xffff
	v_mad_u64_u32 v[1:2], null, s15, s0, v[0:1]
	v_cmp_eq_u32_e64 s0, 0, v0
	v_lshl_add_u32 v0, v0, 3, v10
	s_delay_alu instid0(VALU_DEP_3) | instskip(NEXT) | instid1(VALU_DEP_1)
	v_lshl_add_u32 v3, v1, 1, v1
	v_add_nc_u32_e32 v2, 1, v3
	v_add_nc_u32_e32 v1, 2, v3
	s_clause 0x2
	global_load_u8 v5, v2, s[4:5]
	global_load_u8 v6, v3, s[4:5]
	;; [unrolled: 1-line block ×3, first 2 shown]
	s_waitcnt vmcnt(2)
	v_lshlrev_b16 v5, 8, v5
	s_waitcnt vmcnt(1)
	s_delay_alu instid0(VALU_DEP_1) | instskip(SKIP_1) | instid1(VALU_DEP_2)
	v_or_b32_e32 v6, v6, v5
	v_and_b32_e32 v5, 15, v4
	v_and_b32_e32 v12, 0xffff, v6
	;; [unrolled: 1-line block ×3, first 2 shown]
	s_waitcnt vmcnt(0)
	s_delay_alu instid0(VALU_DEP_2)
	v_lshl_or_b32 v10, v9, 16, v12
	v_add_nc_u32_e32 v9, -1, v4
	s_branch .LBB43_2
.LBB43_1:                               ;   in Loop: Header=BB43_2 Depth=1
	s_or_b32 exec_lo, exec_lo, s2
	s_waitcnt lgkmcnt(0)
	v_add_nc_u16 v13, v13, v10
	s_add_i32 s3, s3, -1
	s_delay_alu instid0(SALU_CYCLE_1) | instskip(NEXT) | instid1(VALU_DEP_1)
	s_cmp_lg_u32 s3, 0
	v_add_nc_u16 v12, v13, v12
	v_and_b32_e32 v10, 0xff, v13
	s_delay_alu instid0(VALU_DEP_2) | instskip(SKIP_1) | instid1(VALU_DEP_2)
	v_lshlrev_b16 v14, 8, v12
	v_add_nc_u16 v11, v12, v11
	v_or_b32_e32 v10, v10, v14
	s_delay_alu instid0(VALU_DEP_2) | instskip(NEXT) | instid1(VALU_DEP_2)
	v_and_b32_e32 v14, 0xff, v11
	v_and_b32_e32 v10, 0xffff, v10
	s_delay_alu instid0(VALU_DEP_2) | instskip(NEXT) | instid1(VALU_DEP_1)
	v_lshlrev_b32_e32 v14, 16, v14
	v_or_b32_e32 v10, v10, v14
	s_cbranch_scc0 .LBB43_6
.LBB43_2:                               ; =>This Inner Loop Header: Depth=1
	s_delay_alu instid0(VALU_DEP_1) | instskip(SKIP_1) | instid1(VALU_DEP_2)
	v_lshrrev_b32_e32 v12, 8, v10
	v_lshrrev_b32_e32 v11, 16, v10
	v_add_nc_u16 v13, v12, v10
	s_delay_alu instid0(VALU_DEP_1)
	v_add_nc_u16 v13, v13, v11
	ds_store_b8 v7, v13
	s_waitcnt lgkmcnt(0)
	s_barrier
	buffer_gl0_inv
	s_and_saveexec_b32 s4, vcc_lo
	s_cbranch_execz .LBB43_4
; %bb.3:                                ;   in Loop: Header=BB43_2 Depth=1
	ds_load_b64 v[14:15], v0
	v_cmp_ne_u32_e64 s2, 0, v5
	s_waitcnt lgkmcnt(0)
	v_lshrrev_b32_e32 v16, 8, v14
	v_lshrrev_b32_e32 v17, 16, v14
	;; [unrolled: 1-line block ×5, first 2 shown]
	v_add_nc_u16 v18, v16, v14
	v_lshrrev_b32_e32 v22, 24, v15
	s_delay_alu instid0(VALU_DEP_2) | instskip(NEXT) | instid1(VALU_DEP_1)
	v_add_nc_u16 v18, v18, v17
	v_add_nc_u16 v18, v18, v19
	s_delay_alu instid0(VALU_DEP_1) | instskip(NEXT) | instid1(VALU_DEP_1)
	v_add_nc_u16 v18, v18, v15
	v_add_nc_u16 v18, v18, v20
	s_delay_alu instid0(VALU_DEP_1) | instskip(NEXT) | instid1(VALU_DEP_1)
	;; [unrolled: 3-line block ×3, first 2 shown]
	v_and_b32_e32 v23, 0xff, v18
	v_mov_b32_dpp v23, v23 row_shr:1 row_mask:0xf bank_mask:0xf
	s_delay_alu instid0(VALU_DEP_1) | instskip(SKIP_1) | instid1(VALU_DEP_2)
	v_cndmask_b32_e64 v23, 0, v23, s2
	v_cmp_lt_u32_e64 s2, 1, v5
	v_add_nc_u16 v18, v23, v18
	s_delay_alu instid0(VALU_DEP_1) | instskip(NEXT) | instid1(VALU_DEP_1)
	v_and_b32_e32 v23, 0xff, v18
	v_mov_b32_dpp v23, v23 row_shr:2 row_mask:0xf bank_mask:0xf
	s_delay_alu instid0(VALU_DEP_1) | instskip(SKIP_1) | instid1(VALU_DEP_2)
	v_cndmask_b32_e64 v23, 0, v23, s2
	v_cmp_lt_u32_e64 s2, 3, v5
	v_add_nc_u16 v18, v18, v23
	s_delay_alu instid0(VALU_DEP_1) | instskip(NEXT) | instid1(VALU_DEP_1)
	;; [unrolled: 7-line block ×3, first 2 shown]
	v_and_b32_e32 v23, 0xff, v18
	v_mov_b32_dpp v23, v23 row_shr:8 row_mask:0xf bank_mask:0xf
	s_delay_alu instid0(VALU_DEP_1) | instskip(SKIP_1) | instid1(VALU_DEP_2)
	v_cndmask_b32_e64 v23, 0, v23, s2
	v_cmp_ne_u32_e64 s2, 0, v6
	v_add_nc_u16 v18, v18, v23
	s_delay_alu instid0(VALU_DEP_1) | instskip(SKIP_4) | instid1(VALU_DEP_2)
	v_and_b32_e32 v23, 0xff, v18
	ds_swizzle_b32 v23, v23 offset:swizzle(BROADCAST,32,15)
	s_waitcnt lgkmcnt(0)
	v_cndmask_b32_e64 v23, 0, v23, s2
	v_cmp_gt_i32_e64 s2, 0, v9
	v_add_nc_u16 v18, v18, v23
	s_delay_alu instid0(VALU_DEP_2) | instskip(NEXT) | instid1(VALU_DEP_2)
	v_cndmask_b32_e64 v24, v9, v4, s2
	v_and_b32_e32 v18, 0xff, v18
	s_delay_alu instid0(VALU_DEP_2) | instskip(SKIP_3) | instid1(VALU_DEP_1)
	v_lshlrev_b32_e32 v23, 2, v24
	ds_bpermute_b32 v18, v23, v18
	s_waitcnt lgkmcnt(0)
	v_add_nc_u16 v14, v14, v18
	v_cndmask_b32_e64 v13, v14, v13, s0
	s_delay_alu instid0(VALU_DEP_1) | instskip(SKIP_1) | instid1(VALU_DEP_2)
	v_add_nc_u16 v14, v13, v16
	v_and_b32_e32 v13, 0xff, v13
	v_add_nc_u16 v16, v14, v17
	v_lshlrev_b16 v14, 8, v14
	s_delay_alu instid0(VALU_DEP_2) | instskip(SKIP_1) | instid1(VALU_DEP_3)
	v_add_nc_u16 v17, v16, v19
	v_and_b32_e32 v16, 0xff, v16
	v_or_b32_e32 v13, v13, v14
	s_delay_alu instid0(VALU_DEP_3) | instskip(SKIP_1) | instid1(VALU_DEP_3)
	v_add_nc_u16 v15, v17, v15
	v_lshlrev_b16 v17, 8, v17
	v_and_b32_e32 v13, 0xffff, v13
	s_delay_alu instid0(VALU_DEP_3) | instskip(SKIP_1) | instid1(VALU_DEP_4)
	v_add_nc_u16 v18, v15, v20
	v_and_b32_e32 v15, 0xff, v15
	v_or_b32_e32 v14, v16, v17
	s_delay_alu instid0(VALU_DEP_3) | instskip(SKIP_1) | instid1(VALU_DEP_3)
	v_add_nc_u16 v19, v18, v21
	v_lshlrev_b16 v18, 8, v18
	v_lshlrev_b32_e32 v14, 16, v14
	s_delay_alu instid0(VALU_DEP_3) | instskip(SKIP_1) | instid1(VALU_DEP_4)
	v_add_nc_u16 v20, v19, v22
	v_and_b32_e32 v19, 0xff, v19
	v_or_b32_e32 v15, v15, v18
	s_delay_alu instid0(VALU_DEP_4) | instskip(NEXT) | instid1(VALU_DEP_4)
	v_or_b32_e32 v13, v13, v14
	v_lshlrev_b16 v20, 8, v20
	s_delay_alu instid0(VALU_DEP_3) | instskip(NEXT) | instid1(VALU_DEP_2)
	v_and_b32_e32 v15, 0xffff, v15
	v_or_b32_e32 v16, v19, v20
	s_delay_alu instid0(VALU_DEP_1) | instskip(NEXT) | instid1(VALU_DEP_1)
	v_lshlrev_b32_e32 v16, 16, v16
	v_or_b32_e32 v14, v15, v16
	ds_store_b64 v0, v[13:14]
.LBB43_4:                               ;   in Loop: Header=BB43_2 Depth=1
	s_or_b32 exec_lo, exec_lo, s4
	v_mov_b32_e32 v13, 0
	s_waitcnt lgkmcnt(0)
	s_barrier
	buffer_gl0_inv
	s_and_saveexec_b32 s2, s1
	s_cbranch_execz .LBB43_1
; %bb.5:                                ;   in Loop: Header=BB43_2 Depth=1
	ds_load_u8 v13, v8
	s_branch .LBB43_1
.LBB43_6:
	v_add_co_u32 v3, s0, s6, v3
	s_delay_alu instid0(VALU_DEP_1) | instskip(SKIP_1) | instid1(VALU_DEP_1)
	v_add_co_ci_u32_e64 v4, null, s7, 0, s0
	v_add_co_u32 v5, s0, s6, v2
	v_add_co_ci_u32_e64 v6, null, s7, 0, s0
	v_add_co_u32 v0, s0, s6, v1
	s_delay_alu instid0(VALU_DEP_1)
	v_add_co_ci_u32_e64 v1, null, s7, 0, s0
	s_clause 0x2
	global_store_b8 v[3:4], v13, off
	global_store_b8 v[5:6], v12, off
	;; [unrolled: 1-line block ×3, first 2 shown]
	s_nop 0
	s_sendmsg sendmsg(MSG_DEALLOC_VGPRS)
	s_endpgm
	.section	.rodata,"a",@progbits
	.p2align	6, 0x0
	.amdhsa_kernel _Z6kernelI14inclusive_scanILN6hipcub18BlockScanAlgorithmE1EEhLj256ELj3ELj100EEvPKT0_PS4_S4_
		.amdhsa_group_segment_fixed_size 264
		.amdhsa_private_segment_fixed_size 0
		.amdhsa_kernarg_size 280
		.amdhsa_user_sgpr_count 15
		.amdhsa_user_sgpr_dispatch_ptr 0
		.amdhsa_user_sgpr_queue_ptr 0
		.amdhsa_user_sgpr_kernarg_segment_ptr 1
		.amdhsa_user_sgpr_dispatch_id 0
		.amdhsa_user_sgpr_private_segment_size 0
		.amdhsa_wavefront_size32 1
		.amdhsa_uses_dynamic_stack 0
		.amdhsa_enable_private_segment 0
		.amdhsa_system_sgpr_workgroup_id_x 1
		.amdhsa_system_sgpr_workgroup_id_y 0
		.amdhsa_system_sgpr_workgroup_id_z 0
		.amdhsa_system_sgpr_workgroup_info 0
		.amdhsa_system_vgpr_workitem_id 0
		.amdhsa_next_free_vgpr 25
		.amdhsa_next_free_sgpr 16
		.amdhsa_reserve_vcc 1
		.amdhsa_float_round_mode_32 0
		.amdhsa_float_round_mode_16_64 0
		.amdhsa_float_denorm_mode_32 3
		.amdhsa_float_denorm_mode_16_64 3
		.amdhsa_dx10_clamp 1
		.amdhsa_ieee_mode 1
		.amdhsa_fp16_overflow 0
		.amdhsa_workgroup_processor_mode 1
		.amdhsa_memory_ordered 1
		.amdhsa_forward_progress 0
		.amdhsa_shared_vgpr_count 0
		.amdhsa_exception_fp_ieee_invalid_op 0
		.amdhsa_exception_fp_denorm_src 0
		.amdhsa_exception_fp_ieee_div_zero 0
		.amdhsa_exception_fp_ieee_overflow 0
		.amdhsa_exception_fp_ieee_underflow 0
		.amdhsa_exception_fp_ieee_inexact 0
		.amdhsa_exception_int_div_zero 0
	.end_amdhsa_kernel
	.section	.text._Z6kernelI14inclusive_scanILN6hipcub18BlockScanAlgorithmE1EEhLj256ELj3ELj100EEvPKT0_PS4_S4_,"axG",@progbits,_Z6kernelI14inclusive_scanILN6hipcub18BlockScanAlgorithmE1EEhLj256ELj3ELj100EEvPKT0_PS4_S4_,comdat
.Lfunc_end43:
	.size	_Z6kernelI14inclusive_scanILN6hipcub18BlockScanAlgorithmE1EEhLj256ELj3ELj100EEvPKT0_PS4_S4_, .Lfunc_end43-_Z6kernelI14inclusive_scanILN6hipcub18BlockScanAlgorithmE1EEhLj256ELj3ELj100EEvPKT0_PS4_S4_
                                        ; -- End function
	.section	.AMDGPU.csdata,"",@progbits
; Kernel info:
; codeLenInByte = 1148
; NumSgprs: 18
; NumVgprs: 25
; ScratchSize: 0
; MemoryBound: 0
; FloatMode: 240
; IeeeMode: 1
; LDSByteSize: 264 bytes/workgroup (compile time only)
; SGPRBlocks: 2
; VGPRBlocks: 3
; NumSGPRsForWavesPerEU: 18
; NumVGPRsForWavesPerEU: 25
; Occupancy: 16
; WaveLimiterHint : 0
; COMPUTE_PGM_RSRC2:SCRATCH_EN: 0
; COMPUTE_PGM_RSRC2:USER_SGPR: 15
; COMPUTE_PGM_RSRC2:TRAP_HANDLER: 0
; COMPUTE_PGM_RSRC2:TGID_X_EN: 1
; COMPUTE_PGM_RSRC2:TGID_Y_EN: 0
; COMPUTE_PGM_RSRC2:TGID_Z_EN: 0
; COMPUTE_PGM_RSRC2:TIDIG_COMP_CNT: 0
	.section	.text._Z6kernelI14inclusive_scanILN6hipcub18BlockScanAlgorithmE1EEhLj256ELj4ELj100EEvPKT0_PS4_S4_,"axG",@progbits,_Z6kernelI14inclusive_scanILN6hipcub18BlockScanAlgorithmE1EEhLj256ELj4ELj100EEvPKT0_PS4_S4_,comdat
	.protected	_Z6kernelI14inclusive_scanILN6hipcub18BlockScanAlgorithmE1EEhLj256ELj4ELj100EEvPKT0_PS4_S4_ ; -- Begin function _Z6kernelI14inclusive_scanILN6hipcub18BlockScanAlgorithmE1EEhLj256ELj4ELj100EEvPKT0_PS4_S4_
	.globl	_Z6kernelI14inclusive_scanILN6hipcub18BlockScanAlgorithmE1EEhLj256ELj4ELj100EEvPKT0_PS4_S4_
	.p2align	8
	.type	_Z6kernelI14inclusive_scanILN6hipcub18BlockScanAlgorithmE1EEhLj256ELj4ELj100EEvPKT0_PS4_S4_,@function
_Z6kernelI14inclusive_scanILN6hipcub18BlockScanAlgorithmE1EEhLj256ELj4ELj100EEvPKT0_PS4_S4_: ; @_Z6kernelI14inclusive_scanILN6hipcub18BlockScanAlgorithmE1EEhLj256ELj4ELj100EEvPKT0_PS4_S4_
; %bb.0:
	s_clause 0x1
	s_load_b32 s2, s[0:1], 0x24
	s_load_b128 s[4:7], s[0:1], 0x0
	v_add_nc_u32_e32 v5, -1, v0
	v_lshrrev_b32_e32 v3, 5, v0
	v_lshrrev_b32_e32 v6, 2, v0
	v_mbcnt_lo_u32_b32 v4, -1, 0
	v_cmp_gt_u32_e32 vcc_lo, 32, v0
	v_lshrrev_b32_e32 v7, 5, v5
	v_add_nc_u32_e32 v3, v3, v0
	v_cmp_ne_u32_e64 s1, 0, v0
	v_add_nc_u32_e32 v8, -1, v4
	s_movk_i32 s3, 0x64
	v_add_nc_u32_e32 v5, v7, v5
	v_and_b32_e32 v7, 16, v4
	s_waitcnt lgkmcnt(0)
	s_and_b32 s0, s2, 0xffff
	s_delay_alu instid0(SALU_CYCLE_1)
	s_mul_i32 s15, s15, s0
	v_cmp_eq_u32_e64 s0, 0, v0
	v_add_lshl_u32 v1, s15, v0, 2
	v_lshl_add_u32 v0, v0, 3, v6
	v_and_b32_e32 v6, 15, v4
	global_load_b32 v2, v1, s[4:5]
	s_branch .LBB44_2
.LBB44_1:                               ;   in Loop: Header=BB44_2 Depth=1
	s_or_b32 exec_lo, exec_lo, s2
	s_waitcnt lgkmcnt(0)
	v_add_nc_u16 v2, v12, v2
	s_add_i32 s3, s3, -1
	s_delay_alu instid0(SALU_CYCLE_1) | instskip(NEXT) | instid1(VALU_DEP_1)
	s_cmp_lg_u32 s3, 0
	v_add_nc_u16 v10, v2, v10
	v_and_b32_e32 v2, 0xff, v2
	s_delay_alu instid0(VALU_DEP_2) | instskip(SKIP_1) | instid1(VALU_DEP_2)
	v_add_nc_u16 v9, v10, v9
	v_lshlrev_b16 v10, 8, v10
	v_add_nc_u16 v11, v9, v11
	v_and_b32_e32 v9, 0xff, v9
	s_delay_alu instid0(VALU_DEP_3) | instskip(NEXT) | instid1(VALU_DEP_3)
	v_or_b32_e32 v2, v2, v10
	v_lshlrev_b16 v11, 8, v11
	s_delay_alu instid0(VALU_DEP_2) | instskip(NEXT) | instid1(VALU_DEP_2)
	v_and_b32_e32 v2, 0xffff, v2
	v_or_b32_e32 v9, v9, v11
	s_delay_alu instid0(VALU_DEP_1) | instskip(NEXT) | instid1(VALU_DEP_1)
	v_lshlrev_b32_e32 v9, 16, v9
	v_or_b32_e32 v2, v2, v9
	s_cbranch_scc0 .LBB44_6
.LBB44_2:                               ; =>This Inner Loop Header: Depth=1
	s_waitcnt vmcnt(0)
	s_delay_alu instid0(VALU_DEP_1) | instskip(SKIP_2) | instid1(VALU_DEP_3)
	v_lshrrev_b32_e32 v10, 8, v2
	v_lshrrev_b32_e32 v9, 16, v2
	;; [unrolled: 1-line block ×3, first 2 shown]
	v_add_nc_u16 v12, v10, v2
	s_delay_alu instid0(VALU_DEP_1) | instskip(NEXT) | instid1(VALU_DEP_1)
	v_add_nc_u16 v12, v12, v9
	v_add_nc_u16 v12, v12, v11
	ds_store_b8 v3, v12
	s_waitcnt lgkmcnt(0)
	s_barrier
	buffer_gl0_inv
	s_and_saveexec_b32 s4, vcc_lo
	s_cbranch_execz .LBB44_4
; %bb.3:                                ;   in Loop: Header=BB44_2 Depth=1
	ds_load_b64 v[13:14], v0
	v_cmp_ne_u32_e64 s2, 0, v6
	s_waitcnt lgkmcnt(0)
	v_lshrrev_b32_e32 v15, 8, v13
	v_lshrrev_b32_e32 v16, 16, v13
	;; [unrolled: 1-line block ×5, first 2 shown]
	v_add_nc_u16 v17, v15, v13
	v_lshrrev_b32_e32 v21, 24, v14
	s_delay_alu instid0(VALU_DEP_2) | instskip(NEXT) | instid1(VALU_DEP_1)
	v_add_nc_u16 v17, v17, v16
	v_add_nc_u16 v17, v17, v18
	s_delay_alu instid0(VALU_DEP_1) | instskip(NEXT) | instid1(VALU_DEP_1)
	v_add_nc_u16 v17, v17, v14
	v_add_nc_u16 v17, v17, v19
	s_delay_alu instid0(VALU_DEP_1) | instskip(NEXT) | instid1(VALU_DEP_1)
	;; [unrolled: 3-line block ×3, first 2 shown]
	v_and_b32_e32 v22, 0xff, v17
	v_mov_b32_dpp v22, v22 row_shr:1 row_mask:0xf bank_mask:0xf
	s_delay_alu instid0(VALU_DEP_1) | instskip(SKIP_1) | instid1(VALU_DEP_2)
	v_cndmask_b32_e64 v22, 0, v22, s2
	v_cmp_lt_u32_e64 s2, 1, v6
	v_add_nc_u16 v17, v22, v17
	s_delay_alu instid0(VALU_DEP_1) | instskip(NEXT) | instid1(VALU_DEP_1)
	v_and_b32_e32 v22, 0xff, v17
	v_mov_b32_dpp v22, v22 row_shr:2 row_mask:0xf bank_mask:0xf
	s_delay_alu instid0(VALU_DEP_1) | instskip(SKIP_1) | instid1(VALU_DEP_2)
	v_cndmask_b32_e64 v22, 0, v22, s2
	v_cmp_lt_u32_e64 s2, 3, v6
	v_add_nc_u16 v17, v17, v22
	s_delay_alu instid0(VALU_DEP_1) | instskip(NEXT) | instid1(VALU_DEP_1)
	;; [unrolled: 7-line block ×3, first 2 shown]
	v_and_b32_e32 v22, 0xff, v17
	v_mov_b32_dpp v22, v22 row_shr:8 row_mask:0xf bank_mask:0xf
	s_delay_alu instid0(VALU_DEP_1) | instskip(SKIP_1) | instid1(VALU_DEP_2)
	v_cndmask_b32_e64 v22, 0, v22, s2
	v_cmp_ne_u32_e64 s2, 0, v7
	v_add_nc_u16 v17, v17, v22
	s_delay_alu instid0(VALU_DEP_1) | instskip(SKIP_4) | instid1(VALU_DEP_2)
	v_and_b32_e32 v22, 0xff, v17
	ds_swizzle_b32 v22, v22 offset:swizzle(BROADCAST,32,15)
	s_waitcnt lgkmcnt(0)
	v_cndmask_b32_e64 v22, 0, v22, s2
	v_cmp_gt_i32_e64 s2, 0, v8
	v_add_nc_u16 v17, v17, v22
	s_delay_alu instid0(VALU_DEP_2) | instskip(NEXT) | instid1(VALU_DEP_2)
	v_cndmask_b32_e64 v23, v8, v4, s2
	v_and_b32_e32 v17, 0xff, v17
	s_delay_alu instid0(VALU_DEP_2) | instskip(SKIP_3) | instid1(VALU_DEP_1)
	v_lshlrev_b32_e32 v22, 2, v23
	ds_bpermute_b32 v17, v22, v17
	s_waitcnt lgkmcnt(0)
	v_add_nc_u16 v13, v13, v17
	v_cndmask_b32_e64 v12, v13, v12, s0
	s_delay_alu instid0(VALU_DEP_1) | instskip(SKIP_1) | instid1(VALU_DEP_2)
	v_add_nc_u16 v13, v12, v15
	v_and_b32_e32 v12, 0xff, v12
	v_add_nc_u16 v15, v13, v16
	v_lshlrev_b16 v13, 8, v13
	s_delay_alu instid0(VALU_DEP_2) | instskip(SKIP_1) | instid1(VALU_DEP_3)
	v_add_nc_u16 v16, v15, v18
	v_and_b32_e32 v15, 0xff, v15
	v_or_b32_e32 v12, v12, v13
	s_delay_alu instid0(VALU_DEP_3) | instskip(SKIP_1) | instid1(VALU_DEP_3)
	v_add_nc_u16 v14, v16, v14
	v_lshlrev_b16 v16, 8, v16
	v_and_b32_e32 v12, 0xffff, v12
	s_delay_alu instid0(VALU_DEP_3) | instskip(SKIP_1) | instid1(VALU_DEP_4)
	v_add_nc_u16 v17, v14, v19
	v_and_b32_e32 v14, 0xff, v14
	v_or_b32_e32 v13, v15, v16
	s_delay_alu instid0(VALU_DEP_3) | instskip(SKIP_1) | instid1(VALU_DEP_3)
	v_add_nc_u16 v18, v17, v20
	v_lshlrev_b16 v17, 8, v17
	v_lshlrev_b32_e32 v13, 16, v13
	s_delay_alu instid0(VALU_DEP_3) | instskip(SKIP_1) | instid1(VALU_DEP_4)
	v_add_nc_u16 v19, v18, v21
	v_and_b32_e32 v18, 0xff, v18
	v_or_b32_e32 v14, v14, v17
	s_delay_alu instid0(VALU_DEP_4) | instskip(NEXT) | instid1(VALU_DEP_4)
	v_or_b32_e32 v12, v12, v13
	v_lshlrev_b16 v19, 8, v19
	s_delay_alu instid0(VALU_DEP_3) | instskip(NEXT) | instid1(VALU_DEP_2)
	v_and_b32_e32 v14, 0xffff, v14
	v_or_b32_e32 v15, v18, v19
	s_delay_alu instid0(VALU_DEP_1) | instskip(NEXT) | instid1(VALU_DEP_1)
	v_lshlrev_b32_e32 v15, 16, v15
	v_or_b32_e32 v13, v14, v15
	ds_store_b64 v0, v[12:13]
.LBB44_4:                               ;   in Loop: Header=BB44_2 Depth=1
	s_or_b32 exec_lo, exec_lo, s4
	v_mov_b32_e32 v12, 0
	s_waitcnt lgkmcnt(0)
	s_barrier
	buffer_gl0_inv
	s_and_saveexec_b32 s2, s1
	s_cbranch_execz .LBB44_1
; %bb.5:                                ;   in Loop: Header=BB44_2 Depth=1
	ds_load_u8 v12, v5
	s_branch .LBB44_1
.LBB44_6:
	v_add_co_u32 v0, s0, s6, v1
	s_delay_alu instid0(VALU_DEP_1)
	v_add_co_ci_u32_e64 v1, null, s7, 0, s0
	global_store_b32 v[0:1], v2, off
	s_nop 0
	s_sendmsg sendmsg(MSG_DEALLOC_VGPRS)
	s_endpgm
	.section	.rodata,"a",@progbits
	.p2align	6, 0x0
	.amdhsa_kernel _Z6kernelI14inclusive_scanILN6hipcub18BlockScanAlgorithmE1EEhLj256ELj4ELj100EEvPKT0_PS4_S4_
		.amdhsa_group_segment_fixed_size 264
		.amdhsa_private_segment_fixed_size 0
		.amdhsa_kernarg_size 280
		.amdhsa_user_sgpr_count 15
		.amdhsa_user_sgpr_dispatch_ptr 0
		.amdhsa_user_sgpr_queue_ptr 0
		.amdhsa_user_sgpr_kernarg_segment_ptr 1
		.amdhsa_user_sgpr_dispatch_id 0
		.amdhsa_user_sgpr_private_segment_size 0
		.amdhsa_wavefront_size32 1
		.amdhsa_uses_dynamic_stack 0
		.amdhsa_enable_private_segment 0
		.amdhsa_system_sgpr_workgroup_id_x 1
		.amdhsa_system_sgpr_workgroup_id_y 0
		.amdhsa_system_sgpr_workgroup_id_z 0
		.amdhsa_system_sgpr_workgroup_info 0
		.amdhsa_system_vgpr_workitem_id 0
		.amdhsa_next_free_vgpr 24
		.amdhsa_next_free_sgpr 16
		.amdhsa_reserve_vcc 1
		.amdhsa_float_round_mode_32 0
		.amdhsa_float_round_mode_16_64 0
		.amdhsa_float_denorm_mode_32 3
		.amdhsa_float_denorm_mode_16_64 3
		.amdhsa_dx10_clamp 1
		.amdhsa_ieee_mode 1
		.amdhsa_fp16_overflow 0
		.amdhsa_workgroup_processor_mode 1
		.amdhsa_memory_ordered 1
		.amdhsa_forward_progress 0
		.amdhsa_shared_vgpr_count 0
		.amdhsa_exception_fp_ieee_invalid_op 0
		.amdhsa_exception_fp_denorm_src 0
		.amdhsa_exception_fp_ieee_div_zero 0
		.amdhsa_exception_fp_ieee_overflow 0
		.amdhsa_exception_fp_ieee_underflow 0
		.amdhsa_exception_fp_ieee_inexact 0
		.amdhsa_exception_int_div_zero 0
	.end_amdhsa_kernel
	.section	.text._Z6kernelI14inclusive_scanILN6hipcub18BlockScanAlgorithmE1EEhLj256ELj4ELj100EEvPKT0_PS4_S4_,"axG",@progbits,_Z6kernelI14inclusive_scanILN6hipcub18BlockScanAlgorithmE1EEhLj256ELj4ELj100EEvPKT0_PS4_S4_,comdat
.Lfunc_end44:
	.size	_Z6kernelI14inclusive_scanILN6hipcub18BlockScanAlgorithmE1EEhLj256ELj4ELj100EEvPKT0_PS4_S4_, .Lfunc_end44-_Z6kernelI14inclusive_scanILN6hipcub18BlockScanAlgorithmE1EEhLj256ELj4ELj100EEvPKT0_PS4_S4_
                                        ; -- End function
	.section	.AMDGPU.csdata,"",@progbits
; Kernel info:
; codeLenInByte = 1048
; NumSgprs: 18
; NumVgprs: 24
; ScratchSize: 0
; MemoryBound: 0
; FloatMode: 240
; IeeeMode: 1
; LDSByteSize: 264 bytes/workgroup (compile time only)
; SGPRBlocks: 2
; VGPRBlocks: 2
; NumSGPRsForWavesPerEU: 18
; NumVGPRsForWavesPerEU: 24
; Occupancy: 16
; WaveLimiterHint : 0
; COMPUTE_PGM_RSRC2:SCRATCH_EN: 0
; COMPUTE_PGM_RSRC2:USER_SGPR: 15
; COMPUTE_PGM_RSRC2:TRAP_HANDLER: 0
; COMPUTE_PGM_RSRC2:TGID_X_EN: 1
; COMPUTE_PGM_RSRC2:TGID_Y_EN: 0
; COMPUTE_PGM_RSRC2:TGID_Z_EN: 0
; COMPUTE_PGM_RSRC2:TIDIG_COMP_CNT: 0
	.section	.text._Z6kernelI14inclusive_scanILN6hipcub18BlockScanAlgorithmE1EEhLj256ELj8ELj100EEvPKT0_PS4_S4_,"axG",@progbits,_Z6kernelI14inclusive_scanILN6hipcub18BlockScanAlgorithmE1EEhLj256ELj8ELj100EEvPKT0_PS4_S4_,comdat
	.protected	_Z6kernelI14inclusive_scanILN6hipcub18BlockScanAlgorithmE1EEhLj256ELj8ELj100EEvPKT0_PS4_S4_ ; -- Begin function _Z6kernelI14inclusive_scanILN6hipcub18BlockScanAlgorithmE1EEhLj256ELj8ELj100EEvPKT0_PS4_S4_
	.globl	_Z6kernelI14inclusive_scanILN6hipcub18BlockScanAlgorithmE1EEhLj256ELj8ELj100EEvPKT0_PS4_S4_
	.p2align	8
	.type	_Z6kernelI14inclusive_scanILN6hipcub18BlockScanAlgorithmE1EEhLj256ELj8ELj100EEvPKT0_PS4_S4_,@function
_Z6kernelI14inclusive_scanILN6hipcub18BlockScanAlgorithmE1EEhLj256ELj8ELj100EEvPKT0_PS4_S4_: ; @_Z6kernelI14inclusive_scanILN6hipcub18BlockScanAlgorithmE1EEhLj256ELj8ELj100EEvPKT0_PS4_S4_
; %bb.0:
	s_clause 0x1
	s_load_b32 s2, s[0:1], 0x24
	s_load_b128 s[4:7], s[0:1], 0x0
	v_add_nc_u32_e32 v6, -1, v0
	v_lshrrev_b32_e32 v4, 5, v0
	v_lshrrev_b32_e32 v7, 2, v0
	v_mbcnt_lo_u32_b32 v5, -1, 0
	v_cmp_gt_u32_e32 vcc_lo, 32, v0
	v_lshrrev_b32_e32 v8, 5, v6
	v_add_nc_u32_e32 v4, v4, v0
	v_cmp_ne_u32_e64 s1, 0, v0
	v_add_nc_u32_e32 v9, -1, v5
	s_movk_i32 s3, 0x64
	v_add_nc_u32_e32 v6, v8, v6
	v_and_b32_e32 v8, 16, v5
	s_waitcnt lgkmcnt(0)
	s_and_b32 s0, s2, 0xffff
	s_delay_alu instid0(SALU_CYCLE_1)
	s_mul_i32 s15, s15, s0
	v_cmp_eq_u32_e64 s0, 0, v0
	v_add_lshl_u32 v3, s15, v0, 3
	v_lshl_add_u32 v0, v0, 3, v7
	v_and_b32_e32 v7, 15, v5
	global_load_b64 v[1:2], v3, s[4:5]
	s_branch .LBB45_2
.LBB45_1:                               ;   in Loop: Header=BB45_2 Depth=1
	s_or_b32 exec_lo, exec_lo, s2
	s_waitcnt lgkmcnt(0)
	v_add_nc_u16 v1, v16, v1
	s_add_i32 s3, s3, -1
	s_delay_alu instid0(SALU_CYCLE_1) | instskip(NEXT) | instid1(VALU_DEP_1)
	s_cmp_lg_u32 s3, 0
	v_add_nc_u16 v10, v1, v10
	v_and_b32_e32 v1, 0xff, v1
	s_delay_alu instid0(VALU_DEP_2) | instskip(SKIP_1) | instid1(VALU_DEP_2)
	v_add_nc_u16 v11, v10, v11
	v_lshlrev_b16 v10, 8, v10
	v_add_nc_u16 v12, v11, v12
	v_and_b32_e32 v11, 0xff, v11
	s_delay_alu instid0(VALU_DEP_3) | instskip(NEXT) | instid1(VALU_DEP_3)
	v_or_b32_e32 v1, v1, v10
	v_add_nc_u16 v2, v12, v2
	v_lshlrev_b16 v12, 8, v12
	s_delay_alu instid0(VALU_DEP_3) | instskip(NEXT) | instid1(VALU_DEP_3)
	v_and_b32_e32 v10, 0xffff, v1
	v_add_nc_u16 v14, v2, v14
	v_and_b32_e32 v2, 0xff, v2
	s_delay_alu instid0(VALU_DEP_4) | instskip(NEXT) | instid1(VALU_DEP_3)
	v_or_b32_e32 v11, v11, v12
	v_add_nc_u16 v15, v14, v15
	v_lshlrev_b16 v14, 8, v14
	s_delay_alu instid0(VALU_DEP_3) | instskip(NEXT) | instid1(VALU_DEP_3)
	v_lshlrev_b32_e32 v11, 16, v11
	v_add_nc_u16 v13, v15, v13
	v_and_b32_e32 v15, 0xff, v15
	s_delay_alu instid0(VALU_DEP_4) | instskip(NEXT) | instid1(VALU_DEP_4)
	v_or_b32_e32 v2, v2, v14
	v_or_b32_e32 v1, v10, v11
	s_delay_alu instid0(VALU_DEP_4) | instskip(NEXT) | instid1(VALU_DEP_3)
	v_lshlrev_b16 v13, 8, v13
	v_and_b32_e32 v12, 0xffff, v2
	s_delay_alu instid0(VALU_DEP_2) | instskip(NEXT) | instid1(VALU_DEP_1)
	v_or_b32_e32 v13, v15, v13
	v_lshlrev_b32_e32 v13, 16, v13
	s_delay_alu instid0(VALU_DEP_1)
	v_or_b32_e32 v2, v12, v13
	s_cbranch_scc0 .LBB45_6
.LBB45_2:                               ; =>This Inner Loop Header: Depth=1
	s_waitcnt vmcnt(0)
	v_lshrrev_b32_e32 v10, 8, v1
	v_lshrrev_b32_e32 v11, 16, v1
	;; [unrolled: 1-line block ×5, first 2 shown]
	v_add_nc_u16 v13, v10, v1
	s_delay_alu instid0(VALU_DEP_1) | instskip(NEXT) | instid1(VALU_DEP_1)
	v_add_nc_u16 v13, v13, v11
	v_add_nc_u16 v13, v13, v12
	s_delay_alu instid0(VALU_DEP_1) | instskip(NEXT) | instid1(VALU_DEP_1)
	v_add_nc_u16 v13, v13, v2
	v_add_nc_u16 v16, v13, v14
	v_lshrrev_b32_e32 v13, 24, v2
	s_delay_alu instid0(VALU_DEP_2) | instskip(NEXT) | instid1(VALU_DEP_1)
	v_add_nc_u16 v16, v16, v15
	v_add_nc_u16 v16, v16, v13
	ds_store_b8 v4, v16
	s_waitcnt lgkmcnt(0)
	s_barrier
	buffer_gl0_inv
	s_and_saveexec_b32 s4, vcc_lo
	s_cbranch_execz .LBB45_4
; %bb.3:                                ;   in Loop: Header=BB45_2 Depth=1
	ds_load_b64 v[17:18], v0
	v_cmp_ne_u32_e64 s2, 0, v7
	s_waitcnt lgkmcnt(0)
	v_lshrrev_b32_e32 v19, 8, v17
	v_lshrrev_b32_e32 v20, 16, v17
	v_lshrrev_b32_e32 v22, 24, v17
	v_lshrrev_b32_e32 v23, 8, v18
	v_lshrrev_b32_e32 v24, 16, v18
	v_add_nc_u16 v21, v19, v17
	v_lshrrev_b32_e32 v25, 24, v18
	s_delay_alu instid0(VALU_DEP_2) | instskip(NEXT) | instid1(VALU_DEP_1)
	v_add_nc_u16 v21, v21, v20
	v_add_nc_u16 v21, v21, v22
	s_delay_alu instid0(VALU_DEP_1) | instskip(NEXT) | instid1(VALU_DEP_1)
	v_add_nc_u16 v21, v21, v18
	v_add_nc_u16 v21, v21, v23
	s_delay_alu instid0(VALU_DEP_1) | instskip(NEXT) | instid1(VALU_DEP_1)
	;; [unrolled: 3-line block ×3, first 2 shown]
	v_and_b32_e32 v26, 0xff, v21
	v_mov_b32_dpp v26, v26 row_shr:1 row_mask:0xf bank_mask:0xf
	s_delay_alu instid0(VALU_DEP_1) | instskip(SKIP_1) | instid1(VALU_DEP_2)
	v_cndmask_b32_e64 v26, 0, v26, s2
	v_cmp_lt_u32_e64 s2, 1, v7
	v_add_nc_u16 v21, v26, v21
	s_delay_alu instid0(VALU_DEP_1) | instskip(NEXT) | instid1(VALU_DEP_1)
	v_and_b32_e32 v26, 0xff, v21
	v_mov_b32_dpp v26, v26 row_shr:2 row_mask:0xf bank_mask:0xf
	s_delay_alu instid0(VALU_DEP_1) | instskip(SKIP_1) | instid1(VALU_DEP_2)
	v_cndmask_b32_e64 v26, 0, v26, s2
	v_cmp_lt_u32_e64 s2, 3, v7
	v_add_nc_u16 v21, v21, v26
	s_delay_alu instid0(VALU_DEP_1) | instskip(NEXT) | instid1(VALU_DEP_1)
	v_and_b32_e32 v26, 0xff, v21
	v_mov_b32_dpp v26, v26 row_shr:4 row_mask:0xf bank_mask:0xf
	s_delay_alu instid0(VALU_DEP_1) | instskip(SKIP_1) | instid1(VALU_DEP_2)
	v_cndmask_b32_e64 v26, 0, v26, s2
	v_cmp_lt_u32_e64 s2, 7, v7
	v_add_nc_u16 v21, v21, v26
	s_delay_alu instid0(VALU_DEP_1) | instskip(NEXT) | instid1(VALU_DEP_1)
	v_and_b32_e32 v26, 0xff, v21
	v_mov_b32_dpp v26, v26 row_shr:8 row_mask:0xf bank_mask:0xf
	s_delay_alu instid0(VALU_DEP_1) | instskip(SKIP_1) | instid1(VALU_DEP_2)
	v_cndmask_b32_e64 v26, 0, v26, s2
	v_cmp_ne_u32_e64 s2, 0, v8
	v_add_nc_u16 v21, v21, v26
	s_delay_alu instid0(VALU_DEP_1) | instskip(SKIP_4) | instid1(VALU_DEP_2)
	v_and_b32_e32 v26, 0xff, v21
	ds_swizzle_b32 v26, v26 offset:swizzle(BROADCAST,32,15)
	s_waitcnt lgkmcnt(0)
	v_cndmask_b32_e64 v26, 0, v26, s2
	v_cmp_gt_i32_e64 s2, 0, v9
	v_add_nc_u16 v21, v21, v26
	s_delay_alu instid0(VALU_DEP_2) | instskip(NEXT) | instid1(VALU_DEP_2)
	v_cndmask_b32_e64 v27, v9, v5, s2
	v_and_b32_e32 v21, 0xff, v21
	s_delay_alu instid0(VALU_DEP_2) | instskip(SKIP_3) | instid1(VALU_DEP_1)
	v_lshlrev_b32_e32 v26, 2, v27
	ds_bpermute_b32 v21, v26, v21
	s_waitcnt lgkmcnt(0)
	v_add_nc_u16 v17, v17, v21
	v_cndmask_b32_e64 v16, v17, v16, s0
	s_delay_alu instid0(VALU_DEP_1) | instskip(SKIP_1) | instid1(VALU_DEP_2)
	v_add_nc_u16 v17, v16, v19
	v_and_b32_e32 v16, 0xff, v16
	v_add_nc_u16 v19, v17, v20
	v_lshlrev_b16 v17, 8, v17
	s_delay_alu instid0(VALU_DEP_2) | instskip(SKIP_1) | instid1(VALU_DEP_3)
	v_add_nc_u16 v20, v19, v22
	v_and_b32_e32 v19, 0xff, v19
	v_or_b32_e32 v16, v16, v17
	s_delay_alu instid0(VALU_DEP_3) | instskip(SKIP_1) | instid1(VALU_DEP_3)
	v_add_nc_u16 v18, v20, v18
	v_lshlrev_b16 v20, 8, v20
	v_and_b32_e32 v16, 0xffff, v16
	s_delay_alu instid0(VALU_DEP_3) | instskip(SKIP_1) | instid1(VALU_DEP_4)
	v_add_nc_u16 v21, v18, v23
	v_and_b32_e32 v18, 0xff, v18
	v_or_b32_e32 v17, v19, v20
	s_delay_alu instid0(VALU_DEP_3) | instskip(SKIP_1) | instid1(VALU_DEP_3)
	v_add_nc_u16 v22, v21, v24
	v_lshlrev_b16 v21, 8, v21
	v_lshlrev_b32_e32 v17, 16, v17
	s_delay_alu instid0(VALU_DEP_3) | instskip(SKIP_1) | instid1(VALU_DEP_4)
	v_add_nc_u16 v23, v22, v25
	v_and_b32_e32 v22, 0xff, v22
	v_or_b32_e32 v18, v18, v21
	s_delay_alu instid0(VALU_DEP_4) | instskip(NEXT) | instid1(VALU_DEP_4)
	v_or_b32_e32 v16, v16, v17
	v_lshlrev_b16 v23, 8, v23
	s_delay_alu instid0(VALU_DEP_3) | instskip(NEXT) | instid1(VALU_DEP_2)
	v_and_b32_e32 v18, 0xffff, v18
	v_or_b32_e32 v19, v22, v23
	s_delay_alu instid0(VALU_DEP_1) | instskip(NEXT) | instid1(VALU_DEP_1)
	v_lshlrev_b32_e32 v19, 16, v19
	v_or_b32_e32 v17, v18, v19
	ds_store_b64 v0, v[16:17]
.LBB45_4:                               ;   in Loop: Header=BB45_2 Depth=1
	s_or_b32 exec_lo, exec_lo, s4
	v_mov_b32_e32 v16, 0
	s_waitcnt lgkmcnt(0)
	s_barrier
	buffer_gl0_inv
	s_and_saveexec_b32 s2, s1
	s_cbranch_execz .LBB45_1
; %bb.5:                                ;   in Loop: Header=BB45_2 Depth=1
	ds_load_u8 v16, v6
	s_branch .LBB45_1
.LBB45_6:
	v_add_co_u32 v0, s0, s6, v3
	s_delay_alu instid0(VALU_DEP_1)
	v_add_co_ci_u32_e64 v1, null, s7, 0, s0
	v_or_b32_e32 v3, v12, v13
	v_or_b32_e32 v2, v10, v11
	global_store_b64 v[0:1], v[2:3], off
	s_nop 0
	s_sendmsg sendmsg(MSG_DEALLOC_VGPRS)
	s_endpgm
	.section	.rodata,"a",@progbits
	.p2align	6, 0x0
	.amdhsa_kernel _Z6kernelI14inclusive_scanILN6hipcub18BlockScanAlgorithmE1EEhLj256ELj8ELj100EEvPKT0_PS4_S4_
		.amdhsa_group_segment_fixed_size 264
		.amdhsa_private_segment_fixed_size 0
		.amdhsa_kernarg_size 280
		.amdhsa_user_sgpr_count 15
		.amdhsa_user_sgpr_dispatch_ptr 0
		.amdhsa_user_sgpr_queue_ptr 0
		.amdhsa_user_sgpr_kernarg_segment_ptr 1
		.amdhsa_user_sgpr_dispatch_id 0
		.amdhsa_user_sgpr_private_segment_size 0
		.amdhsa_wavefront_size32 1
		.amdhsa_uses_dynamic_stack 0
		.amdhsa_enable_private_segment 0
		.amdhsa_system_sgpr_workgroup_id_x 1
		.amdhsa_system_sgpr_workgroup_id_y 0
		.amdhsa_system_sgpr_workgroup_id_z 0
		.amdhsa_system_sgpr_workgroup_info 0
		.amdhsa_system_vgpr_workitem_id 0
		.amdhsa_next_free_vgpr 28
		.amdhsa_next_free_sgpr 16
		.amdhsa_reserve_vcc 1
		.amdhsa_float_round_mode_32 0
		.amdhsa_float_round_mode_16_64 0
		.amdhsa_float_denorm_mode_32 3
		.amdhsa_float_denorm_mode_16_64 3
		.amdhsa_dx10_clamp 1
		.amdhsa_ieee_mode 1
		.amdhsa_fp16_overflow 0
		.amdhsa_workgroup_processor_mode 1
		.amdhsa_memory_ordered 1
		.amdhsa_forward_progress 0
		.amdhsa_shared_vgpr_count 0
		.amdhsa_exception_fp_ieee_invalid_op 0
		.amdhsa_exception_fp_denorm_src 0
		.amdhsa_exception_fp_ieee_div_zero 0
		.amdhsa_exception_fp_ieee_overflow 0
		.amdhsa_exception_fp_ieee_underflow 0
		.amdhsa_exception_fp_ieee_inexact 0
		.amdhsa_exception_int_div_zero 0
	.end_amdhsa_kernel
	.section	.text._Z6kernelI14inclusive_scanILN6hipcub18BlockScanAlgorithmE1EEhLj256ELj8ELj100EEvPKT0_PS4_S4_,"axG",@progbits,_Z6kernelI14inclusive_scanILN6hipcub18BlockScanAlgorithmE1EEhLj256ELj8ELj100EEvPKT0_PS4_S4_,comdat
.Lfunc_end45:
	.size	_Z6kernelI14inclusive_scanILN6hipcub18BlockScanAlgorithmE1EEhLj256ELj8ELj100EEvPKT0_PS4_S4_, .Lfunc_end45-_Z6kernelI14inclusive_scanILN6hipcub18BlockScanAlgorithmE1EEhLj256ELj8ELj100EEvPKT0_PS4_S4_
                                        ; -- End function
	.section	.AMDGPU.csdata,"",@progbits
; Kernel info:
; codeLenInByte = 1212
; NumSgprs: 18
; NumVgprs: 28
; ScratchSize: 0
; MemoryBound: 0
; FloatMode: 240
; IeeeMode: 1
; LDSByteSize: 264 bytes/workgroup (compile time only)
; SGPRBlocks: 2
; VGPRBlocks: 3
; NumSGPRsForWavesPerEU: 18
; NumVGPRsForWavesPerEU: 28
; Occupancy: 16
; WaveLimiterHint : 0
; COMPUTE_PGM_RSRC2:SCRATCH_EN: 0
; COMPUTE_PGM_RSRC2:USER_SGPR: 15
; COMPUTE_PGM_RSRC2:TRAP_HANDLER: 0
; COMPUTE_PGM_RSRC2:TGID_X_EN: 1
; COMPUTE_PGM_RSRC2:TGID_Y_EN: 0
; COMPUTE_PGM_RSRC2:TGID_Z_EN: 0
; COMPUTE_PGM_RSRC2:TIDIG_COMP_CNT: 0
	.section	.text._Z6kernelI14inclusive_scanILN6hipcub18BlockScanAlgorithmE1EEhLj256ELj11ELj100EEvPKT0_PS4_S4_,"axG",@progbits,_Z6kernelI14inclusive_scanILN6hipcub18BlockScanAlgorithmE1EEhLj256ELj11ELj100EEvPKT0_PS4_S4_,comdat
	.protected	_Z6kernelI14inclusive_scanILN6hipcub18BlockScanAlgorithmE1EEhLj256ELj11ELj100EEvPKT0_PS4_S4_ ; -- Begin function _Z6kernelI14inclusive_scanILN6hipcub18BlockScanAlgorithmE1EEhLj256ELj11ELj100EEvPKT0_PS4_S4_
	.globl	_Z6kernelI14inclusive_scanILN6hipcub18BlockScanAlgorithmE1EEhLj256ELj11ELj100EEvPKT0_PS4_S4_
	.p2align	8
	.type	_Z6kernelI14inclusive_scanILN6hipcub18BlockScanAlgorithmE1EEhLj256ELj11ELj100EEvPKT0_PS4_S4_,@function
_Z6kernelI14inclusive_scanILN6hipcub18BlockScanAlgorithmE1EEhLj256ELj11ELj100EEvPKT0_PS4_S4_: ; @_Z6kernelI14inclusive_scanILN6hipcub18BlockScanAlgorithmE1EEhLj256ELj11ELj100EEvPKT0_PS4_S4_
; %bb.0:
	s_clause 0x1
	s_load_b32 s2, s[0:1], 0x24
	s_load_b128 s[4:7], s[0:1], 0x0
	v_add_nc_u32_e32 v27, -1, v0
	v_mbcnt_lo_u32_b32 v15, -1, 0
	v_lshrrev_b32_e32 v25, 5, v0
	v_lshrrev_b32_e32 v26, 2, v0
	v_cmp_gt_u32_e32 vcc_lo, 32, v0
	v_cmp_eq_u32_e64 s0, 0, v0
	v_cmp_ne_u32_e64 s1, 0, v0
	v_and_b32_e32 v16, 15, v15
	s_movk_i32 s3, 0x64
	s_waitcnt lgkmcnt(0)
	s_and_b32 s2, s2, 0xffff
	s_delay_alu instid0(SALU_CYCLE_1) | instskip(NEXT) | instid1(VALU_DEP_1)
	v_mad_u64_u32 v[1:2], null, s15, s2, v[0:1]
	v_mul_lo_u32 v14, v1, 11
	s_delay_alu instid0(VALU_DEP_1)
	v_add_nc_u32_e32 v13, 1, v14
	v_add_nc_u32_e32 v11, 3, v14
	;; [unrolled: 1-line block ×7, first 2 shown]
	s_clause 0x7
	global_load_u8 v17, v13, s[4:5]
	global_load_u8 v18, v11, s[4:5]
	global_load_u8 v19, v7, s[4:5]
	global_load_u8 v20, v4, s[4:5]
	global_load_u8 v21, v14, s[4:5]
	global_load_u8 v22, v12, s[4:5]
	global_load_u8 v23, v10, s[4:5]
	global_load_u8 v24, v9, s[4:5]
	v_add_nc_u32_e32 v8, 8, v14
	v_add_nc_u32_e32 v6, 9, v14
	;; [unrolled: 1-line block ×3, first 2 shown]
	s_clause 0x2
	global_load_u8 v2, v8, s[4:5]
	global_load_u8 v3, v6, s[4:5]
	;; [unrolled: 1-line block ×3, first 2 shown]
	s_waitcnt vmcnt(10)
	v_lshlrev_b16 v28, 8, v17
	s_waitcnt vmcnt(9)
	v_lshlrev_b16 v18, 8, v18
	;; [unrolled: 2-line block ×4, first 2 shown]
	v_and_b32_e32 v17, 16, v15
	s_waitcnt vmcnt(6)
	v_or_b32_e32 v21, v21, v28
	s_waitcnt vmcnt(5)
	v_or_b32_e32 v18, v22, v18
	;; [unrolled: 2-line block ×4, first 2 shown]
	v_lshrrev_b32_e32 v22, 5, v27
	v_and_b32_e32 v21, 0xffff, v21
	v_lshlrev_b32_e32 v23, 16, v18
	v_and_b32_e32 v24, 0xffff, v19
	v_lshlrev_b32_e32 v20, 16, v20
	v_add_nc_u32_e32 v18, v25, v0
	v_lshl_add_u32 v0, v0, 3, v26
	v_add_nc_u32_e32 v19, v22, v27
	v_or_b32_e32 v22, v21, v23
	v_or_b32_e32 v21, v24, v20
	v_add_nc_u32_e32 v20, -1, v15
	s_branch .LBB46_2
.LBB46_1:                               ;   in Loop: Header=BB46_2 Depth=1
	s_or_b32 exec_lo, exec_lo, s2
	s_waitcnt lgkmcnt(0)
	v_add_nc_u16 v29, v29, v22
	s_add_i32 s3, s3, -1
	s_delay_alu instid0(SALU_CYCLE_1) | instskip(NEXT) | instid1(VALU_DEP_1)
	s_cmp_lg_u32 s3, 0
	v_add_nc_u16 v25, v29, v25
	s_delay_alu instid0(VALU_DEP_1) | instskip(SKIP_1) | instid1(VALU_DEP_2)
	v_add_nc_u16 v24, v25, v24
	v_lshlrev_b16 v22, 8, v25
	v_add_nc_u16 v26, v24, v26
	v_and_b32_e32 v31, 0xff, v24
	s_delay_alu instid0(VALU_DEP_2) | instskip(SKIP_2) | instid1(VALU_DEP_3)
	v_add_nc_u16 v30, v26, v21
	v_and_b32_e32 v21, 0xff, v29
	v_lshlrev_b16 v32, 8, v26
	v_add_nc_u16 v27, v30, v27
	v_and_b32_e32 v33, 0xff, v30
	s_delay_alu instid0(VALU_DEP_4) | instskip(NEXT) | instid1(VALU_DEP_4)
	v_or_b32_e32 v21, v21, v22
	v_or_b32_e32 v22, v31, v32
	s_delay_alu instid0(VALU_DEP_4) | instskip(SKIP_1) | instid1(VALU_DEP_4)
	v_add_nc_u16 v28, v27, v28
	v_lshlrev_b16 v34, 8, v27
	v_and_b32_e32 v21, 0xffff, v21
	s_delay_alu instid0(VALU_DEP_4) | instskip(NEXT) | instid1(VALU_DEP_4)
	v_lshlrev_b32_e32 v22, 16, v22
	v_add_nc_u16 v23, v28, v23
	v_and_b32_e32 v35, 0xff, v28
	v_or_b32_e32 v31, v33, v34
	s_delay_alu instid0(VALU_DEP_4) | instskip(NEXT) | instid1(VALU_DEP_4)
	v_or_b32_e32 v22, v21, v22
	v_lshlrev_b16 v36, 8, v23
	v_add_nc_u16 v2, v23, v2
	s_delay_alu instid0(VALU_DEP_4) | instskip(NEXT) | instid1(VALU_DEP_3)
	v_and_b32_e32 v31, 0xffff, v31
	v_or_b32_e32 v32, v35, v36
	s_delay_alu instid0(VALU_DEP_3) | instskip(NEXT) | instid1(VALU_DEP_2)
	v_add_nc_u16 v3, v2, v3
	v_lshlrev_b32_e32 v32, 16, v32
	s_delay_alu instid0(VALU_DEP_2) | instskip(NEXT) | instid1(VALU_DEP_2)
	v_add_nc_u16 v1, v3, v1
	v_or_b32_e32 v21, v31, v32
	s_cbranch_scc0 .LBB46_6
.LBB46_2:                               ; =>This Inner Loop Header: Depth=1
	s_delay_alu instid0(VALU_DEP_3)
	v_lshrrev_b32_e32 v25, 8, v22
	v_lshrrev_b32_e32 v24, 16, v22
	;; [unrolled: 1-line block ×5, first 2 shown]
	v_add_nc_u16 v23, v25, v22
	s_delay_alu instid0(VALU_DEP_1) | instskip(NEXT) | instid1(VALU_DEP_1)
	v_add_nc_u16 v23, v23, v24
	v_add_nc_u16 v23, v23, v26
	s_delay_alu instid0(VALU_DEP_1) | instskip(NEXT) | instid1(VALU_DEP_1)
	v_add_nc_u16 v23, v23, v21
	v_add_nc_u16 v29, v23, v27
	v_lshrrev_b32_e32 v23, 24, v21
	s_delay_alu instid0(VALU_DEP_2) | instskip(NEXT) | instid1(VALU_DEP_1)
	v_add_nc_u16 v29, v29, v28
	v_add_nc_u16 v29, v29, v23
	s_waitcnt vmcnt(2)
	s_delay_alu instid0(VALU_DEP_1) | instskip(SKIP_1) | instid1(VALU_DEP_1)
	v_add_nc_u16 v29, v29, v2
	s_waitcnt vmcnt(1)
	v_add_nc_u16 v29, v29, v3
	s_waitcnt vmcnt(0)
	s_delay_alu instid0(VALU_DEP_1)
	v_add_nc_u16 v29, v29, v1
	ds_store_b8 v18, v29
	s_waitcnt lgkmcnt(0)
	s_barrier
	buffer_gl0_inv
	s_and_saveexec_b32 s4, vcc_lo
	s_cbranch_execz .LBB46_4
; %bb.3:                                ;   in Loop: Header=BB46_2 Depth=1
	ds_load_b64 v[30:31], v0
	v_cmp_ne_u32_e64 s2, 0, v16
	s_waitcnt lgkmcnt(0)
	v_lshrrev_b32_e32 v32, 8, v30
	v_lshrrev_b32_e32 v33, 16, v30
	;; [unrolled: 1-line block ×5, first 2 shown]
	v_add_nc_u16 v34, v32, v30
	v_lshrrev_b32_e32 v38, 24, v31
	s_delay_alu instid0(VALU_DEP_2) | instskip(NEXT) | instid1(VALU_DEP_1)
	v_add_nc_u16 v34, v34, v33
	v_add_nc_u16 v34, v34, v35
	s_delay_alu instid0(VALU_DEP_1) | instskip(NEXT) | instid1(VALU_DEP_1)
	v_add_nc_u16 v34, v34, v31
	v_add_nc_u16 v34, v34, v36
	s_delay_alu instid0(VALU_DEP_1) | instskip(NEXT) | instid1(VALU_DEP_1)
	;; [unrolled: 3-line block ×3, first 2 shown]
	v_and_b32_e32 v39, 0xff, v34
	v_mov_b32_dpp v39, v39 row_shr:1 row_mask:0xf bank_mask:0xf
	s_delay_alu instid0(VALU_DEP_1) | instskip(SKIP_1) | instid1(VALU_DEP_2)
	v_cndmask_b32_e64 v39, 0, v39, s2
	v_cmp_lt_u32_e64 s2, 1, v16
	v_add_nc_u16 v34, v39, v34
	s_delay_alu instid0(VALU_DEP_1) | instskip(NEXT) | instid1(VALU_DEP_1)
	v_and_b32_e32 v39, 0xff, v34
	v_mov_b32_dpp v39, v39 row_shr:2 row_mask:0xf bank_mask:0xf
	s_delay_alu instid0(VALU_DEP_1) | instskip(SKIP_1) | instid1(VALU_DEP_2)
	v_cndmask_b32_e64 v39, 0, v39, s2
	v_cmp_lt_u32_e64 s2, 3, v16
	v_add_nc_u16 v34, v34, v39
	s_delay_alu instid0(VALU_DEP_1) | instskip(NEXT) | instid1(VALU_DEP_1)
	;; [unrolled: 7-line block ×3, first 2 shown]
	v_and_b32_e32 v39, 0xff, v34
	v_mov_b32_dpp v39, v39 row_shr:8 row_mask:0xf bank_mask:0xf
	s_delay_alu instid0(VALU_DEP_1) | instskip(SKIP_1) | instid1(VALU_DEP_2)
	v_cndmask_b32_e64 v39, 0, v39, s2
	v_cmp_ne_u32_e64 s2, 0, v17
	v_add_nc_u16 v34, v34, v39
	s_delay_alu instid0(VALU_DEP_1) | instskip(SKIP_4) | instid1(VALU_DEP_2)
	v_and_b32_e32 v39, 0xff, v34
	ds_swizzle_b32 v39, v39 offset:swizzle(BROADCAST,32,15)
	s_waitcnt lgkmcnt(0)
	v_cndmask_b32_e64 v39, 0, v39, s2
	v_cmp_gt_i32_e64 s2, 0, v20
	v_add_nc_u16 v34, v34, v39
	s_delay_alu instid0(VALU_DEP_2) | instskip(NEXT) | instid1(VALU_DEP_2)
	v_cndmask_b32_e64 v40, v20, v15, s2
	v_and_b32_e32 v34, 0xff, v34
	s_delay_alu instid0(VALU_DEP_2) | instskip(SKIP_3) | instid1(VALU_DEP_1)
	v_lshlrev_b32_e32 v39, 2, v40
	ds_bpermute_b32 v34, v39, v34
	s_waitcnt lgkmcnt(0)
	v_add_nc_u16 v30, v30, v34
	v_cndmask_b32_e64 v29, v30, v29, s0
	s_delay_alu instid0(VALU_DEP_1) | instskip(SKIP_1) | instid1(VALU_DEP_2)
	v_add_nc_u16 v30, v29, v32
	v_and_b32_e32 v29, 0xff, v29
	v_add_nc_u16 v32, v30, v33
	v_lshlrev_b16 v30, 8, v30
	s_delay_alu instid0(VALU_DEP_2) | instskip(SKIP_1) | instid1(VALU_DEP_3)
	v_add_nc_u16 v33, v32, v35
	v_and_b32_e32 v32, 0xff, v32
	v_or_b32_e32 v29, v29, v30
	s_delay_alu instid0(VALU_DEP_3) | instskip(SKIP_1) | instid1(VALU_DEP_3)
	v_add_nc_u16 v31, v33, v31
	v_lshlrev_b16 v33, 8, v33
	v_and_b32_e32 v29, 0xffff, v29
	s_delay_alu instid0(VALU_DEP_3) | instskip(SKIP_1) | instid1(VALU_DEP_4)
	v_add_nc_u16 v34, v31, v36
	v_and_b32_e32 v31, 0xff, v31
	v_or_b32_e32 v30, v32, v33
	s_delay_alu instid0(VALU_DEP_3) | instskip(SKIP_1) | instid1(VALU_DEP_3)
	v_add_nc_u16 v35, v34, v37
	v_lshlrev_b16 v34, 8, v34
	v_lshlrev_b32_e32 v30, 16, v30
	s_delay_alu instid0(VALU_DEP_3) | instskip(SKIP_1) | instid1(VALU_DEP_4)
	v_add_nc_u16 v36, v35, v38
	v_and_b32_e32 v35, 0xff, v35
	v_or_b32_e32 v31, v31, v34
	s_delay_alu instid0(VALU_DEP_4) | instskip(NEXT) | instid1(VALU_DEP_4)
	v_or_b32_e32 v29, v29, v30
	v_lshlrev_b16 v36, 8, v36
	s_delay_alu instid0(VALU_DEP_3) | instskip(NEXT) | instid1(VALU_DEP_2)
	v_and_b32_e32 v31, 0xffff, v31
	v_or_b32_e32 v32, v35, v36
	s_delay_alu instid0(VALU_DEP_1) | instskip(NEXT) | instid1(VALU_DEP_1)
	v_lshlrev_b32_e32 v32, 16, v32
	v_or_b32_e32 v30, v31, v32
	ds_store_b64 v0, v[29:30]
.LBB46_4:                               ;   in Loop: Header=BB46_2 Depth=1
	s_or_b32 exec_lo, exec_lo, s4
	v_mov_b32_e32 v29, 0
	s_waitcnt lgkmcnt(0)
	s_barrier
	buffer_gl0_inv
	s_and_saveexec_b32 s2, s1
	s_cbranch_execz .LBB46_1
; %bb.5:                                ;   in Loop: Header=BB46_2 Depth=1
	ds_load_u8 v29, v19
	s_branch .LBB46_1
.LBB46_6:
	v_add_co_u32 v14, s0, s6, v14
	s_delay_alu instid0(VALU_DEP_1) | instskip(SKIP_1) | instid1(VALU_DEP_1)
	v_add_co_ci_u32_e64 v15, null, s7, 0, s0
	v_add_co_u32 v16, s0, s6, v13
	v_add_co_ci_u32_e64 v17, null, s7, 0, s0
	v_add_co_u32 v12, s0, s6, v12
	s_delay_alu instid0(VALU_DEP_1) | instskip(SKIP_1) | instid1(VALU_DEP_1)
	v_add_co_ci_u32_e64 v13, null, s7, 0, s0
	v_add_co_u32 v18, s0, s6, v11
	v_add_co_ci_u32_e64 v19, null, s7, 0, s0
	;; [unrolled: 5-line block ×5, first 2 shown]
	v_add_co_u32 v4, s0, s6, v5
	s_delay_alu instid0(VALU_DEP_1)
	v_add_co_ci_u32_e64 v5, null, s7, 0, s0
	s_clause 0xa
	global_store_b8 v[14:15], v29, off
	global_store_b8 v[16:17], v25, off
	;; [unrolled: 1-line block ×11, first 2 shown]
	s_nop 0
	s_sendmsg sendmsg(MSG_DEALLOC_VGPRS)
	s_endpgm
	.section	.rodata,"a",@progbits
	.p2align	6, 0x0
	.amdhsa_kernel _Z6kernelI14inclusive_scanILN6hipcub18BlockScanAlgorithmE1EEhLj256ELj11ELj100EEvPKT0_PS4_S4_
		.amdhsa_group_segment_fixed_size 264
		.amdhsa_private_segment_fixed_size 0
		.amdhsa_kernarg_size 280
		.amdhsa_user_sgpr_count 15
		.amdhsa_user_sgpr_dispatch_ptr 0
		.amdhsa_user_sgpr_queue_ptr 0
		.amdhsa_user_sgpr_kernarg_segment_ptr 1
		.amdhsa_user_sgpr_dispatch_id 0
		.amdhsa_user_sgpr_private_segment_size 0
		.amdhsa_wavefront_size32 1
		.amdhsa_uses_dynamic_stack 0
		.amdhsa_enable_private_segment 0
		.amdhsa_system_sgpr_workgroup_id_x 1
		.amdhsa_system_sgpr_workgroup_id_y 0
		.amdhsa_system_sgpr_workgroup_id_z 0
		.amdhsa_system_sgpr_workgroup_info 0
		.amdhsa_system_vgpr_workitem_id 0
		.amdhsa_next_free_vgpr 41
		.amdhsa_next_free_sgpr 16
		.amdhsa_reserve_vcc 1
		.amdhsa_float_round_mode_32 0
		.amdhsa_float_round_mode_16_64 0
		.amdhsa_float_denorm_mode_32 3
		.amdhsa_float_denorm_mode_16_64 3
		.amdhsa_dx10_clamp 1
		.amdhsa_ieee_mode 1
		.amdhsa_fp16_overflow 0
		.amdhsa_workgroup_processor_mode 1
		.amdhsa_memory_ordered 1
		.amdhsa_forward_progress 0
		.amdhsa_shared_vgpr_count 0
		.amdhsa_exception_fp_ieee_invalid_op 0
		.amdhsa_exception_fp_denorm_src 0
		.amdhsa_exception_fp_ieee_div_zero 0
		.amdhsa_exception_fp_ieee_overflow 0
		.amdhsa_exception_fp_ieee_underflow 0
		.amdhsa_exception_fp_ieee_inexact 0
		.amdhsa_exception_int_div_zero 0
	.end_amdhsa_kernel
	.section	.text._Z6kernelI14inclusive_scanILN6hipcub18BlockScanAlgorithmE1EEhLj256ELj11ELj100EEvPKT0_PS4_S4_,"axG",@progbits,_Z6kernelI14inclusive_scanILN6hipcub18BlockScanAlgorithmE1EEhLj256ELj11ELj100EEvPKT0_PS4_S4_,comdat
.Lfunc_end46:
	.size	_Z6kernelI14inclusive_scanILN6hipcub18BlockScanAlgorithmE1EEhLj256ELj11ELj100EEvPKT0_PS4_S4_, .Lfunc_end46-_Z6kernelI14inclusive_scanILN6hipcub18BlockScanAlgorithmE1EEhLj256ELj11ELj100EEvPKT0_PS4_S4_
                                        ; -- End function
	.section	.AMDGPU.csdata,"",@progbits
; Kernel info:
; codeLenInByte = 1784
; NumSgprs: 18
; NumVgprs: 41
; ScratchSize: 0
; MemoryBound: 0
; FloatMode: 240
; IeeeMode: 1
; LDSByteSize: 264 bytes/workgroup (compile time only)
; SGPRBlocks: 2
; VGPRBlocks: 5
; NumSGPRsForWavesPerEU: 18
; NumVGPRsForWavesPerEU: 41
; Occupancy: 16
; WaveLimiterHint : 0
; COMPUTE_PGM_RSRC2:SCRATCH_EN: 0
; COMPUTE_PGM_RSRC2:USER_SGPR: 15
; COMPUTE_PGM_RSRC2:TRAP_HANDLER: 0
; COMPUTE_PGM_RSRC2:TGID_X_EN: 1
; COMPUTE_PGM_RSRC2:TGID_Y_EN: 0
; COMPUTE_PGM_RSRC2:TGID_Z_EN: 0
; COMPUTE_PGM_RSRC2:TIDIG_COMP_CNT: 0
	.section	.text._Z6kernelI14inclusive_scanILN6hipcub18BlockScanAlgorithmE1EEhLj256ELj16ELj100EEvPKT0_PS4_S4_,"axG",@progbits,_Z6kernelI14inclusive_scanILN6hipcub18BlockScanAlgorithmE1EEhLj256ELj16ELj100EEvPKT0_PS4_S4_,comdat
	.protected	_Z6kernelI14inclusive_scanILN6hipcub18BlockScanAlgorithmE1EEhLj256ELj16ELj100EEvPKT0_PS4_S4_ ; -- Begin function _Z6kernelI14inclusive_scanILN6hipcub18BlockScanAlgorithmE1EEhLj256ELj16ELj100EEvPKT0_PS4_S4_
	.globl	_Z6kernelI14inclusive_scanILN6hipcub18BlockScanAlgorithmE1EEhLj256ELj16ELj100EEvPKT0_PS4_S4_
	.p2align	8
	.type	_Z6kernelI14inclusive_scanILN6hipcub18BlockScanAlgorithmE1EEhLj256ELj16ELj100EEvPKT0_PS4_S4_,@function
_Z6kernelI14inclusive_scanILN6hipcub18BlockScanAlgorithmE1EEhLj256ELj16ELj100EEvPKT0_PS4_S4_: ; @_Z6kernelI14inclusive_scanILN6hipcub18BlockScanAlgorithmE1EEhLj256ELj16ELj100EEvPKT0_PS4_S4_
; %bb.0:
	s_clause 0x1
	s_load_b32 s2, s[0:1], 0x24
	s_load_b128 s[4:7], s[0:1], 0x0
	v_add_nc_u32_e32 v8, -1, v0
	v_lshrrev_b32_e32 v6, 5, v0
	v_lshrrev_b32_e32 v9, 2, v0
	v_mbcnt_lo_u32_b32 v7, -1, 0
	v_cmp_gt_u32_e32 vcc_lo, 32, v0
	v_lshrrev_b32_e32 v10, 5, v8
	v_add_nc_u32_e32 v6, v6, v0
	v_cmp_ne_u32_e64 s1, 0, v0
	v_add_nc_u32_e32 v11, -1, v7
	s_movk_i32 s3, 0x64
	v_add_nc_u32_e32 v8, v10, v8
	v_and_b32_e32 v10, 16, v7
	s_waitcnt lgkmcnt(0)
	s_and_b32 s0, s2, 0xffff
	s_delay_alu instid0(SALU_CYCLE_1)
	s_mul_i32 s15, s15, s0
	v_cmp_eq_u32_e64 s0, 0, v0
	v_add_lshl_u32 v5, s15, v0, 4
	v_lshl_add_u32 v0, v0, 3, v9
	v_and_b32_e32 v9, 15, v7
	global_load_b128 v[1:4], v5, s[4:5]
	s_branch .LBB47_2
.LBB47_1:                               ;   in Loop: Header=BB47_2 Depth=1
	s_or_b32 exec_lo, exec_lo, s2
	s_waitcnt lgkmcnt(0)
	v_add_nc_u16 v1, v24, v1
	s_add_i32 s3, s3, -1
	s_delay_alu instid0(SALU_CYCLE_1) | instskip(NEXT) | instid1(VALU_DEP_1)
	s_cmp_lg_u32 s3, 0
	v_add_nc_u16 v15, v1, v15
	v_and_b32_e32 v1, 0xff, v1
	s_delay_alu instid0(VALU_DEP_2) | instskip(SKIP_1) | instid1(VALU_DEP_2)
	v_add_nc_u16 v16, v15, v16
	v_lshlrev_b16 v15, 8, v15
	v_add_nc_u16 v17, v16, v17
	v_and_b32_e32 v16, 0xff, v16
	s_delay_alu instid0(VALU_DEP_3) | instskip(NEXT) | instid1(VALU_DEP_3)
	v_or_b32_e32 v1, v1, v15
	v_add_nc_u16 v2, v17, v2
	v_lshlrev_b16 v17, 8, v17
	s_delay_alu instid0(VALU_DEP_2) | instskip(SKIP_1) | instid1(VALU_DEP_3)
	v_add_nc_u16 v18, v2, v18
	v_and_b32_e32 v2, 0xff, v2
	v_or_b32_e32 v15, v16, v17
	s_delay_alu instid0(VALU_DEP_3) | instskip(SKIP_1) | instid1(VALU_DEP_3)
	v_add_nc_u16 v19, v18, v19
	v_lshlrev_b16 v18, 8, v18
	v_lshlrev_b32_e32 v15, 16, v15
	s_delay_alu instid0(VALU_DEP_3) | instskip(NEXT) | instid1(VALU_DEP_3)
	v_add_nc_u16 v21, v19, v21
	v_or_b32_e32 v2, v2, v18
	s_delay_alu instid0(VALU_DEP_2) | instskip(NEXT) | instid1(VALU_DEP_2)
	v_add_nc_u16 v3, v21, v3
	v_and_b32_e32 v16, 0xffff, v2
	s_delay_alu instid0(VALU_DEP_2) | instskip(SKIP_1) | instid1(VALU_DEP_2)
	v_add_nc_u16 v22, v3, v22
	v_and_b32_e32 v3, 0xff, v3
	v_add_nc_u16 v23, v22, v23
	v_lshlrev_b16 v18, 8, v22
	s_delay_alu instid0(VALU_DEP_2) | instskip(NEXT) | instid1(VALU_DEP_2)
	v_add_nc_u16 v20, v23, v20
	v_or_b32_e32 v3, v3, v18
	s_delay_alu instid0(VALU_DEP_2) | instskip(SKIP_1) | instid1(VALU_DEP_2)
	v_add_nc_u16 v4, v20, v4
	v_lshlrev_b16 v20, 8, v20
	v_add_nc_u16 v17, v4, v14
	v_and_b32_e32 v14, 0xffff, v1
	v_and_b32_e32 v1, 0xff, v19
	;; [unrolled: 1-line block ×4, first 2 shown]
	v_add_nc_u16 v2, v17, v13
	v_lshlrev_b16 v13, 8, v21
	v_lshlrev_b16 v17, 8, v17
	v_or_b32_e32 v18, v19, v20
	s_delay_alu instid0(VALU_DEP_4)
	v_add_nc_u16 v12, v2, v12
	v_and_b32_e32 v2, 0xff, v2
	v_or_b32_e32 v1, v1, v13
	v_or_b32_e32 v4, v4, v17
	v_and_b32_e32 v13, 0xffff, v3
	v_lshlrev_b16 v12, 8, v12
	v_lshlrev_b32_e32 v17, 16, v18
	s_delay_alu instid0(VALU_DEP_4) | instskip(NEXT) | instid1(VALU_DEP_3)
	v_and_b32_e32 v18, 0xffff, v4
	v_or_b32_e32 v2, v2, v12
	v_lshlrev_b32_e32 v12, 16, v1
	v_or_b32_e32 v1, v14, v15
	v_or_b32_e32 v3, v13, v17
	s_delay_alu instid0(VALU_DEP_4) | instskip(NEXT) | instid1(VALU_DEP_4)
	v_lshlrev_b32_e32 v19, 16, v2
	v_or_b32_e32 v2, v16, v12
	s_delay_alu instid0(VALU_DEP_2)
	v_or_b32_e32 v4, v18, v19
	s_cbranch_scc0 .LBB47_6
.LBB47_2:                               ; =>This Inner Loop Header: Depth=1
	s_waitcnt vmcnt(0)
	v_lshrrev_b32_e32 v15, 8, v1
	v_lshrrev_b32_e32 v16, 16, v1
	;; [unrolled: 1-line block ×5, first 2 shown]
	v_add_nc_u16 v12, v15, v1
	v_lshrrev_b32_e32 v21, 24, v2
	v_lshrrev_b32_e32 v22, 8, v3
	;; [unrolled: 1-line block ×4, first 2 shown]
	v_add_nc_u16 v12, v12, v16
	v_lshrrev_b32_e32 v14, 8, v4
	v_lshrrev_b32_e32 v13, 16, v4
	s_delay_alu instid0(VALU_DEP_3) | instskip(NEXT) | instid1(VALU_DEP_1)
	v_add_nc_u16 v12, v12, v17
	v_add_nc_u16 v12, v12, v2
	s_delay_alu instid0(VALU_DEP_1) | instskip(NEXT) | instid1(VALU_DEP_1)
	v_add_nc_u16 v12, v12, v18
	v_add_nc_u16 v12, v12, v19
	s_delay_alu instid0(VALU_DEP_1) | instskip(NEXT) | instid1(VALU_DEP_1)
	;; [unrolled: 3-line block ×4, first 2 shown]
	v_add_nc_u16 v12, v12, v20
	v_add_nc_u16 v12, v12, v4
	s_delay_alu instid0(VALU_DEP_1) | instskip(SKIP_1) | instid1(VALU_DEP_2)
	v_add_nc_u16 v24, v12, v14
	v_lshrrev_b32_e32 v12, 24, v4
	v_add_nc_u16 v24, v24, v13
	s_delay_alu instid0(VALU_DEP_1)
	v_add_nc_u16 v24, v24, v12
	ds_store_b8 v6, v24
	s_waitcnt lgkmcnt(0)
	s_barrier
	buffer_gl0_inv
	s_and_saveexec_b32 s4, vcc_lo
	s_cbranch_execz .LBB47_4
; %bb.3:                                ;   in Loop: Header=BB47_2 Depth=1
	ds_load_b64 v[25:26], v0
	v_cmp_ne_u32_e64 s2, 0, v9
	s_waitcnt lgkmcnt(0)
	v_lshrrev_b32_e32 v27, 8, v25
	v_lshrrev_b32_e32 v28, 16, v25
	;; [unrolled: 1-line block ×5, first 2 shown]
	v_add_nc_u16 v29, v27, v25
	v_lshrrev_b32_e32 v33, 24, v26
	s_delay_alu instid0(VALU_DEP_2) | instskip(NEXT) | instid1(VALU_DEP_1)
	v_add_nc_u16 v29, v29, v28
	v_add_nc_u16 v29, v29, v30
	s_delay_alu instid0(VALU_DEP_1) | instskip(NEXT) | instid1(VALU_DEP_1)
	v_add_nc_u16 v29, v29, v26
	v_add_nc_u16 v29, v29, v31
	s_delay_alu instid0(VALU_DEP_1) | instskip(NEXT) | instid1(VALU_DEP_1)
	;; [unrolled: 3-line block ×3, first 2 shown]
	v_and_b32_e32 v34, 0xff, v29
	v_mov_b32_dpp v34, v34 row_shr:1 row_mask:0xf bank_mask:0xf
	s_delay_alu instid0(VALU_DEP_1) | instskip(SKIP_1) | instid1(VALU_DEP_2)
	v_cndmask_b32_e64 v34, 0, v34, s2
	v_cmp_lt_u32_e64 s2, 1, v9
	v_add_nc_u16 v29, v34, v29
	s_delay_alu instid0(VALU_DEP_1) | instskip(NEXT) | instid1(VALU_DEP_1)
	v_and_b32_e32 v34, 0xff, v29
	v_mov_b32_dpp v34, v34 row_shr:2 row_mask:0xf bank_mask:0xf
	s_delay_alu instid0(VALU_DEP_1) | instskip(SKIP_1) | instid1(VALU_DEP_2)
	v_cndmask_b32_e64 v34, 0, v34, s2
	v_cmp_lt_u32_e64 s2, 3, v9
	v_add_nc_u16 v29, v29, v34
	s_delay_alu instid0(VALU_DEP_1) | instskip(NEXT) | instid1(VALU_DEP_1)
	;; [unrolled: 7-line block ×3, first 2 shown]
	v_and_b32_e32 v34, 0xff, v29
	v_mov_b32_dpp v34, v34 row_shr:8 row_mask:0xf bank_mask:0xf
	s_delay_alu instid0(VALU_DEP_1) | instskip(SKIP_1) | instid1(VALU_DEP_2)
	v_cndmask_b32_e64 v34, 0, v34, s2
	v_cmp_ne_u32_e64 s2, 0, v10
	v_add_nc_u16 v29, v29, v34
	s_delay_alu instid0(VALU_DEP_1) | instskip(SKIP_4) | instid1(VALU_DEP_2)
	v_and_b32_e32 v34, 0xff, v29
	ds_swizzle_b32 v34, v34 offset:swizzle(BROADCAST,32,15)
	s_waitcnt lgkmcnt(0)
	v_cndmask_b32_e64 v34, 0, v34, s2
	v_cmp_gt_i32_e64 s2, 0, v11
	v_add_nc_u16 v29, v29, v34
	s_delay_alu instid0(VALU_DEP_2) | instskip(NEXT) | instid1(VALU_DEP_2)
	v_cndmask_b32_e64 v35, v11, v7, s2
	v_and_b32_e32 v29, 0xff, v29
	s_delay_alu instid0(VALU_DEP_2) | instskip(SKIP_3) | instid1(VALU_DEP_1)
	v_lshlrev_b32_e32 v34, 2, v35
	ds_bpermute_b32 v29, v34, v29
	s_waitcnt lgkmcnt(0)
	v_add_nc_u16 v25, v25, v29
	v_cndmask_b32_e64 v24, v25, v24, s0
	s_delay_alu instid0(VALU_DEP_1) | instskip(SKIP_1) | instid1(VALU_DEP_2)
	v_add_nc_u16 v25, v24, v27
	v_and_b32_e32 v24, 0xff, v24
	v_add_nc_u16 v27, v25, v28
	v_lshlrev_b16 v25, 8, v25
	s_delay_alu instid0(VALU_DEP_2) | instskip(SKIP_1) | instid1(VALU_DEP_3)
	v_add_nc_u16 v28, v27, v30
	v_and_b32_e32 v27, 0xff, v27
	v_or_b32_e32 v24, v24, v25
	s_delay_alu instid0(VALU_DEP_3) | instskip(SKIP_1) | instid1(VALU_DEP_3)
	v_add_nc_u16 v26, v28, v26
	v_lshlrev_b16 v28, 8, v28
	v_and_b32_e32 v24, 0xffff, v24
	s_delay_alu instid0(VALU_DEP_3) | instskip(SKIP_1) | instid1(VALU_DEP_4)
	v_add_nc_u16 v29, v26, v31
	v_and_b32_e32 v26, 0xff, v26
	v_or_b32_e32 v25, v27, v28
	s_delay_alu instid0(VALU_DEP_3) | instskip(SKIP_1) | instid1(VALU_DEP_3)
	v_add_nc_u16 v30, v29, v32
	v_lshlrev_b16 v29, 8, v29
	v_lshlrev_b32_e32 v25, 16, v25
	s_delay_alu instid0(VALU_DEP_3) | instskip(SKIP_1) | instid1(VALU_DEP_4)
	v_add_nc_u16 v31, v30, v33
	v_and_b32_e32 v30, 0xff, v30
	v_or_b32_e32 v26, v26, v29
	s_delay_alu instid0(VALU_DEP_4) | instskip(NEXT) | instid1(VALU_DEP_4)
	v_or_b32_e32 v24, v24, v25
	v_lshlrev_b16 v31, 8, v31
	s_delay_alu instid0(VALU_DEP_3) | instskip(NEXT) | instid1(VALU_DEP_2)
	v_and_b32_e32 v26, 0xffff, v26
	v_or_b32_e32 v27, v30, v31
	s_delay_alu instid0(VALU_DEP_1) | instskip(NEXT) | instid1(VALU_DEP_1)
	v_lshlrev_b32_e32 v27, 16, v27
	v_or_b32_e32 v25, v26, v27
	ds_store_b64 v0, v[24:25]
.LBB47_4:                               ;   in Loop: Header=BB47_2 Depth=1
	s_or_b32 exec_lo, exec_lo, s4
	v_mov_b32_e32 v24, 0
	s_waitcnt lgkmcnt(0)
	s_barrier
	buffer_gl0_inv
	s_and_saveexec_b32 s2, s1
	s_cbranch_execz .LBB47_1
; %bb.5:                                ;   in Loop: Header=BB47_2 Depth=1
	ds_load_u8 v24, v8
	s_branch .LBB47_1
.LBB47_6:
	v_add_co_u32 v4, s0, s6, v5
	s_delay_alu instid0(VALU_DEP_1)
	v_add_co_ci_u32_e64 v5, null, s7, 0, s0
	v_or_b32_e32 v3, v18, v19
	v_or_b32_e32 v2, v13, v17
	;; [unrolled: 1-line block ×4, first 2 shown]
	global_store_b128 v[4:5], v[0:3], off
	s_nop 0
	s_sendmsg sendmsg(MSG_DEALLOC_VGPRS)
	s_endpgm
	.section	.rodata,"a",@progbits
	.p2align	6, 0x0
	.amdhsa_kernel _Z6kernelI14inclusive_scanILN6hipcub18BlockScanAlgorithmE1EEhLj256ELj16ELj100EEvPKT0_PS4_S4_
		.amdhsa_group_segment_fixed_size 264
		.amdhsa_private_segment_fixed_size 0
		.amdhsa_kernarg_size 280
		.amdhsa_user_sgpr_count 15
		.amdhsa_user_sgpr_dispatch_ptr 0
		.amdhsa_user_sgpr_queue_ptr 0
		.amdhsa_user_sgpr_kernarg_segment_ptr 1
		.amdhsa_user_sgpr_dispatch_id 0
		.amdhsa_user_sgpr_private_segment_size 0
		.amdhsa_wavefront_size32 1
		.amdhsa_uses_dynamic_stack 0
		.amdhsa_enable_private_segment 0
		.amdhsa_system_sgpr_workgroup_id_x 1
		.amdhsa_system_sgpr_workgroup_id_y 0
		.amdhsa_system_sgpr_workgroup_id_z 0
		.amdhsa_system_sgpr_workgroup_info 0
		.amdhsa_system_vgpr_workitem_id 0
		.amdhsa_next_free_vgpr 36
		.amdhsa_next_free_sgpr 16
		.amdhsa_reserve_vcc 1
		.amdhsa_float_round_mode_32 0
		.amdhsa_float_round_mode_16_64 0
		.amdhsa_float_denorm_mode_32 3
		.amdhsa_float_denorm_mode_16_64 3
		.amdhsa_dx10_clamp 1
		.amdhsa_ieee_mode 1
		.amdhsa_fp16_overflow 0
		.amdhsa_workgroup_processor_mode 1
		.amdhsa_memory_ordered 1
		.amdhsa_forward_progress 0
		.amdhsa_shared_vgpr_count 0
		.amdhsa_exception_fp_ieee_invalid_op 0
		.amdhsa_exception_fp_denorm_src 0
		.amdhsa_exception_fp_ieee_div_zero 0
		.amdhsa_exception_fp_ieee_overflow 0
		.amdhsa_exception_fp_ieee_underflow 0
		.amdhsa_exception_fp_ieee_inexact 0
		.amdhsa_exception_int_div_zero 0
	.end_amdhsa_kernel
	.section	.text._Z6kernelI14inclusive_scanILN6hipcub18BlockScanAlgorithmE1EEhLj256ELj16ELj100EEvPKT0_PS4_S4_,"axG",@progbits,_Z6kernelI14inclusive_scanILN6hipcub18BlockScanAlgorithmE1EEhLj256ELj16ELj100EEvPKT0_PS4_S4_,comdat
.Lfunc_end47:
	.size	_Z6kernelI14inclusive_scanILN6hipcub18BlockScanAlgorithmE1EEhLj256ELj16ELj100EEvPKT0_PS4_S4_, .Lfunc_end47-_Z6kernelI14inclusive_scanILN6hipcub18BlockScanAlgorithmE1EEhLj256ELj16ELj100EEvPKT0_PS4_S4_
                                        ; -- End function
	.section	.AMDGPU.csdata,"",@progbits
; Kernel info:
; codeLenInByte = 1516
; NumSgprs: 18
; NumVgprs: 36
; ScratchSize: 0
; MemoryBound: 0
; FloatMode: 240
; IeeeMode: 1
; LDSByteSize: 264 bytes/workgroup (compile time only)
; SGPRBlocks: 2
; VGPRBlocks: 4
; NumSGPRsForWavesPerEU: 18
; NumVGPRsForWavesPerEU: 36
; Occupancy: 16
; WaveLimiterHint : 0
; COMPUTE_PGM_RSRC2:SCRATCH_EN: 0
; COMPUTE_PGM_RSRC2:USER_SGPR: 15
; COMPUTE_PGM_RSRC2:TRAP_HANDLER: 0
; COMPUTE_PGM_RSRC2:TGID_X_EN: 1
; COMPUTE_PGM_RSRC2:TGID_Y_EN: 0
; COMPUTE_PGM_RSRC2:TGID_Z_EN: 0
; COMPUTE_PGM_RSRC2:TIDIG_COMP_CNT: 0
	.section	.text._Z6kernelI14inclusive_scanILN6hipcub18BlockScanAlgorithmE1EEN15benchmark_utils11custom_typeIffEELj256ELj1ELj100EEvPKT0_PS7_S7_,"axG",@progbits,_Z6kernelI14inclusive_scanILN6hipcub18BlockScanAlgorithmE1EEN15benchmark_utils11custom_typeIffEELj256ELj1ELj100EEvPKT0_PS7_S7_,comdat
	.protected	_Z6kernelI14inclusive_scanILN6hipcub18BlockScanAlgorithmE1EEN15benchmark_utils11custom_typeIffEELj256ELj1ELj100EEvPKT0_PS7_S7_ ; -- Begin function _Z6kernelI14inclusive_scanILN6hipcub18BlockScanAlgorithmE1EEN15benchmark_utils11custom_typeIffEELj256ELj1ELj100EEvPKT0_PS7_S7_
	.globl	_Z6kernelI14inclusive_scanILN6hipcub18BlockScanAlgorithmE1EEN15benchmark_utils11custom_typeIffEELj256ELj1ELj100EEvPKT0_PS7_S7_
	.p2align	8
	.type	_Z6kernelI14inclusive_scanILN6hipcub18BlockScanAlgorithmE1EEN15benchmark_utils11custom_typeIffEELj256ELj1ELj100EEvPKT0_PS7_S7_,@function
_Z6kernelI14inclusive_scanILN6hipcub18BlockScanAlgorithmE1EEN15benchmark_utils11custom_typeIffEELj256ELj1ELj100EEvPKT0_PS7_S7_: ; @_Z6kernelI14inclusive_scanILN6hipcub18BlockScanAlgorithmE1EEN15benchmark_utils11custom_typeIffEELj256ELj1ELj100EEvPKT0_PS7_S7_
; %bb.0:
	s_clause 0x1
	s_load_b32 s4, s[0:1], 0x24
	s_load_b128 s[0:3], s[0:1], 0x0
	v_mbcnt_lo_u32_b32 v20, -1, 0
	v_lshrrev_b32_e32 v3, 2, v0
	s_delay_alu instid0(VALU_DEP_2) | instskip(SKIP_4) | instid1(SALU_CYCLE_1)
	v_and_b32_e32 v24, 16, v20
	v_add_nc_u32_e32 v25, -1, v20
	v_and_b32_e32 v23, 15, v20
	s_waitcnt lgkmcnt(0)
	s_and_b32 s4, s4, 0xffff
	v_mad_u64_u32 v[1:2], null, s15, s4, v[0:1]
	v_mov_b32_e32 v2, 0
	s_movk_i32 s4, 0x64
	s_delay_alu instid0(VALU_DEP_1) | instskip(NEXT) | instid1(VALU_DEP_1)
	v_lshlrev_b64 v[16:17], 3, v[1:2]
	v_add_co_u32 v1, vcc_lo, s0, v16
	s_delay_alu instid0(VALU_DEP_2)
	v_add_co_ci_u32_e32 v2, vcc_lo, s1, v17, vcc_lo
	v_cmp_gt_u32_e32 vcc_lo, 32, v0
	v_cmp_eq_u32_e64 s0, 0, v0
	global_load_b64 v[18:19], v[1:2], off
	v_lshrrev_b32_e32 v1, 5, v0
	v_lshlrev_b32_e32 v2, 3, v0
	s_delay_alu instid0(VALU_DEP_2) | instskip(NEXT) | instid1(VALU_DEP_2)
	v_add_lshl_u32 v21, v1, v0, 3
	v_add_lshl_u32 v22, v3, v2, 3
	s_branch .LBB48_3
.LBB48_1:                               ;   in Loop: Header=BB48_3 Depth=1
	s_or_b32 exec_lo, exec_lo, s6
	ds_swizzle_b32 v28, v27 offset:swizzle(BROADCAST,32,15)
	ds_swizzle_b32 v29, v26 offset:swizzle(BROADCAST,32,15)
	v_cmp_gt_i32_e64 s1, 0, v25
	s_delay_alu instid0(VALU_DEP_1) | instskip(SKIP_1) | instid1(VALU_DEP_2)
	v_cndmask_b32_e64 v30, v25, v20, s1
	v_cmp_eq_u32_e64 s1, 0, v24
	v_lshlrev_b32_e32 v30, 2, v30
	s_waitcnt lgkmcnt(0)
	v_dual_add_f32 v28, v27, v28 :: v_dual_add_f32 v29, v26, v29
	s_delay_alu instid0(VALU_DEP_1) | instskip(NEXT) | instid1(VALU_DEP_2)
	v_cndmask_b32_e64 v27, v28, v27, s1
	v_cndmask_b32_e64 v26, v29, v26, s1
	ds_bpermute_b32 v27, v30, v27
	s_waitcnt lgkmcnt(0)
	v_add_f32_e32 v13, v13, v27
	ds_bpermute_b32 v26, v30, v26
	v_cndmask_b32_e64 v13, v13, v19, s0
	s_delay_alu instid0(VALU_DEP_1) | instskip(NEXT) | instid1(VALU_DEP_1)
	v_add_f32_e32 v15, v15, v13
	v_add_f32_e32 v9, v9, v15
	s_waitcnt lgkmcnt(0)
	s_delay_alu instid0(VALU_DEP_1) | instskip(NEXT) | instid1(VALU_DEP_1)
	v_dual_add_f32 v11, v11, v9 :: v_dual_add_f32 v12, v12, v26
	v_add_f32_e32 v5, v5, v11
	s_delay_alu instid0(VALU_DEP_2) | instskip(NEXT) | instid1(VALU_DEP_1)
	v_cndmask_b32_e64 v12, v12, v18, s0
	v_dual_add_f32 v7, v7, v5 :: v_dual_add_f32 v14, v14, v12
	s_delay_alu instid0(VALU_DEP_1) | instskip(NEXT) | instid1(VALU_DEP_1)
	v_dual_add_f32 v1, v1, v7 :: v_dual_add_f32 v8, v8, v14
	v_dual_add_f32 v3, v3, v1 :: v_dual_add_f32 v10, v10, v8
	s_delay_alu instid0(VALU_DEP_1) | instskip(NEXT) | instid1(VALU_DEP_1)
	v_add_f32_e32 v4, v4, v10
	v_add_f32_e32 v6, v6, v4
	s_delay_alu instid0(VALU_DEP_1) | instskip(NEXT) | instid1(VALU_DEP_1)
	v_add_f32_e32 v0, v0, v6
	v_add_f32_e32 v2, v2, v0
	ds_store_2addr_b64 v22, v[12:13], v[14:15] offset1:1
	ds_store_2addr_b64 v22, v[8:9], v[10:11] offset0:2 offset1:3
	ds_store_2addr_b64 v22, v[4:5], v[6:7] offset0:4 offset1:5
	;; [unrolled: 1-line block ×3, first 2 shown]
.LBB48_2:                               ;   in Loop: Header=BB48_3 Depth=1
	s_or_b32 exec_lo, exec_lo, s5
	s_waitcnt lgkmcnt(0)
	s_barrier
	buffer_gl0_inv
	ds_load_b64 v[18:19], v21
	s_add_i32 s4, s4, -1
	s_delay_alu instid0(SALU_CYCLE_1)
	s_cmp_lg_u32 s4, 0
	s_cbranch_scc0 .LBB48_12
.LBB48_3:                               ; =>This Inner Loop Header: Depth=1
	s_waitcnt vmcnt(0) lgkmcnt(0)
	ds_store_b64 v21, v[18:19]
	s_waitcnt lgkmcnt(0)
	s_barrier
	buffer_gl0_inv
	s_and_saveexec_b32 s5, vcc_lo
	s_cbranch_execz .LBB48_2
; %bb.4:                                ;   in Loop: Header=BB48_3 Depth=1
	ds_load_2addr_b64 v[12:15], v22 offset1:1
	ds_load_2addr_b64 v[8:11], v22 offset0:2 offset1:3
	ds_load_2addr_b64 v[4:7], v22 offset0:4 offset1:5
	;; [unrolled: 1-line block ×3, first 2 shown]
	s_mov_b32 s6, exec_lo
	s_waitcnt lgkmcnt(3)
	v_dual_add_f32 v26, v12, v14 :: v_dual_add_f32 v27, v13, v15
	s_waitcnt lgkmcnt(2)
	s_delay_alu instid0(VALU_DEP_1) | instskip(NEXT) | instid1(VALU_DEP_1)
	v_dual_add_f32 v26, v26, v8 :: v_dual_add_f32 v27, v27, v9
	v_dual_add_f32 v26, v26, v10 :: v_dual_add_f32 v27, v27, v11
	s_waitcnt lgkmcnt(1)
	s_delay_alu instid0(VALU_DEP_1) | instskip(NEXT) | instid1(VALU_DEP_1)
	v_dual_add_f32 v26, v26, v4 :: v_dual_add_f32 v27, v27, v5
	;; [unrolled: 4-line block ×3, first 2 shown]
	v_dual_add_f32 v26, v26, v2 :: v_dual_add_f32 v27, v27, v3
	s_delay_alu instid0(VALU_DEP_1) | instskip(NEXT) | instid1(VALU_DEP_2)
	v_mov_b32_dpp v28, v26 row_shr:1 row_mask:0xf bank_mask:0xf
	v_mov_b32_dpp v29, v27 row_shr:1 row_mask:0xf bank_mask:0xf
	v_cmpx_ne_u32_e32 0, v23
; %bb.5:                                ;   in Loop: Header=BB48_3 Depth=1
	s_delay_alu instid0(VALU_DEP_2)
	v_dual_add_f32 v27, v27, v29 :: v_dual_add_f32 v26, v26, v28
; %bb.6:                                ;   in Loop: Header=BB48_3 Depth=1
	s_or_b32 exec_lo, exec_lo, s6
	s_delay_alu instid0(VALU_DEP_1) | instskip(NEXT) | instid1(VALU_DEP_2)
	v_mov_b32_dpp v28, v26 row_shr:2 row_mask:0xf bank_mask:0xf
	v_mov_b32_dpp v29, v27 row_shr:2 row_mask:0xf bank_mask:0xf
	s_mov_b32 s6, exec_lo
	v_cmpx_lt_u32_e32 1, v23
; %bb.7:                                ;   in Loop: Header=BB48_3 Depth=1
	s_delay_alu instid0(VALU_DEP_2)
	v_dual_add_f32 v27, v27, v29 :: v_dual_add_f32 v26, v26, v28
; %bb.8:                                ;   in Loop: Header=BB48_3 Depth=1
	s_or_b32 exec_lo, exec_lo, s6
	s_delay_alu instid0(VALU_DEP_1) | instskip(NEXT) | instid1(VALU_DEP_2)
	v_mov_b32_dpp v28, v26 row_shr:4 row_mask:0xf bank_mask:0xf
	v_mov_b32_dpp v29, v27 row_shr:4 row_mask:0xf bank_mask:0xf
	s_mov_b32 s6, exec_lo
	v_cmpx_lt_u32_e32 3, v23
; %bb.9:                                ;   in Loop: Header=BB48_3 Depth=1
	s_delay_alu instid0(VALU_DEP_2)
	v_dual_add_f32 v27, v27, v29 :: v_dual_add_f32 v26, v26, v28
; %bb.10:                               ;   in Loop: Header=BB48_3 Depth=1
	s_or_b32 exec_lo, exec_lo, s6
	s_delay_alu instid0(VALU_DEP_1) | instskip(NEXT) | instid1(VALU_DEP_2)
	v_mov_b32_dpp v28, v26 row_shr:8 row_mask:0xf bank_mask:0xf
	v_mov_b32_dpp v29, v27 row_shr:8 row_mask:0xf bank_mask:0xf
	s_mov_b32 s6, exec_lo
	v_cmpx_lt_u32_e32 7, v23
	s_cbranch_execz .LBB48_1
; %bb.11:                               ;   in Loop: Header=BB48_3 Depth=1
	s_delay_alu instid0(VALU_DEP_2)
	v_dual_add_f32 v27, v27, v29 :: v_dual_add_f32 v26, v26, v28
	s_branch .LBB48_1
.LBB48_12:
	v_add_co_u32 v0, vcc_lo, s2, v16
	v_add_co_ci_u32_e32 v1, vcc_lo, s3, v17, vcc_lo
	s_waitcnt lgkmcnt(0)
	global_store_b64 v[0:1], v[18:19], off
	s_nop 0
	s_sendmsg sendmsg(MSG_DEALLOC_VGPRS)
	s_endpgm
	.section	.rodata,"a",@progbits
	.p2align	6, 0x0
	.amdhsa_kernel _Z6kernelI14inclusive_scanILN6hipcub18BlockScanAlgorithmE1EEN15benchmark_utils11custom_typeIffEELj256ELj1ELj100EEvPKT0_PS7_S7_
		.amdhsa_group_segment_fixed_size 2112
		.amdhsa_private_segment_fixed_size 0
		.amdhsa_kernarg_size 280
		.amdhsa_user_sgpr_count 15
		.amdhsa_user_sgpr_dispatch_ptr 0
		.amdhsa_user_sgpr_queue_ptr 0
		.amdhsa_user_sgpr_kernarg_segment_ptr 1
		.amdhsa_user_sgpr_dispatch_id 0
		.amdhsa_user_sgpr_private_segment_size 0
		.amdhsa_wavefront_size32 1
		.amdhsa_uses_dynamic_stack 0
		.amdhsa_enable_private_segment 0
		.amdhsa_system_sgpr_workgroup_id_x 1
		.amdhsa_system_sgpr_workgroup_id_y 0
		.amdhsa_system_sgpr_workgroup_id_z 0
		.amdhsa_system_sgpr_workgroup_info 0
		.amdhsa_system_vgpr_workitem_id 0
		.amdhsa_next_free_vgpr 31
		.amdhsa_next_free_sgpr 16
		.amdhsa_reserve_vcc 1
		.amdhsa_float_round_mode_32 0
		.amdhsa_float_round_mode_16_64 0
		.amdhsa_float_denorm_mode_32 3
		.amdhsa_float_denorm_mode_16_64 3
		.amdhsa_dx10_clamp 1
		.amdhsa_ieee_mode 1
		.amdhsa_fp16_overflow 0
		.amdhsa_workgroup_processor_mode 1
		.amdhsa_memory_ordered 1
		.amdhsa_forward_progress 0
		.amdhsa_shared_vgpr_count 0
		.amdhsa_exception_fp_ieee_invalid_op 0
		.amdhsa_exception_fp_denorm_src 0
		.amdhsa_exception_fp_ieee_div_zero 0
		.amdhsa_exception_fp_ieee_overflow 0
		.amdhsa_exception_fp_ieee_underflow 0
		.amdhsa_exception_fp_ieee_inexact 0
		.amdhsa_exception_int_div_zero 0
	.end_amdhsa_kernel
	.section	.text._Z6kernelI14inclusive_scanILN6hipcub18BlockScanAlgorithmE1EEN15benchmark_utils11custom_typeIffEELj256ELj1ELj100EEvPKT0_PS7_S7_,"axG",@progbits,_Z6kernelI14inclusive_scanILN6hipcub18BlockScanAlgorithmE1EEN15benchmark_utils11custom_typeIffEELj256ELj1ELj100EEvPKT0_PS7_S7_,comdat
.Lfunc_end48:
	.size	_Z6kernelI14inclusive_scanILN6hipcub18BlockScanAlgorithmE1EEN15benchmark_utils11custom_typeIffEELj256ELj1ELj100EEvPKT0_PS7_S7_, .Lfunc_end48-_Z6kernelI14inclusive_scanILN6hipcub18BlockScanAlgorithmE1EEN15benchmark_utils11custom_typeIffEELj256ELj1ELj100EEvPKT0_PS7_S7_
                                        ; -- End function
	.section	.AMDGPU.csdata,"",@progbits
; Kernel info:
; codeLenInByte = 812
; NumSgprs: 18
; NumVgprs: 31
; ScratchSize: 0
; MemoryBound: 0
; FloatMode: 240
; IeeeMode: 1
; LDSByteSize: 2112 bytes/workgroup (compile time only)
; SGPRBlocks: 2
; VGPRBlocks: 3
; NumSGPRsForWavesPerEU: 18
; NumVGPRsForWavesPerEU: 31
; Occupancy: 16
; WaveLimiterHint : 0
; COMPUTE_PGM_RSRC2:SCRATCH_EN: 0
; COMPUTE_PGM_RSRC2:USER_SGPR: 15
; COMPUTE_PGM_RSRC2:TRAP_HANDLER: 0
; COMPUTE_PGM_RSRC2:TGID_X_EN: 1
; COMPUTE_PGM_RSRC2:TGID_Y_EN: 0
; COMPUTE_PGM_RSRC2:TGID_Z_EN: 0
; COMPUTE_PGM_RSRC2:TIDIG_COMP_CNT: 0
	.section	.text._Z6kernelI14inclusive_scanILN6hipcub18BlockScanAlgorithmE1EEN15benchmark_utils11custom_typeIffEELj256ELj4ELj100EEvPKT0_PS7_S7_,"axG",@progbits,_Z6kernelI14inclusive_scanILN6hipcub18BlockScanAlgorithmE1EEN15benchmark_utils11custom_typeIffEELj256ELj4ELj100EEvPKT0_PS7_S7_,comdat
	.protected	_Z6kernelI14inclusive_scanILN6hipcub18BlockScanAlgorithmE1EEN15benchmark_utils11custom_typeIffEELj256ELj4ELj100EEvPKT0_PS7_S7_ ; -- Begin function _Z6kernelI14inclusive_scanILN6hipcub18BlockScanAlgorithmE1EEN15benchmark_utils11custom_typeIffEELj256ELj4ELj100EEvPKT0_PS7_S7_
	.globl	_Z6kernelI14inclusive_scanILN6hipcub18BlockScanAlgorithmE1EEN15benchmark_utils11custom_typeIffEELj256ELj4ELj100EEvPKT0_PS7_S7_
	.p2align	8
	.type	_Z6kernelI14inclusive_scanILN6hipcub18BlockScanAlgorithmE1EEN15benchmark_utils11custom_typeIffEELj256ELj4ELj100EEvPKT0_PS7_S7_,@function
_Z6kernelI14inclusive_scanILN6hipcub18BlockScanAlgorithmE1EEN15benchmark_utils11custom_typeIffEELj256ELj4ELj100EEvPKT0_PS7_S7_: ; @_Z6kernelI14inclusive_scanILN6hipcub18BlockScanAlgorithmE1EEN15benchmark_utils11custom_typeIffEELj256ELj4ELj100EEvPKT0_PS7_S7_
; %bb.0:
	s_clause 0x1
	s_load_b32 s2, s[0:1], 0x24
	s_load_b128 s[4:7], s[0:1], 0x0
	v_mov_b32_e32 v2, 0
	v_lshrrev_b32_e32 v9, 5, v0
	v_add_nc_u32_e32 v10, -1, v0
	v_lshrrev_b32_e32 v11, 2, v0
	v_mbcnt_lo_u32_b32 v32, -1, 0
	v_cmp_ne_u32_e64 s1, 0, v0
	v_add_lshl_u32 v31, v9, v0, 3
	v_lshlrev_b32_e32 v9, 3, v0
	v_lshrrev_b32_e32 v12, 5, v10
	v_and_b32_e32 v34, 15, v32
	v_and_b32_e32 v35, 16, v32
	v_add_nc_u32_e32 v36, -1, v32
	s_movk_i32 s3, 0x64
	v_add_lshl_u32 v33, v12, v10, 3
	s_waitcnt lgkmcnt(0)
	s_and_b32 s0, s2, 0xffff
	s_delay_alu instid0(SALU_CYCLE_1) | instskip(SKIP_2) | instid1(VALU_DEP_1)
	s_mul_i32 s15, s15, s0
	v_cmp_eq_u32_e64 s0, 0, v0
	v_add_lshl_u32 v1, s15, v0, 2
	v_lshlrev_b64 v[29:30], 3, v[1:2]
	s_delay_alu instid0(VALU_DEP_1) | instskip(NEXT) | instid1(VALU_DEP_2)
	v_add_co_u32 v5, vcc_lo, s4, v29
	v_add_co_ci_u32_e32 v6, vcc_lo, s5, v30, vcc_lo
	v_cmp_gt_u32_e32 vcc_lo, 32, v0
	v_add_lshl_u32 v0, v11, v9, 3
	s_clause 0x1
	global_load_b128 v[1:4], v[5:6], off
	global_load_b128 v[5:8], v[5:6], off offset:16
.LBB49_1:                               ; =>This Inner Loop Header: Depth=1
	s_waitcnt vmcnt(1)
	s_delay_alu instid0(VALU_DEP_1) | instskip(SKIP_1) | instid1(VALU_DEP_1)
	v_dual_add_f32 v37, v3, v1 :: v_dual_add_f32 v38, v4, v2
	s_waitcnt vmcnt(0)
	v_dual_add_f32 v9, v5, v37 :: v_dual_add_f32 v10, v6, v38
	s_delay_alu instid0(VALU_DEP_1)
	v_dual_add_f32 v11, v7, v9 :: v_dual_add_f32 v12, v8, v10
	ds_store_b64 v31, v[11:12]
	s_waitcnt lgkmcnt(0)
	s_barrier
	buffer_gl0_inv
	s_and_saveexec_b32 s4, vcc_lo
	s_cbranch_execz .LBB49_11
; %bb.2:                                ;   in Loop: Header=BB49_1 Depth=1
	ds_load_2addr_b64 v[25:28], v0 offset1:1
	ds_load_2addr_b64 v[21:24], v0 offset0:2 offset1:3
	ds_load_2addr_b64 v[17:20], v0 offset0:4 offset1:5
	ds_load_2addr_b64 v[13:16], v0 offset0:6 offset1:7
	s_mov_b32 s5, exec_lo
	s_waitcnt lgkmcnt(3)
	v_dual_add_f32 v39, v25, v27 :: v_dual_add_f32 v40, v26, v28
	s_waitcnt lgkmcnt(2)
	s_delay_alu instid0(VALU_DEP_1) | instskip(NEXT) | instid1(VALU_DEP_1)
	v_dual_add_f32 v39, v39, v21 :: v_dual_add_f32 v40, v40, v22
	v_dual_add_f32 v39, v39, v23 :: v_dual_add_f32 v40, v40, v24
	s_waitcnt lgkmcnt(1)
	s_delay_alu instid0(VALU_DEP_1) | instskip(NEXT) | instid1(VALU_DEP_1)
	v_dual_add_f32 v39, v39, v17 :: v_dual_add_f32 v40, v40, v18
	;; [unrolled: 4-line block ×3, first 2 shown]
	v_dual_add_f32 v39, v39, v15 :: v_dual_add_f32 v40, v40, v16
	s_delay_alu instid0(VALU_DEP_1) | instskip(NEXT) | instid1(VALU_DEP_2)
	v_mov_b32_dpp v41, v39 row_shr:1 row_mask:0xf bank_mask:0xf
	v_mov_b32_dpp v42, v40 row_shr:1 row_mask:0xf bank_mask:0xf
	v_cmpx_ne_u32_e32 0, v34
; %bb.3:                                ;   in Loop: Header=BB49_1 Depth=1
	s_delay_alu instid0(VALU_DEP_2)
	v_dual_add_f32 v40, v40, v42 :: v_dual_add_f32 v39, v39, v41
; %bb.4:                                ;   in Loop: Header=BB49_1 Depth=1
	s_or_b32 exec_lo, exec_lo, s5
	s_delay_alu instid0(VALU_DEP_1) | instskip(NEXT) | instid1(VALU_DEP_2)
	v_mov_b32_dpp v41, v39 row_shr:2 row_mask:0xf bank_mask:0xf
	v_mov_b32_dpp v42, v40 row_shr:2 row_mask:0xf bank_mask:0xf
	s_mov_b32 s5, exec_lo
	v_cmpx_lt_u32_e32 1, v34
; %bb.5:                                ;   in Loop: Header=BB49_1 Depth=1
	s_delay_alu instid0(VALU_DEP_2)
	v_dual_add_f32 v40, v40, v42 :: v_dual_add_f32 v39, v39, v41
; %bb.6:                                ;   in Loop: Header=BB49_1 Depth=1
	s_or_b32 exec_lo, exec_lo, s5
	s_delay_alu instid0(VALU_DEP_1) | instskip(NEXT) | instid1(VALU_DEP_2)
	v_mov_b32_dpp v41, v39 row_shr:4 row_mask:0xf bank_mask:0xf
	v_mov_b32_dpp v42, v40 row_shr:4 row_mask:0xf bank_mask:0xf
	s_mov_b32 s5, exec_lo
	v_cmpx_lt_u32_e32 3, v34
	;; [unrolled: 10-line block ×3, first 2 shown]
; %bb.9:                                ;   in Loop: Header=BB49_1 Depth=1
	s_delay_alu instid0(VALU_DEP_2)
	v_dual_add_f32 v40, v40, v42 :: v_dual_add_f32 v39, v39, v41
; %bb.10:                               ;   in Loop: Header=BB49_1 Depth=1
	s_or_b32 exec_lo, exec_lo, s5
	ds_swizzle_b32 v41, v40 offset:swizzle(BROADCAST,32,15)
	ds_swizzle_b32 v42, v39 offset:swizzle(BROADCAST,32,15)
	v_cmp_gt_i32_e64 s2, 0, v36
	s_delay_alu instid0(VALU_DEP_1) | instskip(SKIP_1) | instid1(VALU_DEP_2)
	v_cndmask_b32_e64 v43, v36, v32, s2
	v_cmp_eq_u32_e64 s2, 0, v35
	v_lshlrev_b32_e32 v43, 2, v43
	s_waitcnt lgkmcnt(0)
	v_dual_add_f32 v41, v40, v41 :: v_dual_add_f32 v42, v39, v42
	s_delay_alu instid0(VALU_DEP_1) | instskip(NEXT) | instid1(VALU_DEP_2)
	v_cndmask_b32_e64 v40, v41, v40, s2
	v_cndmask_b32_e64 v39, v42, v39, s2
	ds_bpermute_b32 v40, v43, v40
	s_waitcnt lgkmcnt(0)
	v_add_f32_e32 v26, v26, v40
	ds_bpermute_b32 v39, v43, v39
	v_cndmask_b32_e64 v26, v26, v12, s0
	s_delay_alu instid0(VALU_DEP_1) | instskip(NEXT) | instid1(VALU_DEP_1)
	v_add_f32_e32 v28, v28, v26
	v_add_f32_e32 v22, v22, v28
	s_waitcnt lgkmcnt(0)
	s_delay_alu instid0(VALU_DEP_1) | instskip(NEXT) | instid1(VALU_DEP_1)
	v_dual_add_f32 v24, v24, v22 :: v_dual_add_f32 v25, v25, v39
	v_add_f32_e32 v18, v18, v24
	s_delay_alu instid0(VALU_DEP_2) | instskip(NEXT) | instid1(VALU_DEP_1)
	v_cndmask_b32_e64 v25, v25, v11, s0
	v_dual_add_f32 v20, v20, v18 :: v_dual_add_f32 v27, v27, v25
	s_delay_alu instid0(VALU_DEP_1) | instskip(NEXT) | instid1(VALU_DEP_1)
	v_dual_add_f32 v14, v14, v20 :: v_dual_add_f32 v21, v21, v27
	v_dual_add_f32 v16, v16, v14 :: v_dual_add_f32 v23, v23, v21
	s_delay_alu instid0(VALU_DEP_1) | instskip(NEXT) | instid1(VALU_DEP_1)
	v_add_f32_e32 v17, v17, v23
	v_add_f32_e32 v19, v19, v17
	s_delay_alu instid0(VALU_DEP_1) | instskip(NEXT) | instid1(VALU_DEP_1)
	v_add_f32_e32 v13, v13, v19
	v_add_f32_e32 v15, v15, v13
	ds_store_2addr_b64 v0, v[25:26], v[27:28] offset1:1
	ds_store_2addr_b64 v0, v[21:22], v[23:24] offset0:2 offset1:3
	ds_store_2addr_b64 v0, v[17:18], v[19:20] offset0:4 offset1:5
	;; [unrolled: 1-line block ×3, first 2 shown]
.LBB49_11:                              ;   in Loop: Header=BB49_1 Depth=1
	s_or_b32 exec_lo, exec_lo, s4
	v_dual_mov_b32 v13, v11 :: v_dual_mov_b32 v14, v12
	s_waitcnt lgkmcnt(0)
	s_barrier
	buffer_gl0_inv
	s_and_saveexec_b32 s2, s1
	s_cbranch_execnz .LBB49_14
; %bb.12:                               ;   in Loop: Header=BB49_1 Depth=1
	s_or_b32 exec_lo, exec_lo, s2
	s_and_saveexec_b32 s2, s1
	s_cbranch_execnz .LBB49_15
.LBB49_13:                              ;   in Loop: Header=BB49_1 Depth=1
	s_or_b32 exec_lo, exec_lo, s2
	s_add_i32 s3, s3, -1
	s_delay_alu instid0(SALU_CYCLE_1)
	s_cmp_lg_u32 s3, 0
	s_cbranch_scc1 .LBB49_16
	s_branch .LBB49_17
.LBB49_14:                              ;   in Loop: Header=BB49_1 Depth=1
	ds_load_b64 v[13:14], v33
	s_or_b32 exec_lo, exec_lo, s2
	s_and_saveexec_b32 s2, s1
	s_cbranch_execz .LBB49_13
.LBB49_15:                              ;   in Loop: Header=BB49_1 Depth=1
	s_waitcnt lgkmcnt(0)
	v_dual_add_f32 v1, v1, v13 :: v_dual_add_f32 v2, v2, v14
	s_delay_alu instid0(VALU_DEP_1) | instskip(NEXT) | instid1(VALU_DEP_1)
	v_dual_add_f32 v37, v3, v1 :: v_dual_add_f32 v38, v4, v2
	v_dual_add_f32 v9, v5, v37 :: v_dual_add_f32 v10, v6, v38
	s_delay_alu instid0(VALU_DEP_1) | instskip(SKIP_2) | instid1(SALU_CYCLE_1)
	v_dual_add_f32 v11, v7, v9 :: v_dual_add_f32 v12, v8, v10
	s_or_b32 exec_lo, exec_lo, s2
	s_add_i32 s3, s3, -1
	s_cmp_lg_u32 s3, 0
	s_cbranch_scc0 .LBB49_17
.LBB49_16:                              ;   in Loop: Header=BB49_1 Depth=1
	v_dual_mov_b32 v8, v12 :: v_dual_mov_b32 v7, v11
	v_dual_mov_b32 v6, v10 :: v_dual_mov_b32 v5, v9
	v_dual_mov_b32 v4, v38 :: v_dual_mov_b32 v3, v37
	s_branch .LBB49_1
.LBB49_17:
	v_add_co_u32 v5, vcc_lo, s6, v29
	v_add_co_ci_u32_e32 v6, vcc_lo, s7, v30, vcc_lo
	v_dual_mov_b32 v3, v37 :: v_dual_mov_b32 v4, v38
	s_clause 0x1
	global_store_b128 v[5:6], v[1:4], off
	global_store_b128 v[5:6], v[9:12], off offset:16
	s_nop 0
	s_sendmsg sendmsg(MSG_DEALLOC_VGPRS)
	s_endpgm
	.section	.rodata,"a",@progbits
	.p2align	6, 0x0
	.amdhsa_kernel _Z6kernelI14inclusive_scanILN6hipcub18BlockScanAlgorithmE1EEN15benchmark_utils11custom_typeIffEELj256ELj4ELj100EEvPKT0_PS7_S7_
		.amdhsa_group_segment_fixed_size 2112
		.amdhsa_private_segment_fixed_size 0
		.amdhsa_kernarg_size 280
		.amdhsa_user_sgpr_count 15
		.amdhsa_user_sgpr_dispatch_ptr 0
		.amdhsa_user_sgpr_queue_ptr 0
		.amdhsa_user_sgpr_kernarg_segment_ptr 1
		.amdhsa_user_sgpr_dispatch_id 0
		.amdhsa_user_sgpr_private_segment_size 0
		.amdhsa_wavefront_size32 1
		.amdhsa_uses_dynamic_stack 0
		.amdhsa_enable_private_segment 0
		.amdhsa_system_sgpr_workgroup_id_x 1
		.amdhsa_system_sgpr_workgroup_id_y 0
		.amdhsa_system_sgpr_workgroup_id_z 0
		.amdhsa_system_sgpr_workgroup_info 0
		.amdhsa_system_vgpr_workitem_id 0
		.amdhsa_next_free_vgpr 44
		.amdhsa_next_free_sgpr 16
		.amdhsa_reserve_vcc 1
		.amdhsa_float_round_mode_32 0
		.amdhsa_float_round_mode_16_64 0
		.amdhsa_float_denorm_mode_32 3
		.amdhsa_float_denorm_mode_16_64 3
		.amdhsa_dx10_clamp 1
		.amdhsa_ieee_mode 1
		.amdhsa_fp16_overflow 0
		.amdhsa_workgroup_processor_mode 1
		.amdhsa_memory_ordered 1
		.amdhsa_forward_progress 0
		.amdhsa_shared_vgpr_count 0
		.amdhsa_exception_fp_ieee_invalid_op 0
		.amdhsa_exception_fp_denorm_src 0
		.amdhsa_exception_fp_ieee_div_zero 0
		.amdhsa_exception_fp_ieee_overflow 0
		.amdhsa_exception_fp_ieee_underflow 0
		.amdhsa_exception_fp_ieee_inexact 0
		.amdhsa_exception_int_div_zero 0
	.end_amdhsa_kernel
	.section	.text._Z6kernelI14inclusive_scanILN6hipcub18BlockScanAlgorithmE1EEN15benchmark_utils11custom_typeIffEELj256ELj4ELj100EEvPKT0_PS7_S7_,"axG",@progbits,_Z6kernelI14inclusive_scanILN6hipcub18BlockScanAlgorithmE1EEN15benchmark_utils11custom_typeIffEELj256ELj4ELj100EEvPKT0_PS7_S7_,comdat
.Lfunc_end49:
	.size	_Z6kernelI14inclusive_scanILN6hipcub18BlockScanAlgorithmE1EEN15benchmark_utils11custom_typeIffEELj256ELj4ELj100EEvPKT0_PS7_S7_, .Lfunc_end49-_Z6kernelI14inclusive_scanILN6hipcub18BlockScanAlgorithmE1EEN15benchmark_utils11custom_typeIffEELj256ELj4ELj100EEvPKT0_PS7_S7_
                                        ; -- End function
	.section	.AMDGPU.csdata,"",@progbits
; Kernel info:
; codeLenInByte = 1020
; NumSgprs: 18
; NumVgprs: 44
; ScratchSize: 0
; MemoryBound: 0
; FloatMode: 240
; IeeeMode: 1
; LDSByteSize: 2112 bytes/workgroup (compile time only)
; SGPRBlocks: 2
; VGPRBlocks: 5
; NumSGPRsForWavesPerEU: 18
; NumVGPRsForWavesPerEU: 44
; Occupancy: 16
; WaveLimiterHint : 0
; COMPUTE_PGM_RSRC2:SCRATCH_EN: 0
; COMPUTE_PGM_RSRC2:USER_SGPR: 15
; COMPUTE_PGM_RSRC2:TRAP_HANDLER: 0
; COMPUTE_PGM_RSRC2:TGID_X_EN: 1
; COMPUTE_PGM_RSRC2:TGID_Y_EN: 0
; COMPUTE_PGM_RSRC2:TGID_Z_EN: 0
; COMPUTE_PGM_RSRC2:TIDIG_COMP_CNT: 0
	.section	.text._Z6kernelI14inclusive_scanILN6hipcub18BlockScanAlgorithmE1EEN15benchmark_utils11custom_typeIffEELj256ELj8ELj100EEvPKT0_PS7_S7_,"axG",@progbits,_Z6kernelI14inclusive_scanILN6hipcub18BlockScanAlgorithmE1EEN15benchmark_utils11custom_typeIffEELj256ELj8ELj100EEvPKT0_PS7_S7_,comdat
	.protected	_Z6kernelI14inclusive_scanILN6hipcub18BlockScanAlgorithmE1EEN15benchmark_utils11custom_typeIffEELj256ELj8ELj100EEvPKT0_PS7_S7_ ; -- Begin function _Z6kernelI14inclusive_scanILN6hipcub18BlockScanAlgorithmE1EEN15benchmark_utils11custom_typeIffEELj256ELj8ELj100EEvPKT0_PS7_S7_
	.globl	_Z6kernelI14inclusive_scanILN6hipcub18BlockScanAlgorithmE1EEN15benchmark_utils11custom_typeIffEELj256ELj8ELj100EEvPKT0_PS7_S7_
	.p2align	8
	.type	_Z6kernelI14inclusive_scanILN6hipcub18BlockScanAlgorithmE1EEN15benchmark_utils11custom_typeIffEELj256ELj8ELj100EEvPKT0_PS7_S7_,@function
_Z6kernelI14inclusive_scanILN6hipcub18BlockScanAlgorithmE1EEN15benchmark_utils11custom_typeIffEELj256ELj8ELj100EEvPKT0_PS7_S7_: ; @_Z6kernelI14inclusive_scanILN6hipcub18BlockScanAlgorithmE1EEN15benchmark_utils11custom_typeIffEELj256ELj8ELj100EEvPKT0_PS7_S7_
; %bb.0:
	s_clause 0x1
	s_load_b32 s2, s[0:1], 0x24
	s_load_b128 s[4:7], s[0:1], 0x0
	v_mov_b32_e32 v2, 0
	v_lshrrev_b32_e32 v17, 5, v0
	v_add_nc_u32_e32 v18, -1, v0
	v_lshrrev_b32_e32 v19, 2, v0
	v_mbcnt_lo_u32_b32 v48, -1, 0
	v_cmp_ne_u32_e64 s1, 0, v0
	v_add_lshl_u32 v47, v17, v0, 3
	v_lshlrev_b32_e32 v17, 3, v0
	v_lshrrev_b32_e32 v20, 5, v18
	v_and_b32_e32 v50, 15, v48
	s_movk_i32 s3, 0x64
	s_delay_alu instid0(VALU_DEP_2) | instskip(SKIP_2) | instid1(SALU_CYCLE_1)
	v_add_lshl_u32 v49, v20, v18, 3
	s_waitcnt lgkmcnt(0)
	s_and_b32 s0, s2, 0xffff
	s_mul_i32 s15, s15, s0
	v_cmp_eq_u32_e64 s0, 0, v0
	v_add_lshl_u32 v1, s15, v0, 3
	s_delay_alu instid0(VALU_DEP_1) | instskip(NEXT) | instid1(VALU_DEP_1)
	v_lshlrev_b64 v[45:46], 3, v[1:2]
	v_add_co_u32 v5, vcc_lo, s4, v45
	s_delay_alu instid0(VALU_DEP_2)
	v_add_co_ci_u32_e32 v6, vcc_lo, s5, v46, vcc_lo
	v_cmp_gt_u32_e32 vcc_lo, 32, v0
	v_add_lshl_u32 v0, v19, v17, 3
	s_clause 0x3
	global_load_b128 v[1:4], v[5:6], off
	global_load_b128 v[13:16], v[5:6], off offset:16
	global_load_b128 v[9:12], v[5:6], off offset:32
	;; [unrolled: 1-line block ×3, first 2 shown]
.LBB50_1:                               ; =>This Inner Loop Header: Depth=1
	s_waitcnt vmcnt(3)
	s_delay_alu instid0(VALU_DEP_1) | instskip(SKIP_1) | instid1(VALU_DEP_1)
	v_dual_add_f32 v51, v3, v1 :: v_dual_add_f32 v52, v4, v2
	s_waitcnt vmcnt(2)
	v_dual_add_f32 v17, v13, v51 :: v_dual_add_f32 v18, v14, v52
	s_delay_alu instid0(VALU_DEP_1) | instskip(SKIP_1) | instid1(VALU_DEP_1)
	v_dual_add_f32 v19, v15, v17 :: v_dual_add_f32 v20, v16, v18
	s_waitcnt vmcnt(1)
	v_dual_add_f32 v21, v9, v19 :: v_dual_add_f32 v22, v10, v20
	;; [unrolled: 4-line block ×3, first 2 shown]
	s_delay_alu instid0(VALU_DEP_1)
	v_dual_add_f32 v27, v7, v25 :: v_dual_add_f32 v28, v8, v26
	ds_store_b64 v47, v[27:28]
	s_waitcnt lgkmcnt(0)
	s_barrier
	buffer_gl0_inv
	s_and_saveexec_b32 s4, vcc_lo
	s_cbranch_execz .LBB50_11
; %bb.2:                                ;   in Loop: Header=BB50_1 Depth=1
	ds_load_2addr_b64 v[41:44], v0 offset1:1
	ds_load_2addr_b64 v[37:40], v0 offset0:2 offset1:3
	ds_load_2addr_b64 v[33:36], v0 offset0:4 offset1:5
	ds_load_2addr_b64 v[29:32], v0 offset0:6 offset1:7
	s_mov_b32 s5, exec_lo
	s_waitcnt lgkmcnt(3)
	v_dual_add_f32 v53, v41, v43 :: v_dual_add_f32 v54, v42, v44
	s_waitcnt lgkmcnt(2)
	s_delay_alu instid0(VALU_DEP_1) | instskip(NEXT) | instid1(VALU_DEP_1)
	v_dual_add_f32 v53, v53, v37 :: v_dual_add_f32 v54, v54, v38
	v_dual_add_f32 v53, v53, v39 :: v_dual_add_f32 v54, v54, v40
	s_waitcnt lgkmcnt(1)
	s_delay_alu instid0(VALU_DEP_1) | instskip(NEXT) | instid1(VALU_DEP_1)
	v_dual_add_f32 v53, v53, v33 :: v_dual_add_f32 v54, v54, v34
	;; [unrolled: 4-line block ×3, first 2 shown]
	v_dual_add_f32 v53, v53, v31 :: v_dual_add_f32 v54, v54, v32
	s_delay_alu instid0(VALU_DEP_1) | instskip(NEXT) | instid1(VALU_DEP_2)
	v_mov_b32_dpp v55, v53 row_shr:1 row_mask:0xf bank_mask:0xf
	v_mov_b32_dpp v56, v54 row_shr:1 row_mask:0xf bank_mask:0xf
	v_cmpx_ne_u32_e32 0, v50
; %bb.3:                                ;   in Loop: Header=BB50_1 Depth=1
	s_delay_alu instid0(VALU_DEP_2)
	v_dual_add_f32 v54, v54, v56 :: v_dual_add_f32 v53, v53, v55
; %bb.4:                                ;   in Loop: Header=BB50_1 Depth=1
	s_or_b32 exec_lo, exec_lo, s5
	s_delay_alu instid0(VALU_DEP_1) | instskip(NEXT) | instid1(VALU_DEP_2)
	v_mov_b32_dpp v55, v53 row_shr:2 row_mask:0xf bank_mask:0xf
	v_mov_b32_dpp v56, v54 row_shr:2 row_mask:0xf bank_mask:0xf
	s_mov_b32 s5, exec_lo
	v_cmpx_lt_u32_e32 1, v50
; %bb.5:                                ;   in Loop: Header=BB50_1 Depth=1
	s_delay_alu instid0(VALU_DEP_2)
	v_dual_add_f32 v54, v54, v56 :: v_dual_add_f32 v53, v53, v55
; %bb.6:                                ;   in Loop: Header=BB50_1 Depth=1
	s_or_b32 exec_lo, exec_lo, s5
	s_delay_alu instid0(VALU_DEP_1) | instskip(NEXT) | instid1(VALU_DEP_2)
	v_mov_b32_dpp v55, v53 row_shr:4 row_mask:0xf bank_mask:0xf
	v_mov_b32_dpp v56, v54 row_shr:4 row_mask:0xf bank_mask:0xf
	s_mov_b32 s5, exec_lo
	v_cmpx_lt_u32_e32 3, v50
	;; [unrolled: 10-line block ×3, first 2 shown]
; %bb.9:                                ;   in Loop: Header=BB50_1 Depth=1
	s_delay_alu instid0(VALU_DEP_2)
	v_dual_add_f32 v54, v54, v56 :: v_dual_add_f32 v53, v53, v55
; %bb.10:                               ;   in Loop: Header=BB50_1 Depth=1
	s_or_b32 exec_lo, exec_lo, s5
	ds_swizzle_b32 v55, v54 offset:swizzle(BROADCAST,32,15)
	ds_swizzle_b32 v56, v53 offset:swizzle(BROADCAST,32,15)
	v_add_nc_u32_e32 v57, -1, v48
	v_and_b32_e32 v58, 16, v48
	s_delay_alu instid0(VALU_DEP_2) | instskip(NEXT) | instid1(VALU_DEP_1)
	v_cmp_gt_i32_e64 s2, 0, v57
	v_cndmask_b32_e64 v57, v57, v48, s2
	s_delay_alu instid0(VALU_DEP_1)
	v_lshlrev_b32_e32 v57, 2, v57
	s_waitcnt lgkmcnt(1)
	v_add_f32_e32 v55, v54, v55
	v_cmp_eq_u32_e64 s2, 0, v58
	s_waitcnt lgkmcnt(0)
	v_add_f32_e32 v56, v53, v56
	s_delay_alu instid0(VALU_DEP_2) | instskip(NEXT) | instid1(VALU_DEP_2)
	v_cndmask_b32_e64 v54, v55, v54, s2
	v_cndmask_b32_e64 v53, v56, v53, s2
	ds_bpermute_b32 v54, v57, v54
	ds_bpermute_b32 v53, v57, v53
	s_waitcnt lgkmcnt(1)
	v_add_f32_e32 v42, v42, v54
	s_delay_alu instid0(VALU_DEP_1) | instskip(SKIP_1) | instid1(VALU_DEP_1)
	v_cndmask_b32_e64 v42, v42, v28, s0
	s_waitcnt lgkmcnt(0)
	v_dual_add_f32 v41, v41, v53 :: v_dual_add_f32 v44, v44, v42
	s_delay_alu instid0(VALU_DEP_1) | instskip(NEXT) | instid1(VALU_DEP_1)
	v_cndmask_b32_e64 v41, v41, v27, s0
	v_dual_add_f32 v38, v38, v44 :: v_dual_add_f32 v43, v43, v41
	s_delay_alu instid0(VALU_DEP_1) | instskip(NEXT) | instid1(VALU_DEP_1)
	v_dual_add_f32 v40, v40, v38 :: v_dual_add_f32 v37, v37, v43
	v_dual_add_f32 v34, v34, v40 :: v_dual_add_f32 v39, v39, v37
	s_delay_alu instid0(VALU_DEP_1) | instskip(NEXT) | instid1(VALU_DEP_1)
	v_dual_add_f32 v36, v36, v34 :: v_dual_add_f32 v33, v33, v39
	;; [unrolled: 3-line block ×3, first 2 shown]
	v_add_f32_e32 v31, v31, v29
	ds_store_2addr_b64 v0, v[41:42], v[43:44] offset1:1
	ds_store_2addr_b64 v0, v[37:38], v[39:40] offset0:2 offset1:3
	ds_store_2addr_b64 v0, v[33:34], v[35:36] offset0:4 offset1:5
	;; [unrolled: 1-line block ×3, first 2 shown]
.LBB50_11:                              ;   in Loop: Header=BB50_1 Depth=1
	s_or_b32 exec_lo, exec_lo, s4
	v_dual_mov_b32 v29, v27 :: v_dual_mov_b32 v30, v28
	s_waitcnt lgkmcnt(0)
	s_barrier
	buffer_gl0_inv
	s_and_saveexec_b32 s2, s1
	s_cbranch_execnz .LBB50_14
; %bb.12:                               ;   in Loop: Header=BB50_1 Depth=1
	s_or_b32 exec_lo, exec_lo, s2
	s_and_saveexec_b32 s2, s1
	s_cbranch_execnz .LBB50_15
.LBB50_13:                              ;   in Loop: Header=BB50_1 Depth=1
	s_or_b32 exec_lo, exec_lo, s2
	s_add_i32 s3, s3, -1
	s_delay_alu instid0(SALU_CYCLE_1)
	s_cmp_lg_u32 s3, 0
	s_cbranch_scc1 .LBB50_16
	s_branch .LBB50_17
.LBB50_14:                              ;   in Loop: Header=BB50_1 Depth=1
	ds_load_b64 v[29:30], v49
	s_or_b32 exec_lo, exec_lo, s2
	s_and_saveexec_b32 s2, s1
	s_cbranch_execz .LBB50_13
.LBB50_15:                              ;   in Loop: Header=BB50_1 Depth=1
	s_waitcnt lgkmcnt(0)
	v_dual_add_f32 v1, v1, v29 :: v_dual_add_f32 v2, v2, v30
	s_delay_alu instid0(VALU_DEP_1) | instskip(NEXT) | instid1(VALU_DEP_1)
	v_dual_add_f32 v51, v3, v1 :: v_dual_add_f32 v52, v4, v2
	v_dual_add_f32 v17, v13, v51 :: v_dual_add_f32 v18, v14, v52
	s_delay_alu instid0(VALU_DEP_1) | instskip(NEXT) | instid1(VALU_DEP_1)
	v_dual_add_f32 v19, v15, v17 :: v_dual_add_f32 v20, v16, v18
	;; [unrolled: 3-line block ×3, first 2 shown]
	v_dual_add_f32 v25, v5, v23 :: v_dual_add_f32 v26, v6, v24
	s_delay_alu instid0(VALU_DEP_1) | instskip(SKIP_2) | instid1(SALU_CYCLE_1)
	v_dual_add_f32 v27, v7, v25 :: v_dual_add_f32 v28, v8, v26
	s_or_b32 exec_lo, exec_lo, s2
	s_add_i32 s3, s3, -1
	s_cmp_lg_u32 s3, 0
	s_cbranch_scc0 .LBB50_17
.LBB50_16:                              ;   in Loop: Header=BB50_1 Depth=1
	v_dual_mov_b32 v8, v28 :: v_dual_mov_b32 v7, v27
	v_dual_mov_b32 v6, v26 :: v_dual_mov_b32 v5, v25
	;; [unrolled: 1-line block ×7, first 2 shown]
	s_branch .LBB50_1
.LBB50_17:
	v_add_co_u32 v5, vcc_lo, s6, v45
	v_add_co_ci_u32_e32 v6, vcc_lo, s7, v46, vcc_lo
	v_dual_mov_b32 v3, v51 :: v_dual_mov_b32 v4, v52
	s_clause 0x3
	global_store_b128 v[5:6], v[1:4], off
	global_store_b128 v[5:6], v[17:20], off offset:16
	global_store_b128 v[5:6], v[21:24], off offset:32
	;; [unrolled: 1-line block ×3, first 2 shown]
	s_nop 0
	s_sendmsg sendmsg(MSG_DEALLOC_VGPRS)
	s_endpgm
	.section	.rodata,"a",@progbits
	.p2align	6, 0x0
	.amdhsa_kernel _Z6kernelI14inclusive_scanILN6hipcub18BlockScanAlgorithmE1EEN15benchmark_utils11custom_typeIffEELj256ELj8ELj100EEvPKT0_PS7_S7_
		.amdhsa_group_segment_fixed_size 2112
		.amdhsa_private_segment_fixed_size 0
		.amdhsa_kernarg_size 280
		.amdhsa_user_sgpr_count 15
		.amdhsa_user_sgpr_dispatch_ptr 0
		.amdhsa_user_sgpr_queue_ptr 0
		.amdhsa_user_sgpr_kernarg_segment_ptr 1
		.amdhsa_user_sgpr_dispatch_id 0
		.amdhsa_user_sgpr_private_segment_size 0
		.amdhsa_wavefront_size32 1
		.amdhsa_uses_dynamic_stack 0
		.amdhsa_enable_private_segment 0
		.amdhsa_system_sgpr_workgroup_id_x 1
		.amdhsa_system_sgpr_workgroup_id_y 0
		.amdhsa_system_sgpr_workgroup_id_z 0
		.amdhsa_system_sgpr_workgroup_info 0
		.amdhsa_system_vgpr_workitem_id 0
		.amdhsa_next_free_vgpr 59
		.amdhsa_next_free_sgpr 16
		.amdhsa_reserve_vcc 1
		.amdhsa_float_round_mode_32 0
		.amdhsa_float_round_mode_16_64 0
		.amdhsa_float_denorm_mode_32 3
		.amdhsa_float_denorm_mode_16_64 3
		.amdhsa_dx10_clamp 1
		.amdhsa_ieee_mode 1
		.amdhsa_fp16_overflow 0
		.amdhsa_workgroup_processor_mode 1
		.amdhsa_memory_ordered 1
		.amdhsa_forward_progress 0
		.amdhsa_shared_vgpr_count 0
		.amdhsa_exception_fp_ieee_invalid_op 0
		.amdhsa_exception_fp_denorm_src 0
		.amdhsa_exception_fp_ieee_div_zero 0
		.amdhsa_exception_fp_ieee_overflow 0
		.amdhsa_exception_fp_ieee_underflow 0
		.amdhsa_exception_fp_ieee_inexact 0
		.amdhsa_exception_int_div_zero 0
	.end_amdhsa_kernel
	.section	.text._Z6kernelI14inclusive_scanILN6hipcub18BlockScanAlgorithmE1EEN15benchmark_utils11custom_typeIffEELj256ELj8ELj100EEvPKT0_PS7_S7_,"axG",@progbits,_Z6kernelI14inclusive_scanILN6hipcub18BlockScanAlgorithmE1EEN15benchmark_utils11custom_typeIffEELj256ELj8ELj100EEvPKT0_PS7_S7_,comdat
.Lfunc_end50:
	.size	_Z6kernelI14inclusive_scanILN6hipcub18BlockScanAlgorithmE1EEN15benchmark_utils11custom_typeIffEELj256ELj8ELj100EEvPKT0_PS7_S7_, .Lfunc_end50-_Z6kernelI14inclusive_scanILN6hipcub18BlockScanAlgorithmE1EEN15benchmark_utils11custom_typeIffEELj256ELj8ELj100EEvPKT0_PS7_S7_
                                        ; -- End function
	.section	.AMDGPU.csdata,"",@progbits
; Kernel info:
; codeLenInByte = 1180
; NumSgprs: 18
; NumVgprs: 59
; ScratchSize: 0
; MemoryBound: 0
; FloatMode: 240
; IeeeMode: 1
; LDSByteSize: 2112 bytes/workgroup (compile time only)
; SGPRBlocks: 2
; VGPRBlocks: 7
; NumSGPRsForWavesPerEU: 18
; NumVGPRsForWavesPerEU: 59
; Occupancy: 16
; WaveLimiterHint : 0
; COMPUTE_PGM_RSRC2:SCRATCH_EN: 0
; COMPUTE_PGM_RSRC2:USER_SGPR: 15
; COMPUTE_PGM_RSRC2:TRAP_HANDLER: 0
; COMPUTE_PGM_RSRC2:TGID_X_EN: 1
; COMPUTE_PGM_RSRC2:TGID_Y_EN: 0
; COMPUTE_PGM_RSRC2:TGID_Z_EN: 0
; COMPUTE_PGM_RSRC2:TIDIG_COMP_CNT: 0
	.section	.text._Z6kernelI14inclusive_scanILN6hipcub18BlockScanAlgorithmE1EEN15benchmark_utils11custom_typeIddEELj256ELj1ELj100EEvPKT0_PS7_S7_,"axG",@progbits,_Z6kernelI14inclusive_scanILN6hipcub18BlockScanAlgorithmE1EEN15benchmark_utils11custom_typeIddEELj256ELj1ELj100EEvPKT0_PS7_S7_,comdat
	.protected	_Z6kernelI14inclusive_scanILN6hipcub18BlockScanAlgorithmE1EEN15benchmark_utils11custom_typeIddEELj256ELj1ELj100EEvPKT0_PS7_S7_ ; -- Begin function _Z6kernelI14inclusive_scanILN6hipcub18BlockScanAlgorithmE1EEN15benchmark_utils11custom_typeIddEELj256ELj1ELj100EEvPKT0_PS7_S7_
	.globl	_Z6kernelI14inclusive_scanILN6hipcub18BlockScanAlgorithmE1EEN15benchmark_utils11custom_typeIddEELj256ELj1ELj100EEvPKT0_PS7_S7_
	.p2align	8
	.type	_Z6kernelI14inclusive_scanILN6hipcub18BlockScanAlgorithmE1EEN15benchmark_utils11custom_typeIddEELj256ELj1ELj100EEvPKT0_PS7_S7_,@function
_Z6kernelI14inclusive_scanILN6hipcub18BlockScanAlgorithmE1EEN15benchmark_utils11custom_typeIddEELj256ELj1ELj100EEvPKT0_PS7_S7_: ; @_Z6kernelI14inclusive_scanILN6hipcub18BlockScanAlgorithmE1EEN15benchmark_utils11custom_typeIddEELj256ELj1ELj100EEvPKT0_PS7_S7_
; %bb.0:
	s_clause 0x1
	s_load_b32 s4, s[0:1], 0x2c
	s_load_b128 s[0:3], s[0:1], 0x0
	v_lshrrev_b32_e32 v5, 5, v0
	v_lshlrev_b32_e32 v6, 3, v0
	v_lshrrev_b32_e32 v7, 2, v0
	v_mbcnt_lo_u32_b32 v47, -1, 0
	s_delay_alu instid0(VALU_DEP_4) | instskip(NEXT) | instid1(VALU_DEP_3)
	v_add_lshl_u32 v48, v5, v0, 4
	v_add_lshl_u32 v49, v7, v6, 4
	s_waitcnt lgkmcnt(0)
	s_and_b32 s4, s4, 0xffff
	s_delay_alu instid0(SALU_CYCLE_1) | instskip(SKIP_2) | instid1(VALU_DEP_1)
	v_mad_u64_u32 v[1:2], null, s15, s4, v[0:1]
	v_mov_b32_e32 v2, 0
	s_movk_i32 s4, 0x64
	v_lshlrev_b64 v[37:38], 4, v[1:2]
	s_delay_alu instid0(VALU_DEP_1) | instskip(NEXT) | instid1(VALU_DEP_2)
	v_add_co_u32 v1, vcc_lo, s0, v37
	v_add_co_ci_u32_e32 v2, vcc_lo, s1, v38, vcc_lo
	v_cmp_gt_u32_e32 vcc_lo, 32, v0
	v_cmp_eq_u32_e64 s0, 0, v0
	v_and_b32_e32 v0, 15, v47
	global_load_b128 v[1:4], v[1:2], off
	s_branch .LBB51_3
.LBB51_1:                               ;   in Loop: Header=BB51_3 Depth=1
	s_or_b32 exec_lo, exec_lo, s6
	s_waitcnt lgkmcnt(3)
	v_add_nc_u32_e32 v43, -1, v47
	s_delay_alu instid0(VALU_DEP_1) | instskip(NEXT) | instid1(VALU_DEP_1)
	v_cmp_gt_i32_e64 s1, 0, v43
	v_cndmask_b32_e64 v43, v43, v47, s1
	s_delay_alu instid0(VALU_DEP_1)
	v_lshlrev_b32_e32 v43, 2, v43
	ds_bpermute_b32 v39, v43, v39
	ds_bpermute_b32 v41, v43, v41
	;; [unrolled: 1-line block ×4, first 2 shown]
	s_waitcnt lgkmcnt(1)
	v_add_f64 v[35:36], v[35:36], v[41:42]
	s_waitcnt lgkmcnt(0)
	v_add_f64 v[33:34], v[33:34], v[39:40]
	s_delay_alu instid0(VALU_DEP_2) | instskip(NEXT) | instid1(VALU_DEP_2)
	v_cndmask_b32_e64 v4, v36, v4, s0
	v_cndmask_b32_e64 v2, v34, v2, s0
	s_delay_alu instid0(VALU_DEP_3) | instskip(SKIP_1) | instid1(VALU_DEP_2)
	v_cndmask_b32_e64 v1, v33, v1, s0
	v_cndmask_b32_e64 v3, v35, v3, s0
	v_add_f64 v[5:6], v[5:6], v[1:2]
	s_delay_alu instid0(VALU_DEP_2) | instskip(NEXT) | instid1(VALU_DEP_2)
	v_add_f64 v[7:8], v[7:8], v[3:4]
	v_add_f64 v[9:10], v[9:10], v[5:6]
	s_delay_alu instid0(VALU_DEP_2) | instskip(NEXT) | instid1(VALU_DEP_2)
	v_add_f64 v[11:12], v[11:12], v[7:8]
	;; [unrolled: 3-line block ×6, first 2 shown]
	v_add_f64 v[29:30], v[29:30], v[25:26]
	s_delay_alu instid0(VALU_DEP_2)
	v_add_f64 v[31:32], v[31:32], v[27:28]
	ds_store_2addr_b64 v49, v[1:2], v[3:4] offset1:1
	ds_store_2addr_b64 v49, v[5:6], v[7:8] offset0:2 offset1:3
	ds_store_2addr_b64 v49, v[9:10], v[11:12] offset0:4 offset1:5
	;; [unrolled: 1-line block ×7, first 2 shown]
.LBB51_2:                               ;   in Loop: Header=BB51_3 Depth=1
	s_or_b32 exec_lo, exec_lo, s5
	s_waitcnt lgkmcnt(0)
	s_barrier
	buffer_gl0_inv
	ds_load_2addr_b64 v[1:4], v48 offset1:1
	s_add_i32 s4, s4, -1
	s_delay_alu instid0(SALU_CYCLE_1)
	s_cmp_lg_u32 s4, 0
	s_cbranch_scc0 .LBB51_14
.LBB51_3:                               ; =>This Inner Loop Header: Depth=1
	s_waitcnt vmcnt(0) lgkmcnt(0)
	ds_store_2addr_b64 v48, v[1:2], v[3:4] offset1:1
	s_waitcnt lgkmcnt(0)
	s_barrier
	buffer_gl0_inv
	s_and_saveexec_b32 s5, vcc_lo
	s_cbranch_execz .LBB51_2
; %bb.4:                                ;   in Loop: Header=BB51_3 Depth=1
	ds_load_2addr_b64 v[33:36], v49 offset1:1
	ds_load_2addr_b64 v[5:8], v49 offset0:2 offset1:3
	ds_load_2addr_b64 v[9:12], v49 offset0:4 offset1:5
	;; [unrolled: 1-line block ×3, first 2 shown]
	s_mov_b32 s6, exec_lo
	s_waitcnt lgkmcnt(2)
	v_add_f64 v[17:18], v[33:34], v[5:6]
	v_add_f64 v[19:20], v[35:36], v[7:8]
	s_waitcnt lgkmcnt(1)
	s_delay_alu instid0(VALU_DEP_2) | instskip(NEXT) | instid1(VALU_DEP_2)
	v_add_f64 v[17:18], v[17:18], v[9:10]
	v_add_f64 v[19:20], v[19:20], v[11:12]
	s_waitcnt lgkmcnt(0)
	s_delay_alu instid0(VALU_DEP_2) | instskip(NEXT) | instid1(VALU_DEP_2)
	v_add_f64 v[25:26], v[17:18], v[13:14]
	v_add_f64 v[27:28], v[19:20], v[15:16]
	ds_load_2addr_b64 v[17:20], v49 offset0:8 offset1:9
	ds_load_2addr_b64 v[21:24], v49 offset0:10 offset1:11
	s_waitcnt lgkmcnt(1)
	v_add_f64 v[25:26], v[25:26], v[17:18]
	v_add_f64 v[27:28], v[27:28], v[19:20]
	s_waitcnt lgkmcnt(0)
	s_delay_alu instid0(VALU_DEP_2) | instskip(NEXT) | instid1(VALU_DEP_2)
	v_add_f64 v[39:40], v[25:26], v[21:22]
	v_add_f64 v[41:42], v[27:28], v[23:24]
	ds_load_2addr_b64 v[25:28], v49 offset0:12 offset1:13
	ds_load_2addr_b64 v[29:32], v49 offset0:14 offset1:15
	s_waitcnt lgkmcnt(1)
	v_add_f64 v[39:40], v[39:40], v[25:26]
	v_add_f64 v[41:42], v[41:42], v[27:28]
	s_waitcnt lgkmcnt(0)
	s_delay_alu instid0(VALU_DEP_2) | instskip(NEXT) | instid1(VALU_DEP_2)
	v_add_f64 v[39:40], v[39:40], v[29:30]
	v_add_f64 v[41:42], v[41:42], v[31:32]
	s_delay_alu instid0(VALU_DEP_2) | instskip(NEXT) | instid1(VALU_DEP_3)
	v_mov_b32_dpp v43, v39 row_shr:1 row_mask:0xf bank_mask:0xf
	v_mov_b32_dpp v44, v40 row_shr:1 row_mask:0xf bank_mask:0xf
	s_delay_alu instid0(VALU_DEP_3) | instskip(NEXT) | instid1(VALU_DEP_4)
	v_mov_b32_dpp v45, v41 row_shr:1 row_mask:0xf bank_mask:0xf
	v_mov_b32_dpp v46, v42 row_shr:1 row_mask:0xf bank_mask:0xf
	v_cmpx_ne_u32_e32 0, v0
; %bb.5:                                ;   in Loop: Header=BB51_3 Depth=1
	s_delay_alu instid0(VALU_DEP_2)
	v_add_f64 v[41:42], v[41:42], v[45:46]
	v_add_f64 v[39:40], v[39:40], v[43:44]
; %bb.6:                                ;   in Loop: Header=BB51_3 Depth=1
	s_or_b32 exec_lo, exec_lo, s6
	s_delay_alu instid0(VALU_DEP_1) | instskip(NEXT) | instid1(VALU_DEP_2)
	v_mov_b32_dpp v43, v39 row_shr:2 row_mask:0xf bank_mask:0xf
	v_mov_b32_dpp v44, v40 row_shr:2 row_mask:0xf bank_mask:0xf
	s_delay_alu instid0(VALU_DEP_4)
	v_mov_b32_dpp v45, v41 row_shr:2 row_mask:0xf bank_mask:0xf
	v_mov_b32_dpp v46, v42 row_shr:2 row_mask:0xf bank_mask:0xf
	s_mov_b32 s6, exec_lo
	v_cmpx_lt_u32_e32 1, v0
; %bb.7:                                ;   in Loop: Header=BB51_3 Depth=1
	s_delay_alu instid0(VALU_DEP_2)
	v_add_f64 v[41:42], v[41:42], v[45:46]
	v_add_f64 v[39:40], v[39:40], v[43:44]
; %bb.8:                                ;   in Loop: Header=BB51_3 Depth=1
	s_or_b32 exec_lo, exec_lo, s6
	s_delay_alu instid0(VALU_DEP_1) | instskip(NEXT) | instid1(VALU_DEP_2)
	v_mov_b32_dpp v43, v39 row_shr:4 row_mask:0xf bank_mask:0xf
	v_mov_b32_dpp v44, v40 row_shr:4 row_mask:0xf bank_mask:0xf
	s_delay_alu instid0(VALU_DEP_4)
	v_mov_b32_dpp v45, v41 row_shr:4 row_mask:0xf bank_mask:0xf
	v_mov_b32_dpp v46, v42 row_shr:4 row_mask:0xf bank_mask:0xf
	s_mov_b32 s6, exec_lo
	v_cmpx_lt_u32_e32 3, v0
; %bb.9:                                ;   in Loop: Header=BB51_3 Depth=1
	s_delay_alu instid0(VALU_DEP_2)
	v_add_f64 v[41:42], v[41:42], v[45:46]
	v_add_f64 v[39:40], v[39:40], v[43:44]
; %bb.10:                               ;   in Loop: Header=BB51_3 Depth=1
	s_or_b32 exec_lo, exec_lo, s6
	s_delay_alu instid0(VALU_DEP_1) | instskip(NEXT) | instid1(VALU_DEP_2)
	v_mov_b32_dpp v43, v39 row_shr:8 row_mask:0xf bank_mask:0xf
	v_mov_b32_dpp v44, v40 row_shr:8 row_mask:0xf bank_mask:0xf
	s_delay_alu instid0(VALU_DEP_4)
	v_mov_b32_dpp v45, v41 row_shr:8 row_mask:0xf bank_mask:0xf
	v_mov_b32_dpp v46, v42 row_shr:8 row_mask:0xf bank_mask:0xf
	s_mov_b32 s6, exec_lo
	v_cmpx_lt_u32_e32 7, v0
; %bb.11:                               ;   in Loop: Header=BB51_3 Depth=1
	s_delay_alu instid0(VALU_DEP_2)
	v_add_f64 v[41:42], v[41:42], v[45:46]
	v_add_f64 v[39:40], v[39:40], v[43:44]
; %bb.12:                               ;   in Loop: Header=BB51_3 Depth=1
	s_or_b32 exec_lo, exec_lo, s6
	ds_swizzle_b32 v43, v39 offset:swizzle(BROADCAST,32,15)
	ds_swizzle_b32 v44, v40 offset:swizzle(BROADCAST,32,15)
	;; [unrolled: 1-line block ×4, first 2 shown]
	v_and_b32_e32 v50, 16, v47
	s_mov_b32 s6, exec_lo
	s_delay_alu instid0(VALU_DEP_1)
	v_cmpx_ne_u32_e32 0, v50
	s_cbranch_execz .LBB51_1
; %bb.13:                               ;   in Loop: Header=BB51_3 Depth=1
	s_waitcnt lgkmcnt(0)
	v_add_f64 v[41:42], v[41:42], v[45:46]
	v_add_f64 v[39:40], v[39:40], v[43:44]
	s_branch .LBB51_1
.LBB51_14:
	v_add_co_u32 v5, vcc_lo, s2, v37
	v_add_co_ci_u32_e32 v6, vcc_lo, s3, v38, vcc_lo
	s_waitcnt lgkmcnt(0)
	global_store_b128 v[5:6], v[1:4], off
	s_nop 0
	s_sendmsg sendmsg(MSG_DEALLOC_VGPRS)
	s_endpgm
	.section	.rodata,"a",@progbits
	.p2align	6, 0x0
	.amdhsa_kernel _Z6kernelI14inclusive_scanILN6hipcub18BlockScanAlgorithmE1EEN15benchmark_utils11custom_typeIddEELj256ELj1ELj100EEvPKT0_PS7_S7_
		.amdhsa_group_segment_fixed_size 4224
		.amdhsa_private_segment_fixed_size 0
		.amdhsa_kernarg_size 288
		.amdhsa_user_sgpr_count 15
		.amdhsa_user_sgpr_dispatch_ptr 0
		.amdhsa_user_sgpr_queue_ptr 0
		.amdhsa_user_sgpr_kernarg_segment_ptr 1
		.amdhsa_user_sgpr_dispatch_id 0
		.amdhsa_user_sgpr_private_segment_size 0
		.amdhsa_wavefront_size32 1
		.amdhsa_uses_dynamic_stack 0
		.amdhsa_enable_private_segment 0
		.amdhsa_system_sgpr_workgroup_id_x 1
		.amdhsa_system_sgpr_workgroup_id_y 0
		.amdhsa_system_sgpr_workgroup_id_z 0
		.amdhsa_system_sgpr_workgroup_info 0
		.amdhsa_system_vgpr_workitem_id 0
		.amdhsa_next_free_vgpr 51
		.amdhsa_next_free_sgpr 16
		.amdhsa_reserve_vcc 1
		.amdhsa_float_round_mode_32 0
		.amdhsa_float_round_mode_16_64 0
		.amdhsa_float_denorm_mode_32 3
		.amdhsa_float_denorm_mode_16_64 3
		.amdhsa_dx10_clamp 1
		.amdhsa_ieee_mode 1
		.amdhsa_fp16_overflow 0
		.amdhsa_workgroup_processor_mode 1
		.amdhsa_memory_ordered 1
		.amdhsa_forward_progress 0
		.amdhsa_shared_vgpr_count 0
		.amdhsa_exception_fp_ieee_invalid_op 0
		.amdhsa_exception_fp_denorm_src 0
		.amdhsa_exception_fp_ieee_div_zero 0
		.amdhsa_exception_fp_ieee_overflow 0
		.amdhsa_exception_fp_ieee_underflow 0
		.amdhsa_exception_fp_ieee_inexact 0
		.amdhsa_exception_int_div_zero 0
	.end_amdhsa_kernel
	.section	.text._Z6kernelI14inclusive_scanILN6hipcub18BlockScanAlgorithmE1EEN15benchmark_utils11custom_typeIddEELj256ELj1ELj100EEvPKT0_PS7_S7_,"axG",@progbits,_Z6kernelI14inclusive_scanILN6hipcub18BlockScanAlgorithmE1EEN15benchmark_utils11custom_typeIddEELj256ELj1ELj100EEvPKT0_PS7_S7_,comdat
.Lfunc_end51:
	.size	_Z6kernelI14inclusive_scanILN6hipcub18BlockScanAlgorithmE1EEN15benchmark_utils11custom_typeIddEELj256ELj1ELj100EEvPKT0_PS7_S7_, .Lfunc_end51-_Z6kernelI14inclusive_scanILN6hipcub18BlockScanAlgorithmE1EEN15benchmark_utils11custom_typeIddEELj256ELj1ELj100EEvPKT0_PS7_S7_
                                        ; -- End function
	.section	.AMDGPU.csdata,"",@progbits
; Kernel info:
; codeLenInByte = 1184
; NumSgprs: 18
; NumVgprs: 51
; ScratchSize: 0
; MemoryBound: 0
; FloatMode: 240
; IeeeMode: 1
; LDSByteSize: 4224 bytes/workgroup (compile time only)
; SGPRBlocks: 2
; VGPRBlocks: 6
; NumSGPRsForWavesPerEU: 18
; NumVGPRsForWavesPerEU: 51
; Occupancy: 16
; WaveLimiterHint : 0
; COMPUTE_PGM_RSRC2:SCRATCH_EN: 0
; COMPUTE_PGM_RSRC2:USER_SGPR: 15
; COMPUTE_PGM_RSRC2:TRAP_HANDLER: 0
; COMPUTE_PGM_RSRC2:TGID_X_EN: 1
; COMPUTE_PGM_RSRC2:TGID_Y_EN: 0
; COMPUTE_PGM_RSRC2:TGID_Z_EN: 0
; COMPUTE_PGM_RSRC2:TIDIG_COMP_CNT: 0
	.section	.text._Z6kernelI14inclusive_scanILN6hipcub18BlockScanAlgorithmE1EEN15benchmark_utils11custom_typeIddEELj256ELj4ELj100EEvPKT0_PS7_S7_,"axG",@progbits,_Z6kernelI14inclusive_scanILN6hipcub18BlockScanAlgorithmE1EEN15benchmark_utils11custom_typeIddEELj256ELj4ELj100EEvPKT0_PS7_S7_,comdat
	.protected	_Z6kernelI14inclusive_scanILN6hipcub18BlockScanAlgorithmE1EEN15benchmark_utils11custom_typeIddEELj256ELj4ELj100EEvPKT0_PS7_S7_ ; -- Begin function _Z6kernelI14inclusive_scanILN6hipcub18BlockScanAlgorithmE1EEN15benchmark_utils11custom_typeIddEELj256ELj4ELj100EEvPKT0_PS7_S7_
	.globl	_Z6kernelI14inclusive_scanILN6hipcub18BlockScanAlgorithmE1EEN15benchmark_utils11custom_typeIddEELj256ELj4ELj100EEvPKT0_PS7_S7_
	.p2align	8
	.type	_Z6kernelI14inclusive_scanILN6hipcub18BlockScanAlgorithmE1EEN15benchmark_utils11custom_typeIddEELj256ELj4ELj100EEvPKT0_PS7_S7_,@function
_Z6kernelI14inclusive_scanILN6hipcub18BlockScanAlgorithmE1EEN15benchmark_utils11custom_typeIddEELj256ELj4ELj100EEvPKT0_PS7_S7_: ; @_Z6kernelI14inclusive_scanILN6hipcub18BlockScanAlgorithmE1EEN15benchmark_utils11custom_typeIddEELj256ELj4ELj100EEvPKT0_PS7_S7_
; %bb.0:
	s_clause 0x1
	s_load_b32 s2, s[0:1], 0x2c
	s_load_b128 s[4:7], s[0:1], 0x0
	v_mov_b32_e32 v2, 0
	v_lshrrev_b32_e32 v17, 5, v0
	v_add_nc_u32_e32 v18, -1, v0
	v_lshrrev_b32_e32 v19, 2, v0
	v_mbcnt_lo_u32_b32 v72, -1, 0
	v_cmp_ne_u32_e64 s1, 0, v0
	v_add_lshl_u32 v71, v17, v0, 4
	v_lshlrev_b32_e32 v17, 3, v0
	v_lshrrev_b32_e32 v20, 5, v18
	v_and_b32_e32 v74, 15, v72
	s_movk_i32 s3, 0x64
	s_delay_alu instid0(VALU_DEP_2) | instskip(SKIP_2) | instid1(SALU_CYCLE_1)
	v_add_lshl_u32 v73, v20, v18, 4
	s_waitcnt lgkmcnt(0)
	s_and_b32 s0, s2, 0xffff
	s_mul_i32 s15, s15, s0
	v_cmp_eq_u32_e64 s0, 0, v0
	v_add_lshl_u32 v1, s15, v0, 2
	s_delay_alu instid0(VALU_DEP_1) | instskip(NEXT) | instid1(VALU_DEP_1)
	v_lshlrev_b64 v[61:62], 4, v[1:2]
	v_add_co_u32 v1, vcc_lo, s4, v61
	s_delay_alu instid0(VALU_DEP_2)
	v_add_co_ci_u32_e32 v2, vcc_lo, s5, v62, vcc_lo
	v_cmp_gt_u32_e32 vcc_lo, 32, v0
	v_add_lshl_u32 v0, v19, v17, 4
	s_clause 0x3
	global_load_b128 v[5:8], v[1:2], off offset:48
	global_load_b128 v[9:12], v[1:2], off offset:32
	;; [unrolled: 1-line block ×3, first 2 shown]
	global_load_b128 v[1:4], v[1:2], off
.LBB52_1:                               ; =>This Inner Loop Header: Depth=1
	s_waitcnt vmcnt(0)
	s_delay_alu instid0(VALU_DEP_1) | instskip(SKIP_1) | instid1(VALU_DEP_2)
	v_add_f64 v[25:26], v[13:14], v[1:2]
	v_add_f64 v[27:28], v[15:16], v[3:4]
	;; [unrolled: 1-line block ×3, first 2 shown]
	s_delay_alu instid0(VALU_DEP_2) | instskip(NEXT) | instid1(VALU_DEP_2)
	v_add_f64 v[23:24], v[11:12], v[27:28]
	v_add_f64 v[17:18], v[5:6], v[21:22]
	s_delay_alu instid0(VALU_DEP_2)
	v_add_f64 v[19:20], v[7:8], v[23:24]
	ds_store_2addr_b64 v71, v[17:18], v[19:20] offset1:1
	s_waitcnt lgkmcnt(0)
	s_barrier
	buffer_gl0_inv
	s_and_saveexec_b32 s4, vcc_lo
	s_cbranch_execz .LBB52_13
; %bb.2:                                ;   in Loop: Header=BB52_1 Depth=1
	ds_load_2addr_b64 v[57:60], v0 offset1:1
	ds_load_2addr_b64 v[29:32], v0 offset0:2 offset1:3
	ds_load_2addr_b64 v[33:36], v0 offset0:4 offset1:5
	;; [unrolled: 1-line block ×3, first 2 shown]
	s_mov_b32 s5, exec_lo
	s_waitcnt lgkmcnt(2)
	v_add_f64 v[41:42], v[57:58], v[29:30]
	v_add_f64 v[43:44], v[59:60], v[31:32]
	s_waitcnt lgkmcnt(1)
	s_delay_alu instid0(VALU_DEP_2) | instskip(NEXT) | instid1(VALU_DEP_2)
	v_add_f64 v[41:42], v[41:42], v[33:34]
	v_add_f64 v[43:44], v[43:44], v[35:36]
	s_waitcnt lgkmcnt(0)
	s_delay_alu instid0(VALU_DEP_2) | instskip(NEXT) | instid1(VALU_DEP_2)
	v_add_f64 v[49:50], v[41:42], v[37:38]
	v_add_f64 v[51:52], v[43:44], v[39:40]
	ds_load_2addr_b64 v[41:44], v0 offset0:8 offset1:9
	ds_load_2addr_b64 v[45:48], v0 offset0:10 offset1:11
	s_waitcnt lgkmcnt(1)
	v_add_f64 v[49:50], v[49:50], v[41:42]
	v_add_f64 v[51:52], v[51:52], v[43:44]
	s_waitcnt lgkmcnt(0)
	s_delay_alu instid0(VALU_DEP_2) | instskip(NEXT) | instid1(VALU_DEP_2)
	v_add_f64 v[63:64], v[49:50], v[45:46]
	v_add_f64 v[65:66], v[51:52], v[47:48]
	ds_load_2addr_b64 v[49:52], v0 offset0:12 offset1:13
	ds_load_2addr_b64 v[53:56], v0 offset0:14 offset1:15
	s_waitcnt lgkmcnt(1)
	v_add_f64 v[63:64], v[63:64], v[49:50]
	v_add_f64 v[65:66], v[65:66], v[51:52]
	s_waitcnt lgkmcnt(0)
	s_delay_alu instid0(VALU_DEP_2) | instskip(NEXT) | instid1(VALU_DEP_2)
	v_add_f64 v[63:64], v[63:64], v[53:54]
	v_add_f64 v[65:66], v[65:66], v[55:56]
	s_delay_alu instid0(VALU_DEP_2) | instskip(NEXT) | instid1(VALU_DEP_3)
	v_mov_b32_dpp v67, v63 row_shr:1 row_mask:0xf bank_mask:0xf
	v_mov_b32_dpp v68, v64 row_shr:1 row_mask:0xf bank_mask:0xf
	s_delay_alu instid0(VALU_DEP_3) | instskip(NEXT) | instid1(VALU_DEP_4)
	v_mov_b32_dpp v69, v65 row_shr:1 row_mask:0xf bank_mask:0xf
	v_mov_b32_dpp v70, v66 row_shr:1 row_mask:0xf bank_mask:0xf
	v_cmpx_ne_u32_e32 0, v74
; %bb.3:                                ;   in Loop: Header=BB52_1 Depth=1
	s_delay_alu instid0(VALU_DEP_2)
	v_add_f64 v[65:66], v[65:66], v[69:70]
	v_add_f64 v[63:64], v[63:64], v[67:68]
; %bb.4:                                ;   in Loop: Header=BB52_1 Depth=1
	s_or_b32 exec_lo, exec_lo, s5
	s_delay_alu instid0(VALU_DEP_1) | instskip(NEXT) | instid1(VALU_DEP_2)
	v_mov_b32_dpp v67, v63 row_shr:2 row_mask:0xf bank_mask:0xf
	v_mov_b32_dpp v68, v64 row_shr:2 row_mask:0xf bank_mask:0xf
	s_delay_alu instid0(VALU_DEP_4)
	v_mov_b32_dpp v69, v65 row_shr:2 row_mask:0xf bank_mask:0xf
	v_mov_b32_dpp v70, v66 row_shr:2 row_mask:0xf bank_mask:0xf
	s_mov_b32 s5, exec_lo
	v_cmpx_lt_u32_e32 1, v74
; %bb.5:                                ;   in Loop: Header=BB52_1 Depth=1
	s_delay_alu instid0(VALU_DEP_2)
	v_add_f64 v[65:66], v[65:66], v[69:70]
	v_add_f64 v[63:64], v[63:64], v[67:68]
; %bb.6:                                ;   in Loop: Header=BB52_1 Depth=1
	s_or_b32 exec_lo, exec_lo, s5
	s_delay_alu instid0(VALU_DEP_1) | instskip(NEXT) | instid1(VALU_DEP_2)
	v_mov_b32_dpp v67, v63 row_shr:4 row_mask:0xf bank_mask:0xf
	v_mov_b32_dpp v68, v64 row_shr:4 row_mask:0xf bank_mask:0xf
	s_delay_alu instid0(VALU_DEP_4)
	v_mov_b32_dpp v69, v65 row_shr:4 row_mask:0xf bank_mask:0xf
	v_mov_b32_dpp v70, v66 row_shr:4 row_mask:0xf bank_mask:0xf
	s_mov_b32 s5, exec_lo
	v_cmpx_lt_u32_e32 3, v74
	;; [unrolled: 14-line block ×3, first 2 shown]
; %bb.9:                                ;   in Loop: Header=BB52_1 Depth=1
	s_delay_alu instid0(VALU_DEP_2)
	v_add_f64 v[65:66], v[65:66], v[69:70]
	v_add_f64 v[63:64], v[63:64], v[67:68]
; %bb.10:                               ;   in Loop: Header=BB52_1 Depth=1
	s_or_b32 exec_lo, exec_lo, s5
	ds_swizzle_b32 v67, v63 offset:swizzle(BROADCAST,32,15)
	ds_swizzle_b32 v68, v64 offset:swizzle(BROADCAST,32,15)
	;; [unrolled: 1-line block ×4, first 2 shown]
	v_and_b32_e32 v75, 16, v72
	s_mov_b32 s5, exec_lo
	s_delay_alu instid0(VALU_DEP_1)
	v_cmpx_ne_u32_e32 0, v75
	s_cbranch_execz .LBB52_12
; %bb.11:                               ;   in Loop: Header=BB52_1 Depth=1
	s_waitcnt lgkmcnt(0)
	v_add_f64 v[65:66], v[65:66], v[69:70]
	v_add_f64 v[63:64], v[63:64], v[67:68]
.LBB52_12:                              ;   in Loop: Header=BB52_1 Depth=1
	s_or_b32 exec_lo, exec_lo, s5
	s_waitcnt lgkmcnt(3)
	v_add_nc_u32_e32 v67, -1, v72
	s_delay_alu instid0(VALU_DEP_1) | instskip(NEXT) | instid1(VALU_DEP_1)
	v_cmp_gt_i32_e64 s2, 0, v67
	v_cndmask_b32_e64 v67, v67, v72, s2
	s_delay_alu instid0(VALU_DEP_1)
	v_lshlrev_b32_e32 v67, 2, v67
	ds_bpermute_b32 v63, v67, v63
	ds_bpermute_b32 v65, v67, v65
	;; [unrolled: 1-line block ×4, first 2 shown]
	s_waitcnt lgkmcnt(1)
	v_add_f64 v[59:60], v[59:60], v[65:66]
	s_waitcnt lgkmcnt(0)
	v_add_f64 v[57:58], v[57:58], v[63:64]
	s_delay_alu instid0(VALU_DEP_2) | instskip(NEXT) | instid1(VALU_DEP_2)
	v_cndmask_b32_e64 v60, v60, v20, s0
	v_cndmask_b32_e64 v58, v58, v18, s0
	s_delay_alu instid0(VALU_DEP_3) | instskip(SKIP_1) | instid1(VALU_DEP_2)
	v_cndmask_b32_e64 v57, v57, v17, s0
	v_cndmask_b32_e64 v59, v59, v19, s0
	v_add_f64 v[29:30], v[29:30], v[57:58]
	s_delay_alu instid0(VALU_DEP_2) | instskip(NEXT) | instid1(VALU_DEP_2)
	v_add_f64 v[31:32], v[31:32], v[59:60]
	v_add_f64 v[33:34], v[33:34], v[29:30]
	s_delay_alu instid0(VALU_DEP_2) | instskip(NEXT) | instid1(VALU_DEP_2)
	v_add_f64 v[35:36], v[35:36], v[31:32]
	;; [unrolled: 3-line block ×6, first 2 shown]
	v_add_f64 v[53:54], v[53:54], v[49:50]
	s_delay_alu instid0(VALU_DEP_2)
	v_add_f64 v[55:56], v[55:56], v[51:52]
	ds_store_2addr_b64 v0, v[57:58], v[59:60] offset1:1
	ds_store_2addr_b64 v0, v[29:30], v[31:32] offset0:2 offset1:3
	ds_store_2addr_b64 v0, v[33:34], v[35:36] offset0:4 offset1:5
	;; [unrolled: 1-line block ×7, first 2 shown]
.LBB52_13:                              ;   in Loop: Header=BB52_1 Depth=1
	s_or_b32 exec_lo, exec_lo, s4
	v_dual_mov_b32 v30, v18 :: v_dual_mov_b32 v29, v17
	v_dual_mov_b32 v32, v20 :: v_dual_mov_b32 v31, v19
	s_waitcnt lgkmcnt(0)
	s_barrier
	buffer_gl0_inv
	s_and_saveexec_b32 s2, s1
	s_cbranch_execnz .LBB52_16
; %bb.14:                               ;   in Loop: Header=BB52_1 Depth=1
	s_or_b32 exec_lo, exec_lo, s2
	s_and_saveexec_b32 s2, s1
	s_cbranch_execnz .LBB52_17
.LBB52_15:                              ;   in Loop: Header=BB52_1 Depth=1
	s_or_b32 exec_lo, exec_lo, s2
	s_add_i32 s3, s3, -1
	s_delay_alu instid0(SALU_CYCLE_1)
	s_cmp_lg_u32 s3, 0
	s_cbranch_scc1 .LBB52_18
	s_branch .LBB52_19
.LBB52_16:                              ;   in Loop: Header=BB52_1 Depth=1
	ds_load_2addr_b64 v[29:32], v73 offset1:1
	s_or_b32 exec_lo, exec_lo, s2
	s_and_saveexec_b32 s2, s1
	s_cbranch_execz .LBB52_15
.LBB52_17:                              ;   in Loop: Header=BB52_1 Depth=1
	s_waitcnt lgkmcnt(0)
	v_add_f64 v[1:2], v[1:2], v[29:30]
	v_add_f64 v[3:4], v[3:4], v[31:32]
	s_delay_alu instid0(VALU_DEP_2) | instskip(NEXT) | instid1(VALU_DEP_2)
	v_add_f64 v[25:26], v[13:14], v[1:2]
	v_add_f64 v[27:28], v[15:16], v[3:4]
	s_delay_alu instid0(VALU_DEP_2) | instskip(NEXT) | instid1(VALU_DEP_2)
	;; [unrolled: 3-line block ×3, first 2 shown]
	v_add_f64 v[17:18], v[5:6], v[21:22]
	v_add_f64 v[19:20], v[7:8], v[23:24]
	s_or_b32 exec_lo, exec_lo, s2
	s_add_i32 s3, s3, -1
	s_delay_alu instid0(SALU_CYCLE_1)
	s_cmp_lg_u32 s3, 0
	s_cbranch_scc0 .LBB52_19
.LBB52_18:                              ;   in Loop: Header=BB52_1 Depth=1
	s_delay_alu instid0(VALU_DEP_1) | instskip(NEXT) | instid1(VALU_DEP_3)
	v_dual_mov_b32 v7, v19 :: v_dual_mov_b32 v8, v20
	v_dual_mov_b32 v5, v17 :: v_dual_mov_b32 v6, v18
	;; [unrolled: 1-line block ×6, first 2 shown]
	s_branch .LBB52_1
.LBB52_19:
	v_add_co_u32 v5, vcc_lo, s6, v61
	v_add_co_ci_u32_e32 v6, vcc_lo, s7, v62, vcc_lo
	s_clause 0x3
	global_store_b128 v[5:6], v[1:4], off
	global_store_b128 v[5:6], v[25:28], off offset:16
	global_store_b128 v[5:6], v[21:24], off offset:32
	;; [unrolled: 1-line block ×3, first 2 shown]
	s_nop 0
	s_sendmsg sendmsg(MSG_DEALLOC_VGPRS)
	s_endpgm
	.section	.rodata,"a",@progbits
	.p2align	6, 0x0
	.amdhsa_kernel _Z6kernelI14inclusive_scanILN6hipcub18BlockScanAlgorithmE1EEN15benchmark_utils11custom_typeIddEELj256ELj4ELj100EEvPKT0_PS7_S7_
		.amdhsa_group_segment_fixed_size 4224
		.amdhsa_private_segment_fixed_size 0
		.amdhsa_kernarg_size 288
		.amdhsa_user_sgpr_count 15
		.amdhsa_user_sgpr_dispatch_ptr 0
		.amdhsa_user_sgpr_queue_ptr 0
		.amdhsa_user_sgpr_kernarg_segment_ptr 1
		.amdhsa_user_sgpr_dispatch_id 0
		.amdhsa_user_sgpr_private_segment_size 0
		.amdhsa_wavefront_size32 1
		.amdhsa_uses_dynamic_stack 0
		.amdhsa_enable_private_segment 0
		.amdhsa_system_sgpr_workgroup_id_x 1
		.amdhsa_system_sgpr_workgroup_id_y 0
		.amdhsa_system_sgpr_workgroup_id_z 0
		.amdhsa_system_sgpr_workgroup_info 0
		.amdhsa_system_vgpr_workitem_id 0
		.amdhsa_next_free_vgpr 76
		.amdhsa_next_free_sgpr 16
		.amdhsa_reserve_vcc 1
		.amdhsa_float_round_mode_32 0
		.amdhsa_float_round_mode_16_64 0
		.amdhsa_float_denorm_mode_32 3
		.amdhsa_float_denorm_mode_16_64 3
		.amdhsa_dx10_clamp 1
		.amdhsa_ieee_mode 1
		.amdhsa_fp16_overflow 0
		.amdhsa_workgroup_processor_mode 1
		.amdhsa_memory_ordered 1
		.amdhsa_forward_progress 0
		.amdhsa_shared_vgpr_count 0
		.amdhsa_exception_fp_ieee_invalid_op 0
		.amdhsa_exception_fp_denorm_src 0
		.amdhsa_exception_fp_ieee_div_zero 0
		.amdhsa_exception_fp_ieee_overflow 0
		.amdhsa_exception_fp_ieee_underflow 0
		.amdhsa_exception_fp_ieee_inexact 0
		.amdhsa_exception_int_div_zero 0
	.end_amdhsa_kernel
	.section	.text._Z6kernelI14inclusive_scanILN6hipcub18BlockScanAlgorithmE1EEN15benchmark_utils11custom_typeIddEELj256ELj4ELj100EEvPKT0_PS7_S7_,"axG",@progbits,_Z6kernelI14inclusive_scanILN6hipcub18BlockScanAlgorithmE1EEN15benchmark_utils11custom_typeIddEELj256ELj4ELj100EEvPKT0_PS7_S7_,comdat
.Lfunc_end52:
	.size	_Z6kernelI14inclusive_scanILN6hipcub18BlockScanAlgorithmE1EEN15benchmark_utils11custom_typeIddEELj256ELj4ELj100EEvPKT0_PS7_S7_, .Lfunc_end52-_Z6kernelI14inclusive_scanILN6hipcub18BlockScanAlgorithmE1EEN15benchmark_utils11custom_typeIddEELj256ELj4ELj100EEvPKT0_PS7_S7_
                                        ; -- End function
	.section	.AMDGPU.csdata,"",@progbits
; Kernel info:
; codeLenInByte = 1528
; NumSgprs: 18
; NumVgprs: 76
; ScratchSize: 0
; MemoryBound: 0
; FloatMode: 240
; IeeeMode: 1
; LDSByteSize: 4224 bytes/workgroup (compile time only)
; SGPRBlocks: 2
; VGPRBlocks: 9
; NumSGPRsForWavesPerEU: 18
; NumVGPRsForWavesPerEU: 76
; Occupancy: 16
; WaveLimiterHint : 0
; COMPUTE_PGM_RSRC2:SCRATCH_EN: 0
; COMPUTE_PGM_RSRC2:USER_SGPR: 15
; COMPUTE_PGM_RSRC2:TRAP_HANDLER: 0
; COMPUTE_PGM_RSRC2:TGID_X_EN: 1
; COMPUTE_PGM_RSRC2:TGID_Y_EN: 0
; COMPUTE_PGM_RSRC2:TGID_Z_EN: 0
; COMPUTE_PGM_RSRC2:TIDIG_COMP_CNT: 0
	.section	.text._Z6kernelI14inclusive_scanILN6hipcub18BlockScanAlgorithmE1EEN15benchmark_utils11custom_typeIddEELj256ELj8ELj100EEvPKT0_PS7_S7_,"axG",@progbits,_Z6kernelI14inclusive_scanILN6hipcub18BlockScanAlgorithmE1EEN15benchmark_utils11custom_typeIddEELj256ELj8ELj100EEvPKT0_PS7_S7_,comdat
	.protected	_Z6kernelI14inclusive_scanILN6hipcub18BlockScanAlgorithmE1EEN15benchmark_utils11custom_typeIddEELj256ELj8ELj100EEvPKT0_PS7_S7_ ; -- Begin function _Z6kernelI14inclusive_scanILN6hipcub18BlockScanAlgorithmE1EEN15benchmark_utils11custom_typeIddEELj256ELj8ELj100EEvPKT0_PS7_S7_
	.globl	_Z6kernelI14inclusive_scanILN6hipcub18BlockScanAlgorithmE1EEN15benchmark_utils11custom_typeIddEELj256ELj8ELj100EEvPKT0_PS7_S7_
	.p2align	8
	.type	_Z6kernelI14inclusive_scanILN6hipcub18BlockScanAlgorithmE1EEN15benchmark_utils11custom_typeIddEELj256ELj8ELj100EEvPKT0_PS7_S7_,@function
_Z6kernelI14inclusive_scanILN6hipcub18BlockScanAlgorithmE1EEN15benchmark_utils11custom_typeIddEELj256ELj8ELj100EEvPKT0_PS7_S7_: ; @_Z6kernelI14inclusive_scanILN6hipcub18BlockScanAlgorithmE1EEN15benchmark_utils11custom_typeIddEELj256ELj8ELj100EEvPKT0_PS7_S7_
; %bb.0:
	s_clause 0x1
	s_load_b32 s2, s[0:1], 0x2c
	s_load_b128 s[4:7], s[0:1], 0x0
	v_mov_b32_e32 v2, 0
	v_lshrrev_b32_e32 v31, 2, v0
	v_cmp_ne_u32_e64 s1, 0, v0
	v_mbcnt_lo_u32_b32 v105, -1, 0
	s_movk_i32 s3, 0x64
	s_waitcnt lgkmcnt(0)
	s_and_b32 s0, s2, 0xffff
	s_delay_alu instid0(SALU_CYCLE_1) | instskip(SKIP_2) | instid1(VALU_DEP_1)
	s_mul_i32 s15, s15, s0
	v_cmp_eq_u32_e64 s0, 0, v0
	v_add_lshl_u32 v1, s15, v0, 3
	v_lshlrev_b64 v[93:94], 4, v[1:2]
	s_delay_alu instid0(VALU_DEP_1) | instskip(NEXT) | instid1(VALU_DEP_2)
	v_add_co_u32 v29, vcc_lo, s4, v93
	v_add_co_ci_u32_e32 v30, vcc_lo, s5, v94, vcc_lo
	v_cmp_gt_u32_e32 vcc_lo, 32, v0
	s_clause 0x7
	global_load_b128 v[5:8], v[29:30], off offset:48
	global_load_b128 v[9:12], v[29:30], off offset:32
	;; [unrolled: 1-line block ×3, first 2 shown]
	global_load_b128 v[1:4], v[29:30], off
	global_load_b128 v[17:20], v[29:30], off offset:112
	global_load_b128 v[21:24], v[29:30], off offset:96
	;; [unrolled: 1-line block ×4, first 2 shown]
	v_lshrrev_b32_e32 v29, 5, v0
	v_add_nc_u32_e32 v30, -1, v0
	s_delay_alu instid0(VALU_DEP_2) | instskip(SKIP_1) | instid1(VALU_DEP_3)
	v_add_lshl_u32 v103, v29, v0, 4
	v_lshlrev_b32_e32 v29, 3, v0
	v_lshrrev_b32_e32 v32, 5, v30
	s_delay_alu instid0(VALU_DEP_2) | instskip(NEXT) | instid1(VALU_DEP_2)
	v_add_lshl_u32 v0, v31, v29, 4
	v_add_lshl_u32 v104, v32, v30, 4
.LBB53_1:                               ; =>This Inner Loop Header: Depth=1
	s_waitcnt vmcnt(4)
	s_delay_alu instid0(VALU_DEP_1) | instskip(SKIP_1) | instid1(VALU_DEP_2)
	v_add_f64 v[57:58], v[13:14], v[1:2]
	v_add_f64 v[59:60], v[15:16], v[3:4]
	;; [unrolled: 1-line block ×3, first 2 shown]
	s_delay_alu instid0(VALU_DEP_2) | instskip(NEXT) | instid1(VALU_DEP_2)
	v_add_f64 v[55:56], v[11:12], v[59:60]
	v_add_f64 v[49:50], v[5:6], v[53:54]
	s_delay_alu instid0(VALU_DEP_2) | instskip(SKIP_1) | instid1(VALU_DEP_2)
	v_add_f64 v[51:52], v[7:8], v[55:56]
	s_waitcnt vmcnt(0)
	v_add_f64 v[45:46], v[33:34], v[49:50]
	s_delay_alu instid0(VALU_DEP_2) | instskip(NEXT) | instid1(VALU_DEP_2)
	v_add_f64 v[47:48], v[35:36], v[51:52]
	v_add_f64 v[41:42], v[25:26], v[45:46]
	s_delay_alu instid0(VALU_DEP_2) | instskip(NEXT) | instid1(VALU_DEP_2)
	v_add_f64 v[43:44], v[27:28], v[47:48]
	;; [unrolled: 3-line block ×3, first 2 shown]
	v_add_f64 v[29:30], v[17:18], v[37:38]
	s_delay_alu instid0(VALU_DEP_2)
	v_add_f64 v[31:32], v[19:20], v[39:40]
	ds_store_2addr_b64 v103, v[29:30], v[31:32] offset1:1
	s_waitcnt lgkmcnt(0)
	s_barrier
	buffer_gl0_inv
	s_and_saveexec_b32 s4, vcc_lo
	s_cbranch_execz .LBB53_13
; %bb.2:                                ;   in Loop: Header=BB53_1 Depth=1
	ds_load_2addr_b64 v[89:92], v0 offset1:1
	ds_load_2addr_b64 v[61:64], v0 offset0:2 offset1:3
	ds_load_2addr_b64 v[65:68], v0 offset0:4 offset1:5
	;; [unrolled: 1-line block ×3, first 2 shown]
	v_and_b32_e32 v106, 15, v105
	s_mov_b32 s5, exec_lo
	s_waitcnt lgkmcnt(2)
	v_add_f64 v[73:74], v[89:90], v[61:62]
	v_add_f64 v[75:76], v[91:92], v[63:64]
	s_waitcnt lgkmcnt(1)
	s_delay_alu instid0(VALU_DEP_2) | instskip(NEXT) | instid1(VALU_DEP_2)
	v_add_f64 v[73:74], v[73:74], v[65:66]
	v_add_f64 v[75:76], v[75:76], v[67:68]
	s_waitcnt lgkmcnt(0)
	s_delay_alu instid0(VALU_DEP_2) | instskip(NEXT) | instid1(VALU_DEP_2)
	v_add_f64 v[81:82], v[73:74], v[69:70]
	v_add_f64 v[83:84], v[75:76], v[71:72]
	ds_load_2addr_b64 v[73:76], v0 offset0:8 offset1:9
	ds_load_2addr_b64 v[77:80], v0 offset0:10 offset1:11
	s_waitcnt lgkmcnt(1)
	v_add_f64 v[81:82], v[81:82], v[73:74]
	v_add_f64 v[83:84], v[83:84], v[75:76]
	s_waitcnt lgkmcnt(0)
	s_delay_alu instid0(VALU_DEP_2) | instskip(NEXT) | instid1(VALU_DEP_2)
	v_add_f64 v[95:96], v[81:82], v[77:78]
	v_add_f64 v[97:98], v[83:84], v[79:80]
	ds_load_2addr_b64 v[81:84], v0 offset0:12 offset1:13
	ds_load_2addr_b64 v[85:88], v0 offset0:14 offset1:15
	s_waitcnt lgkmcnt(1)
	v_add_f64 v[95:96], v[95:96], v[81:82]
	v_add_f64 v[97:98], v[97:98], v[83:84]
	s_waitcnt lgkmcnt(0)
	s_delay_alu instid0(VALU_DEP_2) | instskip(NEXT) | instid1(VALU_DEP_2)
	v_add_f64 v[95:96], v[95:96], v[85:86]
	v_add_f64 v[97:98], v[97:98], v[87:88]
	s_delay_alu instid0(VALU_DEP_2) | instskip(NEXT) | instid1(VALU_DEP_3)
	v_mov_b32_dpp v99, v95 row_shr:1 row_mask:0xf bank_mask:0xf
	v_mov_b32_dpp v100, v96 row_shr:1 row_mask:0xf bank_mask:0xf
	s_delay_alu instid0(VALU_DEP_3) | instskip(NEXT) | instid1(VALU_DEP_4)
	v_mov_b32_dpp v101, v97 row_shr:1 row_mask:0xf bank_mask:0xf
	v_mov_b32_dpp v102, v98 row_shr:1 row_mask:0xf bank_mask:0xf
	v_cmpx_ne_u32_e32 0, v106
; %bb.3:                                ;   in Loop: Header=BB53_1 Depth=1
	s_delay_alu instid0(VALU_DEP_2)
	v_add_f64 v[97:98], v[97:98], v[101:102]
	v_add_f64 v[95:96], v[95:96], v[99:100]
; %bb.4:                                ;   in Loop: Header=BB53_1 Depth=1
	s_or_b32 exec_lo, exec_lo, s5
	s_delay_alu instid0(VALU_DEP_1) | instskip(NEXT) | instid1(VALU_DEP_2)
	v_mov_b32_dpp v99, v95 row_shr:2 row_mask:0xf bank_mask:0xf
	v_mov_b32_dpp v100, v96 row_shr:2 row_mask:0xf bank_mask:0xf
	s_delay_alu instid0(VALU_DEP_4)
	v_mov_b32_dpp v101, v97 row_shr:2 row_mask:0xf bank_mask:0xf
	v_mov_b32_dpp v102, v98 row_shr:2 row_mask:0xf bank_mask:0xf
	s_mov_b32 s5, exec_lo
	v_cmpx_lt_u32_e32 1, v106
; %bb.5:                                ;   in Loop: Header=BB53_1 Depth=1
	s_delay_alu instid0(VALU_DEP_2)
	v_add_f64 v[97:98], v[97:98], v[101:102]
	v_add_f64 v[95:96], v[95:96], v[99:100]
; %bb.6:                                ;   in Loop: Header=BB53_1 Depth=1
	s_or_b32 exec_lo, exec_lo, s5
	s_delay_alu instid0(VALU_DEP_1) | instskip(NEXT) | instid1(VALU_DEP_2)
	v_mov_b32_dpp v99, v95 row_shr:4 row_mask:0xf bank_mask:0xf
	v_mov_b32_dpp v100, v96 row_shr:4 row_mask:0xf bank_mask:0xf
	s_delay_alu instid0(VALU_DEP_4)
	v_mov_b32_dpp v101, v97 row_shr:4 row_mask:0xf bank_mask:0xf
	v_mov_b32_dpp v102, v98 row_shr:4 row_mask:0xf bank_mask:0xf
	s_mov_b32 s5, exec_lo
	v_cmpx_lt_u32_e32 3, v106
; %bb.7:                                ;   in Loop: Header=BB53_1 Depth=1
	s_delay_alu instid0(VALU_DEP_2)
	v_add_f64 v[97:98], v[97:98], v[101:102]
	v_add_f64 v[95:96], v[95:96], v[99:100]
; %bb.8:                                ;   in Loop: Header=BB53_1 Depth=1
	s_or_b32 exec_lo, exec_lo, s5
	s_delay_alu instid0(VALU_DEP_1) | instskip(NEXT) | instid1(VALU_DEP_2)
	v_mov_b32_dpp v99, v95 row_shr:8 row_mask:0xf bank_mask:0xf
	v_mov_b32_dpp v100, v96 row_shr:8 row_mask:0xf bank_mask:0xf
	s_delay_alu instid0(VALU_DEP_4)
	v_mov_b32_dpp v101, v97 row_shr:8 row_mask:0xf bank_mask:0xf
	v_mov_b32_dpp v102, v98 row_shr:8 row_mask:0xf bank_mask:0xf
	s_mov_b32 s5, exec_lo
	v_cmpx_lt_u32_e32 7, v106
; %bb.9:                                ;   in Loop: Header=BB53_1 Depth=1
	s_delay_alu instid0(VALU_DEP_2)
	v_add_f64 v[97:98], v[97:98], v[101:102]
	v_add_f64 v[95:96], v[95:96], v[99:100]
; %bb.10:                               ;   in Loop: Header=BB53_1 Depth=1
	s_or_b32 exec_lo, exec_lo, s5
	ds_swizzle_b32 v99, v95 offset:swizzle(BROADCAST,32,15)
	ds_swizzle_b32 v100, v96 offset:swizzle(BROADCAST,32,15)
	;; [unrolled: 1-line block ×4, first 2 shown]
	v_and_b32_e32 v106, 16, v105
	s_mov_b32 s5, exec_lo
	s_delay_alu instid0(VALU_DEP_1)
	v_cmpx_ne_u32_e32 0, v106
	s_cbranch_execz .LBB53_12
; %bb.11:                               ;   in Loop: Header=BB53_1 Depth=1
	s_waitcnt lgkmcnt(0)
	v_add_f64 v[97:98], v[97:98], v[101:102]
	v_add_f64 v[95:96], v[95:96], v[99:100]
.LBB53_12:                              ;   in Loop: Header=BB53_1 Depth=1
	s_or_b32 exec_lo, exec_lo, s5
	s_waitcnt lgkmcnt(3)
	v_add_nc_u32_e32 v99, -1, v105
	s_delay_alu instid0(VALU_DEP_1) | instskip(NEXT) | instid1(VALU_DEP_1)
	v_cmp_gt_i32_e64 s2, 0, v99
	v_cndmask_b32_e64 v99, v99, v105, s2
	s_delay_alu instid0(VALU_DEP_1)
	v_lshlrev_b32_e32 v99, 2, v99
	ds_bpermute_b32 v95, v99, v95
	ds_bpermute_b32 v97, v99, v97
	;; [unrolled: 1-line block ×4, first 2 shown]
	s_waitcnt lgkmcnt(1)
	v_add_f64 v[91:92], v[91:92], v[97:98]
	s_waitcnt lgkmcnt(0)
	v_add_f64 v[89:90], v[89:90], v[95:96]
	s_delay_alu instid0(VALU_DEP_2) | instskip(NEXT) | instid1(VALU_DEP_2)
	v_cndmask_b32_e64 v92, v92, v32, s0
	v_cndmask_b32_e64 v90, v90, v30, s0
	s_delay_alu instid0(VALU_DEP_3) | instskip(SKIP_1) | instid1(VALU_DEP_2)
	v_cndmask_b32_e64 v89, v89, v29, s0
	v_cndmask_b32_e64 v91, v91, v31, s0
	v_add_f64 v[61:62], v[61:62], v[89:90]
	s_delay_alu instid0(VALU_DEP_2) | instskip(NEXT) | instid1(VALU_DEP_2)
	v_add_f64 v[63:64], v[63:64], v[91:92]
	v_add_f64 v[65:66], v[65:66], v[61:62]
	s_delay_alu instid0(VALU_DEP_2) | instskip(NEXT) | instid1(VALU_DEP_2)
	v_add_f64 v[67:68], v[67:68], v[63:64]
	;; [unrolled: 3-line block ×6, first 2 shown]
	v_add_f64 v[85:86], v[85:86], v[81:82]
	s_delay_alu instid0(VALU_DEP_2)
	v_add_f64 v[87:88], v[87:88], v[83:84]
	ds_store_2addr_b64 v0, v[89:90], v[91:92] offset1:1
	ds_store_2addr_b64 v0, v[61:62], v[63:64] offset0:2 offset1:3
	ds_store_2addr_b64 v0, v[65:66], v[67:68] offset0:4 offset1:5
	;; [unrolled: 1-line block ×7, first 2 shown]
.LBB53_13:                              ;   in Loop: Header=BB53_1 Depth=1
	s_or_b32 exec_lo, exec_lo, s4
	v_dual_mov_b32 v62, v30 :: v_dual_mov_b32 v61, v29
	v_dual_mov_b32 v64, v32 :: v_dual_mov_b32 v63, v31
	s_waitcnt lgkmcnt(0)
	s_barrier
	buffer_gl0_inv
	s_and_saveexec_b32 s2, s1
	s_cbranch_execnz .LBB53_16
; %bb.14:                               ;   in Loop: Header=BB53_1 Depth=1
	s_or_b32 exec_lo, exec_lo, s2
	s_and_saveexec_b32 s2, s1
	s_cbranch_execnz .LBB53_17
.LBB53_15:                              ;   in Loop: Header=BB53_1 Depth=1
	s_or_b32 exec_lo, exec_lo, s2
	s_add_i32 s3, s3, -1
	s_delay_alu instid0(SALU_CYCLE_1)
	s_cmp_lg_u32 s3, 0
	s_cbranch_scc1 .LBB53_18
	s_branch .LBB53_19
.LBB53_16:                              ;   in Loop: Header=BB53_1 Depth=1
	ds_load_2addr_b64 v[61:64], v104 offset1:1
	s_or_b32 exec_lo, exec_lo, s2
	s_and_saveexec_b32 s2, s1
	s_cbranch_execz .LBB53_15
.LBB53_17:                              ;   in Loop: Header=BB53_1 Depth=1
	s_waitcnt lgkmcnt(0)
	v_add_f64 v[1:2], v[1:2], v[61:62]
	v_add_f64 v[3:4], v[3:4], v[63:64]
	s_delay_alu instid0(VALU_DEP_2) | instskip(NEXT) | instid1(VALU_DEP_2)
	v_add_f64 v[57:58], v[13:14], v[1:2]
	v_add_f64 v[59:60], v[15:16], v[3:4]
	s_delay_alu instid0(VALU_DEP_2) | instskip(NEXT) | instid1(VALU_DEP_2)
	;; [unrolled: 3-line block ×7, first 2 shown]
	v_add_f64 v[29:30], v[17:18], v[37:38]
	v_add_f64 v[31:32], v[19:20], v[39:40]
	s_or_b32 exec_lo, exec_lo, s2
	s_add_i32 s3, s3, -1
	s_delay_alu instid0(SALU_CYCLE_1)
	s_cmp_lg_u32 s3, 0
	s_cbranch_scc0 .LBB53_19
.LBB53_18:                              ;   in Loop: Header=BB53_1 Depth=1
	s_delay_alu instid0(VALU_DEP_1) | instskip(NEXT) | instid1(VALU_DEP_3)
	v_dual_mov_b32 v19, v31 :: v_dual_mov_b32 v20, v32
	v_dual_mov_b32 v17, v29 :: v_dual_mov_b32 v18, v30
	;; [unrolled: 1-line block ×14, first 2 shown]
	s_branch .LBB53_1
.LBB53_19:
	v_add_co_u32 v5, vcc_lo, s6, v93
	v_add_co_ci_u32_e32 v6, vcc_lo, s7, v94, vcc_lo
	s_clause 0x7
	global_store_b128 v[5:6], v[1:4], off
	global_store_b128 v[5:6], v[57:60], off offset:16
	global_store_b128 v[5:6], v[53:56], off offset:32
	;; [unrolled: 1-line block ×7, first 2 shown]
	s_nop 0
	s_sendmsg sendmsg(MSG_DEALLOC_VGPRS)
	s_endpgm
	.section	.rodata,"a",@progbits
	.p2align	6, 0x0
	.amdhsa_kernel _Z6kernelI14inclusive_scanILN6hipcub18BlockScanAlgorithmE1EEN15benchmark_utils11custom_typeIddEELj256ELj8ELj100EEvPKT0_PS7_S7_
		.amdhsa_group_segment_fixed_size 4224
		.amdhsa_private_segment_fixed_size 0
		.amdhsa_kernarg_size 288
		.amdhsa_user_sgpr_count 15
		.amdhsa_user_sgpr_dispatch_ptr 0
		.amdhsa_user_sgpr_queue_ptr 0
		.amdhsa_user_sgpr_kernarg_segment_ptr 1
		.amdhsa_user_sgpr_dispatch_id 0
		.amdhsa_user_sgpr_private_segment_size 0
		.amdhsa_wavefront_size32 1
		.amdhsa_uses_dynamic_stack 0
		.amdhsa_enable_private_segment 0
		.amdhsa_system_sgpr_workgroup_id_x 1
		.amdhsa_system_sgpr_workgroup_id_y 0
		.amdhsa_system_sgpr_workgroup_id_z 0
		.amdhsa_system_sgpr_workgroup_info 0
		.amdhsa_system_vgpr_workitem_id 0
		.amdhsa_next_free_vgpr 107
		.amdhsa_next_free_sgpr 16
		.amdhsa_reserve_vcc 1
		.amdhsa_float_round_mode_32 0
		.amdhsa_float_round_mode_16_64 0
		.amdhsa_float_denorm_mode_32 3
		.amdhsa_float_denorm_mode_16_64 3
		.amdhsa_dx10_clamp 1
		.amdhsa_ieee_mode 1
		.amdhsa_fp16_overflow 0
		.amdhsa_workgroup_processor_mode 1
		.amdhsa_memory_ordered 1
		.amdhsa_forward_progress 0
		.amdhsa_shared_vgpr_count 0
		.amdhsa_exception_fp_ieee_invalid_op 0
		.amdhsa_exception_fp_denorm_src 0
		.amdhsa_exception_fp_ieee_div_zero 0
		.amdhsa_exception_fp_ieee_overflow 0
		.amdhsa_exception_fp_ieee_underflow 0
		.amdhsa_exception_fp_ieee_inexact 0
		.amdhsa_exception_int_div_zero 0
	.end_amdhsa_kernel
	.section	.text._Z6kernelI14inclusive_scanILN6hipcub18BlockScanAlgorithmE1EEN15benchmark_utils11custom_typeIddEELj256ELj8ELj100EEvPKT0_PS7_S7_,"axG",@progbits,_Z6kernelI14inclusive_scanILN6hipcub18BlockScanAlgorithmE1EEN15benchmark_utils11custom_typeIddEELj256ELj8ELj100EEvPKT0_PS7_S7_,comdat
.Lfunc_end53:
	.size	_Z6kernelI14inclusive_scanILN6hipcub18BlockScanAlgorithmE1EEN15benchmark_utils11custom_typeIddEELj256ELj8ELj100EEvPKT0_PS7_S7_, .Lfunc_end53-_Z6kernelI14inclusive_scanILN6hipcub18BlockScanAlgorithmE1EEN15benchmark_utils11custom_typeIddEELj256ELj8ELj100EEvPKT0_PS7_S7_
                                        ; -- End function
	.section	.AMDGPU.csdata,"",@progbits
; Kernel info:
; codeLenInByte = 1824
; NumSgprs: 18
; NumVgprs: 107
; ScratchSize: 0
; MemoryBound: 1
; FloatMode: 240
; IeeeMode: 1
; LDSByteSize: 4224 bytes/workgroup (compile time only)
; SGPRBlocks: 2
; VGPRBlocks: 13
; NumSGPRsForWavesPerEU: 18
; NumVGPRsForWavesPerEU: 107
; Occupancy: 12
; WaveLimiterHint : 0
; COMPUTE_PGM_RSRC2:SCRATCH_EN: 0
; COMPUTE_PGM_RSRC2:USER_SGPR: 15
; COMPUTE_PGM_RSRC2:TRAP_HANDLER: 0
; COMPUTE_PGM_RSRC2:TGID_X_EN: 1
; COMPUTE_PGM_RSRC2:TGID_Y_EN: 0
; COMPUTE_PGM_RSRC2:TGID_Z_EN: 0
; COMPUTE_PGM_RSRC2:TIDIG_COMP_CNT: 0
	.section	.text._Z6kernelI14inclusive_scanILN6hipcub18BlockScanAlgorithmE0EEiLj64ELj1ELj100EEvPKT0_PS4_S4_,"axG",@progbits,_Z6kernelI14inclusive_scanILN6hipcub18BlockScanAlgorithmE0EEiLj64ELj1ELj100EEvPKT0_PS4_S4_,comdat
	.protected	_Z6kernelI14inclusive_scanILN6hipcub18BlockScanAlgorithmE0EEiLj64ELj1ELj100EEvPKT0_PS4_S4_ ; -- Begin function _Z6kernelI14inclusive_scanILN6hipcub18BlockScanAlgorithmE0EEiLj64ELj1ELj100EEvPKT0_PS4_S4_
	.globl	_Z6kernelI14inclusive_scanILN6hipcub18BlockScanAlgorithmE0EEiLj64ELj1ELj100EEvPKT0_PS4_S4_
	.p2align	8
	.type	_Z6kernelI14inclusive_scanILN6hipcub18BlockScanAlgorithmE0EEiLj64ELj1ELj100EEvPKT0_PS4_S4_,@function
_Z6kernelI14inclusive_scanILN6hipcub18BlockScanAlgorithmE0EEiLj64ELj1ELj100EEvPKT0_PS4_S4_: ; @_Z6kernelI14inclusive_scanILN6hipcub18BlockScanAlgorithmE0EEiLj64ELj1ELj100EEvPKT0_PS4_S4_
; %bb.0:
	s_clause 0x1
	s_load_b32 s2, s[0:1], 0x24
	s_load_b128 s[8:11], s[0:1], 0x0
	v_lshrrev_b32_e32 v8, 3, v0
	v_or_b32_e32 v7, 31, v0
	v_cmp_gt_u32_e64 s5, 2, v0
	v_cmp_lt_u32_e64 s6, 31, v0
	s_delay_alu instid0(VALU_DEP_3) | instskip(SKIP_2) | instid1(SALU_CYCLE_1)
	v_cmp_eq_u32_e64 s4, v7, v0
	s_waitcnt lgkmcnt(0)
	s_and_b32 s0, s2, 0xffff
	v_mad_u64_u32 v[1:2], null, s15, s0, v[0:1]
	v_mov_b32_e32 v2, 0
	v_lshlrev_b32_e32 v0, 2, v0
	s_delay_alu instid0(VALU_DEP_2) | instskip(NEXT) | instid1(VALU_DEP_1)
	v_lshlrev_b64 v[1:2], 2, v[1:2]
	v_add_co_u32 v3, vcc_lo, s8, v1
	s_delay_alu instid0(VALU_DEP_2) | instskip(SKIP_3) | instid1(VALU_DEP_1)
	v_add_co_ci_u32_e32 v4, vcc_lo, s9, v2, vcc_lo
	s_movk_i32 s8, 0x64
	global_load_b32 v3, v[3:4], off
	v_mbcnt_lo_u32_b32 v4, -1, 0
	v_and_b32_e32 v5, 15, v4
	v_and_b32_e32 v6, 16, v4
	s_delay_alu instid0(VALU_DEP_2)
	v_cmp_eq_u32_e32 vcc_lo, 0, v5
	v_cmp_lt_u32_e64 s0, 1, v5
	v_cmp_lt_u32_e64 s1, 3, v5
	v_cmp_lt_u32_e64 s2, 7, v5
	v_and_b32_e32 v5, 1, v4
	v_and_b32_e32 v4, 4, v8
	v_cmp_eq_u32_e64 s3, 0, v6
	s_delay_alu instid0(VALU_DEP_3) | instskip(NEXT) | instid1(VALU_DEP_3)
	v_cmp_eq_u32_e64 s7, 0, v5
	v_add_nc_u32_e32 v5, -4, v4
	s_branch .LBB54_2
.LBB54_1:                               ;   in Loop: Header=BB54_2 Depth=1
	s_or_b32 exec_lo, exec_lo, s9
	s_add_i32 s8, s8, -1
	s_delay_alu instid0(SALU_CYCLE_1)
	s_cmp_lg_u32 s8, 0
	s_cbranch_scc0 .LBB54_8
.LBB54_2:                               ; =>This Inner Loop Header: Depth=1
	s_waitcnt vmcnt(0)
	v_mov_b32_dpp v6, v3 row_shr:1 row_mask:0xf bank_mask:0xf
	s_delay_alu instid0(VALU_DEP_1) | instskip(NEXT) | instid1(VALU_DEP_1)
	v_cndmask_b32_e64 v6, v6, 0, vcc_lo
	v_add_nc_u32_e32 v3, v6, v3
	s_delay_alu instid0(VALU_DEP_1) | instskip(NEXT) | instid1(VALU_DEP_1)
	v_mov_b32_dpp v6, v3 row_shr:2 row_mask:0xf bank_mask:0xf
	v_cndmask_b32_e64 v6, 0, v6, s0
	s_delay_alu instid0(VALU_DEP_1) | instskip(NEXT) | instid1(VALU_DEP_1)
	v_add_nc_u32_e32 v3, v3, v6
	v_mov_b32_dpp v6, v3 row_shr:4 row_mask:0xf bank_mask:0xf
	s_delay_alu instid0(VALU_DEP_1) | instskip(NEXT) | instid1(VALU_DEP_1)
	v_cndmask_b32_e64 v6, 0, v6, s1
	v_add_nc_u32_e32 v3, v3, v6
	s_delay_alu instid0(VALU_DEP_1) | instskip(NEXT) | instid1(VALU_DEP_1)
	v_mov_b32_dpp v6, v3 row_shr:8 row_mask:0xf bank_mask:0xf
	v_cndmask_b32_e64 v6, 0, v6, s2
	s_delay_alu instid0(VALU_DEP_1) | instskip(SKIP_3) | instid1(VALU_DEP_1)
	v_add_nc_u32_e32 v3, v3, v6
	ds_swizzle_b32 v6, v3 offset:swizzle(BROADCAST,32,15)
	s_waitcnt lgkmcnt(0)
	v_cndmask_b32_e64 v6, v6, 0, s3
	v_add_nc_u32_e32 v3, v3, v6
	s_and_saveexec_b32 s9, s4
	s_cbranch_execz .LBB54_4
; %bb.3:                                ;   in Loop: Header=BB54_2 Depth=1
	ds_store_b32 v4, v3
.LBB54_4:                               ;   in Loop: Header=BB54_2 Depth=1
	s_or_b32 exec_lo, exec_lo, s9
	s_waitcnt lgkmcnt(0)
	s_barrier
	buffer_gl0_inv
	s_and_saveexec_b32 s9, s5
	s_cbranch_execz .LBB54_6
; %bb.5:                                ;   in Loop: Header=BB54_2 Depth=1
	ds_load_b32 v6, v0
	s_waitcnt lgkmcnt(0)
	v_mov_b32_dpp v7, v6 row_shr:1 row_mask:0xf bank_mask:0xf
	s_delay_alu instid0(VALU_DEP_1) | instskip(NEXT) | instid1(VALU_DEP_1)
	v_cndmask_b32_e64 v7, v7, 0, s7
	v_add_nc_u32_e32 v6, v7, v6
	ds_store_b32 v0, v6
.LBB54_6:                               ;   in Loop: Header=BB54_2 Depth=1
	s_or_b32 exec_lo, exec_lo, s9
	s_waitcnt lgkmcnt(0)
	s_barrier
	buffer_gl0_inv
	s_and_saveexec_b32 s9, s6
	s_cbranch_execz .LBB54_1
; %bb.7:                                ;   in Loop: Header=BB54_2 Depth=1
	ds_load_b32 v6, v5
	s_waitcnt lgkmcnt(0)
	v_add_nc_u32_e32 v3, v6, v3
	s_branch .LBB54_1
.LBB54_8:
	v_add_co_u32 v0, vcc_lo, s10, v1
	v_add_co_ci_u32_e32 v1, vcc_lo, s11, v2, vcc_lo
	global_store_b32 v[0:1], v3, off
	s_nop 0
	s_sendmsg sendmsg(MSG_DEALLOC_VGPRS)
	s_endpgm
	.section	.rodata,"a",@progbits
	.p2align	6, 0x0
	.amdhsa_kernel _Z6kernelI14inclusive_scanILN6hipcub18BlockScanAlgorithmE0EEiLj64ELj1ELj100EEvPKT0_PS4_S4_
		.amdhsa_group_segment_fixed_size 8
		.amdhsa_private_segment_fixed_size 0
		.amdhsa_kernarg_size 280
		.amdhsa_user_sgpr_count 15
		.amdhsa_user_sgpr_dispatch_ptr 0
		.amdhsa_user_sgpr_queue_ptr 0
		.amdhsa_user_sgpr_kernarg_segment_ptr 1
		.amdhsa_user_sgpr_dispatch_id 0
		.amdhsa_user_sgpr_private_segment_size 0
		.amdhsa_wavefront_size32 1
		.amdhsa_uses_dynamic_stack 0
		.amdhsa_enable_private_segment 0
		.amdhsa_system_sgpr_workgroup_id_x 1
		.amdhsa_system_sgpr_workgroup_id_y 0
		.amdhsa_system_sgpr_workgroup_id_z 0
		.amdhsa_system_sgpr_workgroup_info 0
		.amdhsa_system_vgpr_workitem_id 0
		.amdhsa_next_free_vgpr 9
		.amdhsa_next_free_sgpr 16
		.amdhsa_reserve_vcc 1
		.amdhsa_float_round_mode_32 0
		.amdhsa_float_round_mode_16_64 0
		.amdhsa_float_denorm_mode_32 3
		.amdhsa_float_denorm_mode_16_64 3
		.amdhsa_dx10_clamp 1
		.amdhsa_ieee_mode 1
		.amdhsa_fp16_overflow 0
		.amdhsa_workgroup_processor_mode 1
		.amdhsa_memory_ordered 1
		.amdhsa_forward_progress 0
		.amdhsa_shared_vgpr_count 0
		.amdhsa_exception_fp_ieee_invalid_op 0
		.amdhsa_exception_fp_denorm_src 0
		.amdhsa_exception_fp_ieee_div_zero 0
		.amdhsa_exception_fp_ieee_overflow 0
		.amdhsa_exception_fp_ieee_underflow 0
		.amdhsa_exception_fp_ieee_inexact 0
		.amdhsa_exception_int_div_zero 0
	.end_amdhsa_kernel
	.section	.text._Z6kernelI14inclusive_scanILN6hipcub18BlockScanAlgorithmE0EEiLj64ELj1ELj100EEvPKT0_PS4_S4_,"axG",@progbits,_Z6kernelI14inclusive_scanILN6hipcub18BlockScanAlgorithmE0EEiLj64ELj1ELj100EEvPKT0_PS4_S4_,comdat
.Lfunc_end54:
	.size	_Z6kernelI14inclusive_scanILN6hipcub18BlockScanAlgorithmE0EEiLj64ELj1ELj100EEvPKT0_PS4_S4_, .Lfunc_end54-_Z6kernelI14inclusive_scanILN6hipcub18BlockScanAlgorithmE0EEiLj64ELj1ELj100EEvPKT0_PS4_S4_
                                        ; -- End function
	.section	.AMDGPU.csdata,"",@progbits
; Kernel info:
; codeLenInByte = 528
; NumSgprs: 18
; NumVgprs: 9
; ScratchSize: 0
; MemoryBound: 0
; FloatMode: 240
; IeeeMode: 1
; LDSByteSize: 8 bytes/workgroup (compile time only)
; SGPRBlocks: 2
; VGPRBlocks: 1
; NumSGPRsForWavesPerEU: 18
; NumVGPRsForWavesPerEU: 9
; Occupancy: 16
; WaveLimiterHint : 0
; COMPUTE_PGM_RSRC2:SCRATCH_EN: 0
; COMPUTE_PGM_RSRC2:USER_SGPR: 15
; COMPUTE_PGM_RSRC2:TRAP_HANDLER: 0
; COMPUTE_PGM_RSRC2:TGID_X_EN: 1
; COMPUTE_PGM_RSRC2:TGID_Y_EN: 0
; COMPUTE_PGM_RSRC2:TGID_Z_EN: 0
; COMPUTE_PGM_RSRC2:TIDIG_COMP_CNT: 0
	.section	.text._Z6kernelI14inclusive_scanILN6hipcub18BlockScanAlgorithmE0EEiLj64ELj3ELj100EEvPKT0_PS4_S4_,"axG",@progbits,_Z6kernelI14inclusive_scanILN6hipcub18BlockScanAlgorithmE0EEiLj64ELj3ELj100EEvPKT0_PS4_S4_,comdat
	.protected	_Z6kernelI14inclusive_scanILN6hipcub18BlockScanAlgorithmE0EEiLj64ELj3ELj100EEvPKT0_PS4_S4_ ; -- Begin function _Z6kernelI14inclusive_scanILN6hipcub18BlockScanAlgorithmE0EEiLj64ELj3ELj100EEvPKT0_PS4_S4_
	.globl	_Z6kernelI14inclusive_scanILN6hipcub18BlockScanAlgorithmE0EEiLj64ELj3ELj100EEvPKT0_PS4_S4_
	.p2align	8
	.type	_Z6kernelI14inclusive_scanILN6hipcub18BlockScanAlgorithmE0EEiLj64ELj3ELj100EEvPKT0_PS4_S4_,@function
_Z6kernelI14inclusive_scanILN6hipcub18BlockScanAlgorithmE0EEiLj64ELj3ELj100EEvPKT0_PS4_S4_: ; @_Z6kernelI14inclusive_scanILN6hipcub18BlockScanAlgorithmE0EEiLj64ELj3ELj100EEvPKT0_PS4_S4_
; %bb.0:
	s_clause 0x1
	s_load_b32 s2, s[0:1], 0x24
	s_load_b128 s[8:11], s[0:1], 0x0
	v_or_b32_e32 v14, 31, v0
	v_cmp_gt_u32_e64 s5, 2, v0
	v_cmp_lt_u32_e64 s6, 31, v0
	v_cmp_eq_u32_e64 s7, 0, v0
	s_movk_i32 s12, 0x64
	s_waitcnt lgkmcnt(0)
	s_and_b32 s2, s2, 0xffff
	s_delay_alu instid0(SALU_CYCLE_1) | instskip(NEXT) | instid1(VALU_DEP_1)
	v_mad_u64_u32 v[1:2], null, s15, s2, v[0:1]
	v_lshl_add_u32 v3, v1, 1, v1
	s_delay_alu instid0(VALU_DEP_1) | instskip(NEXT) | instid1(VALU_DEP_1)
	v_dual_mov_b32 v4, 0 :: v_dual_add_nc_u32 v5, 1, v3
	v_mov_b32_e32 v6, v4
	v_lshlrev_b64 v[1:2], 2, v[3:4]
	v_add_nc_u32_e32 v3, 2, v3
	s_delay_alu instid0(VALU_DEP_3) | instskip(NEXT) | instid1(VALU_DEP_2)
	v_lshlrev_b64 v[5:6], 2, v[5:6]
	v_lshlrev_b64 v[3:4], 2, v[3:4]
	s_delay_alu instid0(VALU_DEP_4) | instskip(SKIP_1) | instid1(VALU_DEP_4)
	v_add_co_u32 v7, vcc_lo, s8, v1
	v_add_co_ci_u32_e32 v8, vcc_lo, s9, v2, vcc_lo
	v_add_co_u32 v9, vcc_lo, s8, v5
	v_add_co_ci_u32_e32 v10, vcc_lo, s9, v6, vcc_lo
	;; [unrolled: 2-line block ×3, first 2 shown]
	s_clause 0x2
	global_load_b32 v7, v[7:8], off
	global_load_b32 v8, v[9:10], off
	;; [unrolled: 1-line block ×3, first 2 shown]
	v_mbcnt_lo_u32_b32 v12, -1, 0
	s_delay_alu instid0(VALU_DEP_1) | instskip(SKIP_3) | instid1(VALU_DEP_4)
	v_and_b32_e32 v11, 16, v12
	v_add_nc_u32_e32 v13, -1, v12
	v_and_b32_e32 v10, 15, v12
	v_cmp_eq_u32_e64 s8, 0, v12
	v_cmp_eq_u32_e64 s3, 0, v11
	s_delay_alu instid0(VALU_DEP_4)
	v_cmp_gt_i32_e64 s4, 0, v13
	v_lshrrev_b32_e32 v11, 3, v0
	v_cmp_eq_u32_e32 vcc_lo, 0, v10
	v_cmp_lt_u32_e64 s0, 1, v10
	v_cmp_lt_u32_e64 s1, 3, v10
	;; [unrolled: 1-line block ×3, first 2 shown]
	v_cndmask_b32_e64 v10, v13, v12, s4
	v_and_b32_e32 v13, 1, v12
	v_and_b32_e32 v11, 4, v11
	v_cmp_eq_u32_e64 s4, v14, v0
	v_lshlrev_b32_e32 v0, 2, v0
	v_lshlrev_b32_e32 v10, 2, v10
	v_cmp_eq_u32_e64 s9, 0, v13
	v_add_nc_u32_e32 v12, -4, v11
	s_branch .LBB55_2
.LBB55_1:                               ;   in Loop: Header=BB55_2 Depth=1
	s_or_b32 exec_lo, exec_lo, s13
	ds_bpermute_b32 v13, v10, v13
	s_add_i32 s12, s12, -1
	s_delay_alu instid0(SALU_CYCLE_1) | instskip(SKIP_2) | instid1(VALU_DEP_1)
	s_cmp_lg_u32 s12, 0
	s_waitcnt lgkmcnt(0)
	v_cndmask_b32_e64 v13, v13, v14, s8
	v_cndmask_b32_e64 v13, v13, 0, s7
	s_delay_alu instid0(VALU_DEP_1) | instskip(NEXT) | instid1(VALU_DEP_1)
	v_add_nc_u32_e32 v7, v13, v7
	v_add_nc_u32_e32 v8, v7, v8
	s_delay_alu instid0(VALU_DEP_1)
	v_add_nc_u32_e32 v9, v8, v9
	s_cbranch_scc0 .LBB55_8
.LBB55_2:                               ; =>This Inner Loop Header: Depth=1
	s_waitcnt vmcnt(0)
	s_delay_alu instid0(VALU_DEP_1) | instskip(NEXT) | instid1(VALU_DEP_1)
	v_add3_u32 v13, v8, v7, v9
	v_mov_b32_dpp v14, v13 row_shr:1 row_mask:0xf bank_mask:0xf
	s_delay_alu instid0(VALU_DEP_1) | instskip(NEXT) | instid1(VALU_DEP_1)
	v_cndmask_b32_e64 v14, v14, 0, vcc_lo
	v_add_nc_u32_e32 v13, v13, v14
	s_delay_alu instid0(VALU_DEP_1) | instskip(NEXT) | instid1(VALU_DEP_1)
	v_mov_b32_dpp v14, v13 row_shr:2 row_mask:0xf bank_mask:0xf
	v_cndmask_b32_e64 v14, 0, v14, s0
	s_delay_alu instid0(VALU_DEP_1) | instskip(NEXT) | instid1(VALU_DEP_1)
	v_add_nc_u32_e32 v13, v13, v14
	v_mov_b32_dpp v14, v13 row_shr:4 row_mask:0xf bank_mask:0xf
	s_delay_alu instid0(VALU_DEP_1) | instskip(NEXT) | instid1(VALU_DEP_1)
	v_cndmask_b32_e64 v14, 0, v14, s1
	v_add_nc_u32_e32 v13, v13, v14
	s_delay_alu instid0(VALU_DEP_1) | instskip(NEXT) | instid1(VALU_DEP_1)
	v_mov_b32_dpp v14, v13 row_shr:8 row_mask:0xf bank_mask:0xf
	v_cndmask_b32_e64 v14, 0, v14, s2
	s_delay_alu instid0(VALU_DEP_1) | instskip(SKIP_3) | instid1(VALU_DEP_1)
	v_add_nc_u32_e32 v13, v13, v14
	ds_swizzle_b32 v14, v13 offset:swizzle(BROADCAST,32,15)
	s_waitcnt lgkmcnt(0)
	v_cndmask_b32_e64 v14, v14, 0, s3
	v_add_nc_u32_e32 v13, v13, v14
	s_and_saveexec_b32 s13, s4
	s_cbranch_execz .LBB55_4
; %bb.3:                                ;   in Loop: Header=BB55_2 Depth=1
	ds_store_b32 v11, v13
.LBB55_4:                               ;   in Loop: Header=BB55_2 Depth=1
	s_or_b32 exec_lo, exec_lo, s13
	s_waitcnt lgkmcnt(0)
	s_barrier
	buffer_gl0_inv
	s_and_saveexec_b32 s13, s5
	s_cbranch_execz .LBB55_6
; %bb.5:                                ;   in Loop: Header=BB55_2 Depth=1
	ds_load_b32 v14, v0
	s_waitcnt lgkmcnt(0)
	v_mov_b32_dpp v15, v14 row_shr:1 row_mask:0xf bank_mask:0xf
	s_delay_alu instid0(VALU_DEP_1) | instskip(NEXT) | instid1(VALU_DEP_1)
	v_cndmask_b32_e64 v15, v15, 0, s9
	v_add_nc_u32_e32 v14, v15, v14
	ds_store_b32 v0, v14
.LBB55_6:                               ;   in Loop: Header=BB55_2 Depth=1
	s_or_b32 exec_lo, exec_lo, s13
	s_waitcnt lgkmcnt(0)
	s_barrier
	buffer_gl0_inv
                                        ; implicit-def: $vgpr14
	s_and_saveexec_b32 s13, s6
	s_cbranch_execz .LBB55_1
; %bb.7:                                ;   in Loop: Header=BB55_2 Depth=1
	ds_load_b32 v14, v12
	s_waitcnt lgkmcnt(0)
	v_add_nc_u32_e32 v13, v14, v13
	s_branch .LBB55_1
.LBB55_8:
	v_add_co_u32 v0, vcc_lo, s10, v1
	v_add_co_ci_u32_e32 v1, vcc_lo, s11, v2, vcc_lo
	v_add_co_u32 v5, vcc_lo, s10, v5
	v_add_co_ci_u32_e32 v6, vcc_lo, s11, v6, vcc_lo
	;; [unrolled: 2-line block ×3, first 2 shown]
	s_clause 0x2
	global_store_b32 v[0:1], v7, off
	global_store_b32 v[5:6], v8, off
	;; [unrolled: 1-line block ×3, first 2 shown]
	s_nop 0
	s_sendmsg sendmsg(MSG_DEALLOC_VGPRS)
	s_endpgm
	.section	.rodata,"a",@progbits
	.p2align	6, 0x0
	.amdhsa_kernel _Z6kernelI14inclusive_scanILN6hipcub18BlockScanAlgorithmE0EEiLj64ELj3ELj100EEvPKT0_PS4_S4_
		.amdhsa_group_segment_fixed_size 8
		.amdhsa_private_segment_fixed_size 0
		.amdhsa_kernarg_size 280
		.amdhsa_user_sgpr_count 15
		.amdhsa_user_sgpr_dispatch_ptr 0
		.amdhsa_user_sgpr_queue_ptr 0
		.amdhsa_user_sgpr_kernarg_segment_ptr 1
		.amdhsa_user_sgpr_dispatch_id 0
		.amdhsa_user_sgpr_private_segment_size 0
		.amdhsa_wavefront_size32 1
		.amdhsa_uses_dynamic_stack 0
		.amdhsa_enable_private_segment 0
		.amdhsa_system_sgpr_workgroup_id_x 1
		.amdhsa_system_sgpr_workgroup_id_y 0
		.amdhsa_system_sgpr_workgroup_id_z 0
		.amdhsa_system_sgpr_workgroup_info 0
		.amdhsa_system_vgpr_workitem_id 0
		.amdhsa_next_free_vgpr 16
		.amdhsa_next_free_sgpr 16
		.amdhsa_reserve_vcc 1
		.amdhsa_float_round_mode_32 0
		.amdhsa_float_round_mode_16_64 0
		.amdhsa_float_denorm_mode_32 3
		.amdhsa_float_denorm_mode_16_64 3
		.amdhsa_dx10_clamp 1
		.amdhsa_ieee_mode 1
		.amdhsa_fp16_overflow 0
		.amdhsa_workgroup_processor_mode 1
		.amdhsa_memory_ordered 1
		.amdhsa_forward_progress 0
		.amdhsa_shared_vgpr_count 0
		.amdhsa_exception_fp_ieee_invalid_op 0
		.amdhsa_exception_fp_denorm_src 0
		.amdhsa_exception_fp_ieee_div_zero 0
		.amdhsa_exception_fp_ieee_overflow 0
		.amdhsa_exception_fp_ieee_underflow 0
		.amdhsa_exception_fp_ieee_inexact 0
		.amdhsa_exception_int_div_zero 0
	.end_amdhsa_kernel
	.section	.text._Z6kernelI14inclusive_scanILN6hipcub18BlockScanAlgorithmE0EEiLj64ELj3ELj100EEvPKT0_PS4_S4_,"axG",@progbits,_Z6kernelI14inclusive_scanILN6hipcub18BlockScanAlgorithmE0EEiLj64ELj3ELj100EEvPKT0_PS4_S4_,comdat
.Lfunc_end55:
	.size	_Z6kernelI14inclusive_scanILN6hipcub18BlockScanAlgorithmE0EEiLj64ELj3ELj100EEvPKT0_PS4_S4_, .Lfunc_end55-_Z6kernelI14inclusive_scanILN6hipcub18BlockScanAlgorithmE0EEiLj64ELj3ELj100EEvPKT0_PS4_S4_
                                        ; -- End function
	.section	.AMDGPU.csdata,"",@progbits
; Kernel info:
; codeLenInByte = 756
; NumSgprs: 18
; NumVgprs: 16
; ScratchSize: 0
; MemoryBound: 0
; FloatMode: 240
; IeeeMode: 1
; LDSByteSize: 8 bytes/workgroup (compile time only)
; SGPRBlocks: 2
; VGPRBlocks: 1
; NumSGPRsForWavesPerEU: 18
; NumVGPRsForWavesPerEU: 16
; Occupancy: 16
; WaveLimiterHint : 0
; COMPUTE_PGM_RSRC2:SCRATCH_EN: 0
; COMPUTE_PGM_RSRC2:USER_SGPR: 15
; COMPUTE_PGM_RSRC2:TRAP_HANDLER: 0
; COMPUTE_PGM_RSRC2:TGID_X_EN: 1
; COMPUTE_PGM_RSRC2:TGID_Y_EN: 0
; COMPUTE_PGM_RSRC2:TGID_Z_EN: 0
; COMPUTE_PGM_RSRC2:TIDIG_COMP_CNT: 0
	.section	.text._Z6kernelI14inclusive_scanILN6hipcub18BlockScanAlgorithmE0EEiLj64ELj4ELj100EEvPKT0_PS4_S4_,"axG",@progbits,_Z6kernelI14inclusive_scanILN6hipcub18BlockScanAlgorithmE0EEiLj64ELj4ELj100EEvPKT0_PS4_S4_,comdat
	.protected	_Z6kernelI14inclusive_scanILN6hipcub18BlockScanAlgorithmE0EEiLj64ELj4ELj100EEvPKT0_PS4_S4_ ; -- Begin function _Z6kernelI14inclusive_scanILN6hipcub18BlockScanAlgorithmE0EEiLj64ELj4ELj100EEvPKT0_PS4_S4_
	.globl	_Z6kernelI14inclusive_scanILN6hipcub18BlockScanAlgorithmE0EEiLj64ELj4ELj100EEvPKT0_PS4_S4_
	.p2align	8
	.type	_Z6kernelI14inclusive_scanILN6hipcub18BlockScanAlgorithmE0EEiLj64ELj4ELj100EEvPKT0_PS4_S4_,@function
_Z6kernelI14inclusive_scanILN6hipcub18BlockScanAlgorithmE0EEiLj64ELj4ELj100EEvPKT0_PS4_S4_: ; @_Z6kernelI14inclusive_scanILN6hipcub18BlockScanAlgorithmE0EEiLj64ELj4ELj100EEvPKT0_PS4_S4_
; %bb.0:
	s_clause 0x1
	s_load_b32 s2, s[0:1], 0x24
	s_load_b128 s[8:11], s[0:1], 0x0
	v_mbcnt_lo_u32_b32 v9, -1, 0
	v_mov_b32_e32 v2, 0
	v_or_b32_e32 v11, 31, v0
	v_cmp_gt_u32_e64 s5, 2, v0
	v_cmp_lt_u32_e64 s6, 31, v0
	v_and_b32_e32 v7, 15, v9
	v_and_b32_e32 v8, 16, v9
	v_add_nc_u32_e32 v10, -1, v9
	v_cmp_eq_u32_e64 s7, 0, v0
	s_movk_i32 s12, 0x64
	v_cmp_lt_u32_e64 s1, 3, v7
	v_cmp_eq_u32_e64 s3, 0, v8
	v_cmp_gt_i32_e64 s4, 0, v10
	v_lshrrev_b32_e32 v8, 3, v0
	s_delay_alu instid0(VALU_DEP_1)
	v_and_b32_e32 v8, 4, v8
	s_waitcnt lgkmcnt(0)
	s_and_b32 s0, s2, 0xffff
	v_cmp_lt_u32_e64 s2, 7, v7
	s_mul_i32 s15, s15, s0
	v_cmp_lt_u32_e64 s0, 1, v7
	v_add_lshl_u32 v1, s15, v0, 2
	s_delay_alu instid0(VALU_DEP_1) | instskip(NEXT) | instid1(VALU_DEP_1)
	v_lshlrev_b64 v[5:6], 2, v[1:2]
	v_add_co_u32 v1, vcc_lo, s8, v5
	s_delay_alu instid0(VALU_DEP_2)
	v_add_co_ci_u32_e32 v2, vcc_lo, s9, v6, vcc_lo
	v_cmp_eq_u32_e32 vcc_lo, 0, v7
	v_cndmask_b32_e64 v7, v10, v9, s4
	v_and_b32_e32 v10, 1, v9
	global_load_b128 v[1:4], v[1:2], off
	v_cmp_eq_u32_e64 s4, v11, v0
	v_cmp_eq_u32_e64 s8, 0, v9
	v_lshlrev_b32_e32 v7, 2, v7
	v_lshlrev_b32_e32 v0, 2, v0
	v_cmp_eq_u32_e64 s9, 0, v10
	v_add_nc_u32_e32 v9, -4, v8
	s_branch .LBB56_2
.LBB56_1:                               ;   in Loop: Header=BB56_2 Depth=1
	s_or_b32 exec_lo, exec_lo, s13
	ds_bpermute_b32 v10, v7, v10
	s_add_i32 s12, s12, -1
	s_delay_alu instid0(SALU_CYCLE_1) | instskip(SKIP_2) | instid1(VALU_DEP_1)
	s_cmp_lg_u32 s12, 0
	s_waitcnt lgkmcnt(0)
	v_cndmask_b32_e64 v10, v10, v11, s8
	v_cndmask_b32_e64 v10, v10, 0, s7
	s_delay_alu instid0(VALU_DEP_1) | instskip(NEXT) | instid1(VALU_DEP_1)
	v_add_nc_u32_e32 v1, v10, v1
	v_add_nc_u32_e32 v2, v1, v2
	s_delay_alu instid0(VALU_DEP_1) | instskip(NEXT) | instid1(VALU_DEP_1)
	v_add_nc_u32_e32 v3, v2, v3
	v_add_nc_u32_e32 v4, v3, v4
	s_cbranch_scc0 .LBB56_8
.LBB56_2:                               ; =>This Inner Loop Header: Depth=1
	s_waitcnt vmcnt(0)
	v_add_nc_u32_e32 v10, v2, v1
	s_delay_alu instid0(VALU_DEP_1) | instskip(NEXT) | instid1(VALU_DEP_1)
	v_add3_u32 v10, v10, v3, v4
	v_mov_b32_dpp v11, v10 row_shr:1 row_mask:0xf bank_mask:0xf
	s_delay_alu instid0(VALU_DEP_1) | instskip(NEXT) | instid1(VALU_DEP_1)
	v_cndmask_b32_e64 v11, v11, 0, vcc_lo
	v_add_nc_u32_e32 v10, v10, v11
	s_delay_alu instid0(VALU_DEP_1) | instskip(NEXT) | instid1(VALU_DEP_1)
	v_mov_b32_dpp v11, v10 row_shr:2 row_mask:0xf bank_mask:0xf
	v_cndmask_b32_e64 v11, 0, v11, s0
	s_delay_alu instid0(VALU_DEP_1) | instskip(NEXT) | instid1(VALU_DEP_1)
	v_add_nc_u32_e32 v10, v10, v11
	v_mov_b32_dpp v11, v10 row_shr:4 row_mask:0xf bank_mask:0xf
	s_delay_alu instid0(VALU_DEP_1) | instskip(NEXT) | instid1(VALU_DEP_1)
	v_cndmask_b32_e64 v11, 0, v11, s1
	v_add_nc_u32_e32 v10, v10, v11
	s_delay_alu instid0(VALU_DEP_1) | instskip(NEXT) | instid1(VALU_DEP_1)
	v_mov_b32_dpp v11, v10 row_shr:8 row_mask:0xf bank_mask:0xf
	v_cndmask_b32_e64 v11, 0, v11, s2
	s_delay_alu instid0(VALU_DEP_1) | instskip(SKIP_3) | instid1(VALU_DEP_1)
	v_add_nc_u32_e32 v10, v10, v11
	ds_swizzle_b32 v11, v10 offset:swizzle(BROADCAST,32,15)
	s_waitcnt lgkmcnt(0)
	v_cndmask_b32_e64 v11, v11, 0, s3
	v_add_nc_u32_e32 v10, v10, v11
	s_and_saveexec_b32 s13, s4
	s_cbranch_execz .LBB56_4
; %bb.3:                                ;   in Loop: Header=BB56_2 Depth=1
	ds_store_b32 v8, v10
.LBB56_4:                               ;   in Loop: Header=BB56_2 Depth=1
	s_or_b32 exec_lo, exec_lo, s13
	s_waitcnt lgkmcnt(0)
	s_barrier
	buffer_gl0_inv
	s_and_saveexec_b32 s13, s5
	s_cbranch_execz .LBB56_6
; %bb.5:                                ;   in Loop: Header=BB56_2 Depth=1
	ds_load_b32 v11, v0
	s_waitcnt lgkmcnt(0)
	v_mov_b32_dpp v12, v11 row_shr:1 row_mask:0xf bank_mask:0xf
	s_delay_alu instid0(VALU_DEP_1) | instskip(NEXT) | instid1(VALU_DEP_1)
	v_cndmask_b32_e64 v12, v12, 0, s9
	v_add_nc_u32_e32 v11, v12, v11
	ds_store_b32 v0, v11
.LBB56_6:                               ;   in Loop: Header=BB56_2 Depth=1
	s_or_b32 exec_lo, exec_lo, s13
	s_waitcnt lgkmcnt(0)
	s_barrier
	buffer_gl0_inv
                                        ; implicit-def: $vgpr11
	s_and_saveexec_b32 s13, s6
	s_cbranch_execz .LBB56_1
; %bb.7:                                ;   in Loop: Header=BB56_2 Depth=1
	ds_load_b32 v11, v9
	s_waitcnt lgkmcnt(0)
	v_add_nc_u32_e32 v10, v11, v10
	s_branch .LBB56_1
.LBB56_8:
	v_add_co_u32 v5, vcc_lo, s10, v5
	v_add_co_ci_u32_e32 v6, vcc_lo, s11, v6, vcc_lo
	global_store_b128 v[5:6], v[1:4], off
	s_nop 0
	s_sendmsg sendmsg(MSG_DEALLOC_VGPRS)
	s_endpgm
	.section	.rodata,"a",@progbits
	.p2align	6, 0x0
	.amdhsa_kernel _Z6kernelI14inclusive_scanILN6hipcub18BlockScanAlgorithmE0EEiLj64ELj4ELj100EEvPKT0_PS4_S4_
		.amdhsa_group_segment_fixed_size 8
		.amdhsa_private_segment_fixed_size 0
		.amdhsa_kernarg_size 280
		.amdhsa_user_sgpr_count 15
		.amdhsa_user_sgpr_dispatch_ptr 0
		.amdhsa_user_sgpr_queue_ptr 0
		.amdhsa_user_sgpr_kernarg_segment_ptr 1
		.amdhsa_user_sgpr_dispatch_id 0
		.amdhsa_user_sgpr_private_segment_size 0
		.amdhsa_wavefront_size32 1
		.amdhsa_uses_dynamic_stack 0
		.amdhsa_enable_private_segment 0
		.amdhsa_system_sgpr_workgroup_id_x 1
		.amdhsa_system_sgpr_workgroup_id_y 0
		.amdhsa_system_sgpr_workgroup_id_z 0
		.amdhsa_system_sgpr_workgroup_info 0
		.amdhsa_system_vgpr_workitem_id 0
		.amdhsa_next_free_vgpr 13
		.amdhsa_next_free_sgpr 16
		.amdhsa_reserve_vcc 1
		.amdhsa_float_round_mode_32 0
		.amdhsa_float_round_mode_16_64 0
		.amdhsa_float_denorm_mode_32 3
		.amdhsa_float_denorm_mode_16_64 3
		.amdhsa_dx10_clamp 1
		.amdhsa_ieee_mode 1
		.amdhsa_fp16_overflow 0
		.amdhsa_workgroup_processor_mode 1
		.amdhsa_memory_ordered 1
		.amdhsa_forward_progress 0
		.amdhsa_shared_vgpr_count 0
		.amdhsa_exception_fp_ieee_invalid_op 0
		.amdhsa_exception_fp_denorm_src 0
		.amdhsa_exception_fp_ieee_div_zero 0
		.amdhsa_exception_fp_ieee_overflow 0
		.amdhsa_exception_fp_ieee_underflow 0
		.amdhsa_exception_fp_ieee_inexact 0
		.amdhsa_exception_int_div_zero 0
	.end_amdhsa_kernel
	.section	.text._Z6kernelI14inclusive_scanILN6hipcub18BlockScanAlgorithmE0EEiLj64ELj4ELj100EEvPKT0_PS4_S4_,"axG",@progbits,_Z6kernelI14inclusive_scanILN6hipcub18BlockScanAlgorithmE0EEiLj64ELj4ELj100EEvPKT0_PS4_S4_,comdat
.Lfunc_end56:
	.size	_Z6kernelI14inclusive_scanILN6hipcub18BlockScanAlgorithmE0EEiLj64ELj4ELj100EEvPKT0_PS4_S4_, .Lfunc_end56-_Z6kernelI14inclusive_scanILN6hipcub18BlockScanAlgorithmE0EEiLj64ELj4ELj100EEvPKT0_PS4_S4_
                                        ; -- End function
	.section	.AMDGPU.csdata,"",@progbits
; Kernel info:
; codeLenInByte = 632
; NumSgprs: 18
; NumVgprs: 13
; ScratchSize: 0
; MemoryBound: 0
; FloatMode: 240
; IeeeMode: 1
; LDSByteSize: 8 bytes/workgroup (compile time only)
; SGPRBlocks: 2
; VGPRBlocks: 1
; NumSGPRsForWavesPerEU: 18
; NumVGPRsForWavesPerEU: 13
; Occupancy: 16
; WaveLimiterHint : 0
; COMPUTE_PGM_RSRC2:SCRATCH_EN: 0
; COMPUTE_PGM_RSRC2:USER_SGPR: 15
; COMPUTE_PGM_RSRC2:TRAP_HANDLER: 0
; COMPUTE_PGM_RSRC2:TGID_X_EN: 1
; COMPUTE_PGM_RSRC2:TGID_Y_EN: 0
; COMPUTE_PGM_RSRC2:TGID_Z_EN: 0
; COMPUTE_PGM_RSRC2:TIDIG_COMP_CNT: 0
	.section	.text._Z6kernelI14inclusive_scanILN6hipcub18BlockScanAlgorithmE0EEiLj64ELj8ELj100EEvPKT0_PS4_S4_,"axG",@progbits,_Z6kernelI14inclusive_scanILN6hipcub18BlockScanAlgorithmE0EEiLj64ELj8ELj100EEvPKT0_PS4_S4_,comdat
	.protected	_Z6kernelI14inclusive_scanILN6hipcub18BlockScanAlgorithmE0EEiLj64ELj8ELj100EEvPKT0_PS4_S4_ ; -- Begin function _Z6kernelI14inclusive_scanILN6hipcub18BlockScanAlgorithmE0EEiLj64ELj8ELj100EEvPKT0_PS4_S4_
	.globl	_Z6kernelI14inclusive_scanILN6hipcub18BlockScanAlgorithmE0EEiLj64ELj8ELj100EEvPKT0_PS4_S4_
	.p2align	8
	.type	_Z6kernelI14inclusive_scanILN6hipcub18BlockScanAlgorithmE0EEiLj64ELj8ELj100EEvPKT0_PS4_S4_,@function
_Z6kernelI14inclusive_scanILN6hipcub18BlockScanAlgorithmE0EEiLj64ELj8ELj100EEvPKT0_PS4_S4_: ; @_Z6kernelI14inclusive_scanILN6hipcub18BlockScanAlgorithmE0EEiLj64ELj8ELj100EEvPKT0_PS4_S4_
; %bb.0:
	s_clause 0x1
	s_load_b32 s2, s[0:1], 0x24
	s_load_b128 s[8:11], s[0:1], 0x0
	v_mbcnt_lo_u32_b32 v13, -1, 0
	v_mov_b32_e32 v2, 0
	v_or_b32_e32 v15, 31, v0
	v_cmp_gt_u32_e64 s5, 2, v0
	v_cmp_lt_u32_e64 s6, 31, v0
	v_and_b32_e32 v11, 15, v13
	v_and_b32_e32 v12, 16, v13
	v_add_nc_u32_e32 v14, -1, v13
	v_cmp_eq_u32_e64 s7, 0, v0
	s_movk_i32 s12, 0x64
	v_cmp_lt_u32_e64 s1, 3, v11
	v_cmp_eq_u32_e64 s3, 0, v12
	v_cmp_gt_i32_e64 s4, 0, v14
	v_lshrrev_b32_e32 v12, 3, v0
	s_delay_alu instid0(VALU_DEP_1)
	v_and_b32_e32 v12, 4, v12
	s_waitcnt lgkmcnt(0)
	s_and_b32 s0, s2, 0xffff
	v_cmp_lt_u32_e64 s2, 7, v11
	s_mul_i32 s15, s15, s0
	v_cmp_lt_u32_e64 s0, 1, v11
	v_add_lshl_u32 v1, s15, v0, 3
	s_delay_alu instid0(VALU_DEP_1) | instskip(NEXT) | instid1(VALU_DEP_1)
	v_lshlrev_b64 v[9:10], 2, v[1:2]
	v_add_co_u32 v1, vcc_lo, s8, v9
	s_delay_alu instid0(VALU_DEP_2)
	v_add_co_ci_u32_e32 v2, vcc_lo, s9, v10, vcc_lo
	v_cmp_eq_u32_e32 vcc_lo, 0, v11
	v_cndmask_b32_e64 v11, v14, v13, s4
	s_clause 0x1
	global_load_b128 v[5:8], v[1:2], off
	global_load_b128 v[1:4], v[1:2], off offset:16
	v_and_b32_e32 v14, 1, v13
	v_cmp_eq_u32_e64 s4, v15, v0
	v_lshlrev_b32_e32 v11, 2, v11
	v_cmp_eq_u32_e64 s8, 0, v13
	v_lshlrev_b32_e32 v0, 2, v0
	v_cmp_eq_u32_e64 s9, 0, v14
	v_add_nc_u32_e32 v13, -4, v12
	s_branch .LBB57_2
.LBB57_1:                               ;   in Loop: Header=BB57_2 Depth=1
	s_or_b32 exec_lo, exec_lo, s13
	ds_bpermute_b32 v14, v11, v14
	s_add_i32 s12, s12, -1
	s_delay_alu instid0(SALU_CYCLE_1) | instskip(SKIP_2) | instid1(VALU_DEP_1)
	s_cmp_lg_u32 s12, 0
	s_waitcnt lgkmcnt(0)
	v_cndmask_b32_e64 v14, v14, v15, s8
	v_cndmask_b32_e64 v14, v14, 0, s7
	s_delay_alu instid0(VALU_DEP_1) | instskip(NEXT) | instid1(VALU_DEP_1)
	v_add_nc_u32_e32 v5, v14, v5
	v_add_nc_u32_e32 v6, v5, v6
	s_delay_alu instid0(VALU_DEP_1) | instskip(NEXT) | instid1(VALU_DEP_1)
	v_add_nc_u32_e32 v7, v6, v7
	v_add_nc_u32_e32 v8, v7, v8
	;; [unrolled: 3-line block ×4, first 2 shown]
	s_cbranch_scc0 .LBB57_8
.LBB57_2:                               ; =>This Inner Loop Header: Depth=1
	s_waitcnt vmcnt(1)
	v_add_nc_u32_e32 v14, v6, v5
	s_delay_alu instid0(VALU_DEP_1) | instskip(SKIP_1) | instid1(VALU_DEP_1)
	v_add3_u32 v14, v14, v7, v8
	s_waitcnt vmcnt(0)
	v_add3_u32 v14, v14, v1, v2
	s_delay_alu instid0(VALU_DEP_1) | instskip(NEXT) | instid1(VALU_DEP_1)
	v_add3_u32 v14, v14, v3, v4
	v_mov_b32_dpp v15, v14 row_shr:1 row_mask:0xf bank_mask:0xf
	s_delay_alu instid0(VALU_DEP_1) | instskip(NEXT) | instid1(VALU_DEP_1)
	v_cndmask_b32_e64 v15, v15, 0, vcc_lo
	v_add_nc_u32_e32 v14, v14, v15
	s_delay_alu instid0(VALU_DEP_1) | instskip(NEXT) | instid1(VALU_DEP_1)
	v_mov_b32_dpp v15, v14 row_shr:2 row_mask:0xf bank_mask:0xf
	v_cndmask_b32_e64 v15, 0, v15, s0
	s_delay_alu instid0(VALU_DEP_1) | instskip(NEXT) | instid1(VALU_DEP_1)
	v_add_nc_u32_e32 v14, v14, v15
	v_mov_b32_dpp v15, v14 row_shr:4 row_mask:0xf bank_mask:0xf
	s_delay_alu instid0(VALU_DEP_1) | instskip(NEXT) | instid1(VALU_DEP_1)
	v_cndmask_b32_e64 v15, 0, v15, s1
	v_add_nc_u32_e32 v14, v14, v15
	s_delay_alu instid0(VALU_DEP_1) | instskip(NEXT) | instid1(VALU_DEP_1)
	v_mov_b32_dpp v15, v14 row_shr:8 row_mask:0xf bank_mask:0xf
	v_cndmask_b32_e64 v15, 0, v15, s2
	s_delay_alu instid0(VALU_DEP_1) | instskip(SKIP_3) | instid1(VALU_DEP_1)
	v_add_nc_u32_e32 v14, v14, v15
	ds_swizzle_b32 v15, v14 offset:swizzle(BROADCAST,32,15)
	s_waitcnt lgkmcnt(0)
	v_cndmask_b32_e64 v15, v15, 0, s3
	v_add_nc_u32_e32 v14, v14, v15
	s_and_saveexec_b32 s13, s4
	s_cbranch_execz .LBB57_4
; %bb.3:                                ;   in Loop: Header=BB57_2 Depth=1
	ds_store_b32 v12, v14
.LBB57_4:                               ;   in Loop: Header=BB57_2 Depth=1
	s_or_b32 exec_lo, exec_lo, s13
	s_waitcnt lgkmcnt(0)
	s_barrier
	buffer_gl0_inv
	s_and_saveexec_b32 s13, s5
	s_cbranch_execz .LBB57_6
; %bb.5:                                ;   in Loop: Header=BB57_2 Depth=1
	ds_load_b32 v15, v0
	s_waitcnt lgkmcnt(0)
	v_mov_b32_dpp v16, v15 row_shr:1 row_mask:0xf bank_mask:0xf
	s_delay_alu instid0(VALU_DEP_1) | instskip(NEXT) | instid1(VALU_DEP_1)
	v_cndmask_b32_e64 v16, v16, 0, s9
	v_add_nc_u32_e32 v15, v16, v15
	ds_store_b32 v0, v15
.LBB57_6:                               ;   in Loop: Header=BB57_2 Depth=1
	s_or_b32 exec_lo, exec_lo, s13
	s_waitcnt lgkmcnt(0)
	s_barrier
	buffer_gl0_inv
                                        ; implicit-def: $vgpr15
	s_and_saveexec_b32 s13, s6
	s_cbranch_execz .LBB57_1
; %bb.7:                                ;   in Loop: Header=BB57_2 Depth=1
	ds_load_b32 v15, v13
	s_waitcnt lgkmcnt(0)
	v_add_nc_u32_e32 v14, v15, v14
	s_branch .LBB57_1
.LBB57_8:
	v_add_co_u32 v9, vcc_lo, s10, v9
	v_add_co_ci_u32_e32 v10, vcc_lo, s11, v10, vcc_lo
	s_clause 0x1
	global_store_b128 v[9:10], v[5:8], off
	global_store_b128 v[9:10], v[1:4], off offset:16
	s_nop 0
	s_sendmsg sendmsg(MSG_DEALLOC_VGPRS)
	s_endpgm
	.section	.rodata,"a",@progbits
	.p2align	6, 0x0
	.amdhsa_kernel _Z6kernelI14inclusive_scanILN6hipcub18BlockScanAlgorithmE0EEiLj64ELj8ELj100EEvPKT0_PS4_S4_
		.amdhsa_group_segment_fixed_size 8
		.amdhsa_private_segment_fixed_size 0
		.amdhsa_kernarg_size 280
		.amdhsa_user_sgpr_count 15
		.amdhsa_user_sgpr_dispatch_ptr 0
		.amdhsa_user_sgpr_queue_ptr 0
		.amdhsa_user_sgpr_kernarg_segment_ptr 1
		.amdhsa_user_sgpr_dispatch_id 0
		.amdhsa_user_sgpr_private_segment_size 0
		.amdhsa_wavefront_size32 1
		.amdhsa_uses_dynamic_stack 0
		.amdhsa_enable_private_segment 0
		.amdhsa_system_sgpr_workgroup_id_x 1
		.amdhsa_system_sgpr_workgroup_id_y 0
		.amdhsa_system_sgpr_workgroup_id_z 0
		.amdhsa_system_sgpr_workgroup_info 0
		.amdhsa_system_vgpr_workitem_id 0
		.amdhsa_next_free_vgpr 17
		.amdhsa_next_free_sgpr 16
		.amdhsa_reserve_vcc 1
		.amdhsa_float_round_mode_32 0
		.amdhsa_float_round_mode_16_64 0
		.amdhsa_float_denorm_mode_32 3
		.amdhsa_float_denorm_mode_16_64 3
		.amdhsa_dx10_clamp 1
		.amdhsa_ieee_mode 1
		.amdhsa_fp16_overflow 0
		.amdhsa_workgroup_processor_mode 1
		.amdhsa_memory_ordered 1
		.amdhsa_forward_progress 0
		.amdhsa_shared_vgpr_count 0
		.amdhsa_exception_fp_ieee_invalid_op 0
		.amdhsa_exception_fp_denorm_src 0
		.amdhsa_exception_fp_ieee_div_zero 0
		.amdhsa_exception_fp_ieee_overflow 0
		.amdhsa_exception_fp_ieee_underflow 0
		.amdhsa_exception_fp_ieee_inexact 0
		.amdhsa_exception_int_div_zero 0
	.end_amdhsa_kernel
	.section	.text._Z6kernelI14inclusive_scanILN6hipcub18BlockScanAlgorithmE0EEiLj64ELj8ELj100EEvPKT0_PS4_S4_,"axG",@progbits,_Z6kernelI14inclusive_scanILN6hipcub18BlockScanAlgorithmE0EEiLj64ELj8ELj100EEvPKT0_PS4_S4_,comdat
.Lfunc_end57:
	.size	_Z6kernelI14inclusive_scanILN6hipcub18BlockScanAlgorithmE0EEiLj64ELj8ELj100EEvPKT0_PS4_S4_, .Lfunc_end57-_Z6kernelI14inclusive_scanILN6hipcub18BlockScanAlgorithmE0EEiLj64ELj8ELj100EEvPKT0_PS4_S4_
                                        ; -- End function
	.section	.AMDGPU.csdata,"",@progbits
; Kernel info:
; codeLenInByte = 704
; NumSgprs: 18
; NumVgprs: 17
; ScratchSize: 0
; MemoryBound: 0
; FloatMode: 240
; IeeeMode: 1
; LDSByteSize: 8 bytes/workgroup (compile time only)
; SGPRBlocks: 2
; VGPRBlocks: 2
; NumSGPRsForWavesPerEU: 18
; NumVGPRsForWavesPerEU: 17
; Occupancy: 16
; WaveLimiterHint : 0
; COMPUTE_PGM_RSRC2:SCRATCH_EN: 0
; COMPUTE_PGM_RSRC2:USER_SGPR: 15
; COMPUTE_PGM_RSRC2:TRAP_HANDLER: 0
; COMPUTE_PGM_RSRC2:TGID_X_EN: 1
; COMPUTE_PGM_RSRC2:TGID_Y_EN: 0
; COMPUTE_PGM_RSRC2:TGID_Z_EN: 0
; COMPUTE_PGM_RSRC2:TIDIG_COMP_CNT: 0
	.section	.text._Z6kernelI14inclusive_scanILN6hipcub18BlockScanAlgorithmE0EEiLj64ELj11ELj100EEvPKT0_PS4_S4_,"axG",@progbits,_Z6kernelI14inclusive_scanILN6hipcub18BlockScanAlgorithmE0EEiLj64ELj11ELj100EEvPKT0_PS4_S4_,comdat
	.protected	_Z6kernelI14inclusive_scanILN6hipcub18BlockScanAlgorithmE0EEiLj64ELj11ELj100EEvPKT0_PS4_S4_ ; -- Begin function _Z6kernelI14inclusive_scanILN6hipcub18BlockScanAlgorithmE0EEiLj64ELj11ELj100EEvPKT0_PS4_S4_
	.globl	_Z6kernelI14inclusive_scanILN6hipcub18BlockScanAlgorithmE0EEiLj64ELj11ELj100EEvPKT0_PS4_S4_
	.p2align	8
	.type	_Z6kernelI14inclusive_scanILN6hipcub18BlockScanAlgorithmE0EEiLj64ELj11ELj100EEvPKT0_PS4_S4_,@function
_Z6kernelI14inclusive_scanILN6hipcub18BlockScanAlgorithmE0EEiLj64ELj11ELj100EEvPKT0_PS4_S4_: ; @_Z6kernelI14inclusive_scanILN6hipcub18BlockScanAlgorithmE0EEiLj64ELj11ELj100EEvPKT0_PS4_S4_
; %bb.0:
	s_clause 0x1
	s_load_b32 s2, s[0:1], 0x24
	s_load_b128 s[8:11], s[0:1], 0x0
	v_cmp_gt_u32_e64 s5, 2, v0
	v_cmp_lt_u32_e64 s6, 31, v0
	v_cmp_eq_u32_e64 s7, 0, v0
	s_movk_i32 s12, 0x64
	s_waitcnt lgkmcnt(0)
	s_and_b32 s2, s2, 0xffff
	s_delay_alu instid0(SALU_CYCLE_1) | instskip(NEXT) | instid1(VALU_DEP_1)
	v_mad_u64_u32 v[1:2], null, s15, s2, v[0:1]
	v_mul_lo_u32 v21, v1, 11
	s_delay_alu instid0(VALU_DEP_1) | instskip(NEXT) | instid1(VALU_DEP_1)
	v_dual_mov_b32 v22, 0 :: v_dual_add_nc_u32 v1, 1, v21
	v_dual_mov_b32 v2, v22 :: v_dual_add_nc_u32 v3, 2, v21
	v_lshlrev_b64 v[15:16], 2, v[21:22]
	v_dual_mov_b32 v4, v22 :: v_dual_add_nc_u32 v5, 3, v21
	s_delay_alu instid0(VALU_DEP_3) | instskip(SKIP_1) | instid1(VALU_DEP_3)
	v_lshlrev_b64 v[17:18], 2, v[1:2]
	v_dual_mov_b32 v6, v22 :: v_dual_add_nc_u32 v7, 4, v21
	v_lshlrev_b64 v[13:14], 2, v[3:4]
	v_add_co_u32 v25, vcc_lo, s8, v15
	v_dual_mov_b32 v8, v22 :: v_dual_add_nc_u32 v11, 5, v21
	v_add_co_ci_u32_e32 v26, vcc_lo, s9, v16, vcc_lo
	v_lshlrev_b64 v[9:10], 2, v[5:6]
	v_add_co_u32 v27, vcc_lo, s8, v17
	v_dual_mov_b32 v12, v22 :: v_dual_add_nc_u32 v19, 6, v21
	v_add_co_ci_u32_e32 v28, vcc_lo, s9, v18, vcc_lo
	;; [unrolled: 4-line block ×4, first 2 shown]
	v_lshlrev_b64 v[1:2], 2, v[19:20]
	v_add_co_u32 v36, vcc_lo, s8, v5
	v_add_co_ci_u32_e32 v37, vcc_lo, s9, v6, vcc_lo
	v_add_co_u32 v38, vcc_lo, s8, v3
	v_lshlrev_b64 v[7:8], 2, v[23:24]
	v_add_nc_u32_e32 v19, 9, v21
	v_add_co_ci_u32_e32 v39, vcc_lo, s9, v4, vcc_lo
	v_add_co_u32 v23, vcc_lo, s8, v1
	v_lshlrev_b64 v[11:12], 2, v[11:12]
	v_add_nc_u32_e32 v21, 10, v21
	v_add_co_ci_u32_e32 v24, vcc_lo, s9, v2, vcc_lo
	v_add_co_u32 v40, vcc_lo, s8, v7
	v_lshlrev_b64 v[19:20], 2, v[19:20]
	v_add_co_ci_u32_e32 v41, vcc_lo, s9, v8, vcc_lo
	v_add_co_u32 v42, vcc_lo, s8, v11
	v_lshlrev_b64 v[21:22], 2, v[21:22]
	v_add_co_ci_u32_e32 v43, vcc_lo, s9, v12, vcc_lo
	v_add_co_u32 v44, vcc_lo, s8, v19
	v_add_co_ci_u32_e32 v45, vcc_lo, s9, v20, vcc_lo
	s_delay_alu instid0(VALU_DEP_4)
	v_add_co_u32 v46, vcc_lo, s8, v21
	v_add_co_ci_u32_e32 v47, vcc_lo, s9, v22, vcc_lo
	s_clause 0xa
	global_load_b32 v33, v[25:26], off
	global_load_b32 v32, v[27:28], off
	;; [unrolled: 1-line block ×11, first 2 shown]
	v_mbcnt_lo_u32_b32 v36, -1, 0
	v_or_b32_e32 v38, 31, v0
	s_delay_alu instid0(VALU_DEP_2) | instskip(SKIP_3) | instid1(VALU_DEP_4)
	v_and_b32_e32 v35, 16, v36
	v_add_nc_u32_e32 v37, -1, v36
	v_and_b32_e32 v34, 15, v36
	v_cmp_eq_u32_e64 s8, 0, v36
	v_cmp_eq_u32_e64 s3, 0, v35
	s_delay_alu instid0(VALU_DEP_4)
	v_cmp_gt_i32_e64 s4, 0, v37
	v_lshrrev_b32_e32 v35, 3, v0
	v_cmp_eq_u32_e32 vcc_lo, 0, v34
	v_cmp_lt_u32_e64 s0, 1, v34
	v_cmp_lt_u32_e64 s1, 3, v34
	v_cmp_lt_u32_e64 s2, 7, v34
	v_cndmask_b32_e64 v34, v37, v36, s4
	v_and_b32_e32 v37, 1, v36
	v_and_b32_e32 v35, 4, v35
	v_cmp_eq_u32_e64 s4, v38, v0
	v_lshlrev_b32_e32 v0, 2, v0
	v_lshlrev_b32_e32 v34, 2, v34
	v_cmp_eq_u32_e64 s9, 0, v37
	v_add_nc_u32_e32 v36, -4, v35
	s_branch .LBB58_2
.LBB58_1:                               ;   in Loop: Header=BB58_2 Depth=1
	s_or_b32 exec_lo, exec_lo, s13
	ds_bpermute_b32 v37, v34, v37
	s_add_i32 s12, s12, -1
	s_delay_alu instid0(SALU_CYCLE_1) | instskip(SKIP_2) | instid1(VALU_DEP_1)
	s_cmp_lg_u32 s12, 0
	s_waitcnt lgkmcnt(0)
	v_cndmask_b32_e64 v37, v37, v38, s8
	v_cndmask_b32_e64 v37, v37, 0, s7
	s_delay_alu instid0(VALU_DEP_1) | instskip(NEXT) | instid1(VALU_DEP_1)
	v_add_nc_u32_e32 v33, v37, v33
	v_add_nc_u32_e32 v32, v33, v32
	s_delay_alu instid0(VALU_DEP_1) | instskip(NEXT) | instid1(VALU_DEP_1)
	v_add_nc_u32_e32 v31, v32, v31
	v_add_nc_u32_e32 v30, v31, v30
	;; [unrolled: 3-line block ×5, first 2 shown]
	s_delay_alu instid0(VALU_DEP_1)
	v_add_nc_u32_e32 v23, v24, v23
	s_cbranch_scc0 .LBB58_8
.LBB58_2:                               ; =>This Inner Loop Header: Depth=1
	s_waitcnt vmcnt(0)
	s_delay_alu instid0(VALU_DEP_1) | instskip(NEXT) | instid1(VALU_DEP_1)
	v_add3_u32 v37, v24, v23, v25
	v_add3_u32 v37, v37, v26, v27
	s_delay_alu instid0(VALU_DEP_1) | instskip(NEXT) | instid1(VALU_DEP_1)
	v_add3_u32 v37, v37, v28, v29
	v_add3_u32 v37, v37, v30, v31
	s_delay_alu instid0(VALU_DEP_1) | instskip(NEXT) | instid1(VALU_DEP_1)
	v_add3_u32 v37, v37, v32, v33
	v_mov_b32_dpp v38, v37 row_shr:1 row_mask:0xf bank_mask:0xf
	s_delay_alu instid0(VALU_DEP_1) | instskip(NEXT) | instid1(VALU_DEP_1)
	v_cndmask_b32_e64 v38, v38, 0, vcc_lo
	v_add_nc_u32_e32 v37, v37, v38
	s_delay_alu instid0(VALU_DEP_1) | instskip(NEXT) | instid1(VALU_DEP_1)
	v_mov_b32_dpp v38, v37 row_shr:2 row_mask:0xf bank_mask:0xf
	v_cndmask_b32_e64 v38, 0, v38, s0
	s_delay_alu instid0(VALU_DEP_1) | instskip(NEXT) | instid1(VALU_DEP_1)
	v_add_nc_u32_e32 v37, v37, v38
	v_mov_b32_dpp v38, v37 row_shr:4 row_mask:0xf bank_mask:0xf
	s_delay_alu instid0(VALU_DEP_1) | instskip(NEXT) | instid1(VALU_DEP_1)
	v_cndmask_b32_e64 v38, 0, v38, s1
	v_add_nc_u32_e32 v37, v37, v38
	s_delay_alu instid0(VALU_DEP_1) | instskip(NEXT) | instid1(VALU_DEP_1)
	v_mov_b32_dpp v38, v37 row_shr:8 row_mask:0xf bank_mask:0xf
	v_cndmask_b32_e64 v38, 0, v38, s2
	s_delay_alu instid0(VALU_DEP_1) | instskip(SKIP_3) | instid1(VALU_DEP_1)
	v_add_nc_u32_e32 v37, v37, v38
	ds_swizzle_b32 v38, v37 offset:swizzle(BROADCAST,32,15)
	s_waitcnt lgkmcnt(0)
	v_cndmask_b32_e64 v38, v38, 0, s3
	v_add_nc_u32_e32 v37, v37, v38
	s_and_saveexec_b32 s13, s4
	s_cbranch_execz .LBB58_4
; %bb.3:                                ;   in Loop: Header=BB58_2 Depth=1
	ds_store_b32 v35, v37
.LBB58_4:                               ;   in Loop: Header=BB58_2 Depth=1
	s_or_b32 exec_lo, exec_lo, s13
	s_waitcnt lgkmcnt(0)
	s_barrier
	buffer_gl0_inv
	s_and_saveexec_b32 s13, s5
	s_cbranch_execz .LBB58_6
; %bb.5:                                ;   in Loop: Header=BB58_2 Depth=1
	ds_load_b32 v38, v0
	s_waitcnt lgkmcnt(0)
	v_mov_b32_dpp v39, v38 row_shr:1 row_mask:0xf bank_mask:0xf
	s_delay_alu instid0(VALU_DEP_1) | instskip(NEXT) | instid1(VALU_DEP_1)
	v_cndmask_b32_e64 v39, v39, 0, s9
	v_add_nc_u32_e32 v38, v39, v38
	ds_store_b32 v0, v38
.LBB58_6:                               ;   in Loop: Header=BB58_2 Depth=1
	s_or_b32 exec_lo, exec_lo, s13
	s_waitcnt lgkmcnt(0)
	s_barrier
	buffer_gl0_inv
                                        ; implicit-def: $vgpr38
	s_and_saveexec_b32 s13, s6
	s_cbranch_execz .LBB58_1
; %bb.7:                                ;   in Loop: Header=BB58_2 Depth=1
	ds_load_b32 v38, v36
	s_waitcnt lgkmcnt(0)
	v_add_nc_u32_e32 v37, v38, v37
	s_branch .LBB58_1
.LBB58_8:
	v_add_co_u32 v15, vcc_lo, s10, v15
	v_add_co_ci_u32_e32 v16, vcc_lo, s11, v16, vcc_lo
	v_add_co_u32 v17, vcc_lo, s10, v17
	v_add_co_ci_u32_e32 v18, vcc_lo, s11, v18, vcc_lo
	;; [unrolled: 2-line block ×11, first 2 shown]
	s_clause 0xa
	global_store_b32 v[15:16], v33, off
	global_store_b32 v[17:18], v32, off
	;; [unrolled: 1-line block ×11, first 2 shown]
	s_nop 0
	s_sendmsg sendmsg(MSG_DEALLOC_VGPRS)
	s_endpgm
	.section	.rodata,"a",@progbits
	.p2align	6, 0x0
	.amdhsa_kernel _Z6kernelI14inclusive_scanILN6hipcub18BlockScanAlgorithmE0EEiLj64ELj11ELj100EEvPKT0_PS4_S4_
		.amdhsa_group_segment_fixed_size 8
		.amdhsa_private_segment_fixed_size 0
		.amdhsa_kernarg_size 280
		.amdhsa_user_sgpr_count 15
		.amdhsa_user_sgpr_dispatch_ptr 0
		.amdhsa_user_sgpr_queue_ptr 0
		.amdhsa_user_sgpr_kernarg_segment_ptr 1
		.amdhsa_user_sgpr_dispatch_id 0
		.amdhsa_user_sgpr_private_segment_size 0
		.amdhsa_wavefront_size32 1
		.amdhsa_uses_dynamic_stack 0
		.amdhsa_enable_private_segment 0
		.amdhsa_system_sgpr_workgroup_id_x 1
		.amdhsa_system_sgpr_workgroup_id_y 0
		.amdhsa_system_sgpr_workgroup_id_z 0
		.amdhsa_system_sgpr_workgroup_info 0
		.amdhsa_system_vgpr_workitem_id 0
		.amdhsa_next_free_vgpr 48
		.amdhsa_next_free_sgpr 16
		.amdhsa_reserve_vcc 1
		.amdhsa_float_round_mode_32 0
		.amdhsa_float_round_mode_16_64 0
		.amdhsa_float_denorm_mode_32 3
		.amdhsa_float_denorm_mode_16_64 3
		.amdhsa_dx10_clamp 1
		.amdhsa_ieee_mode 1
		.amdhsa_fp16_overflow 0
		.amdhsa_workgroup_processor_mode 1
		.amdhsa_memory_ordered 1
		.amdhsa_forward_progress 0
		.amdhsa_shared_vgpr_count 0
		.amdhsa_exception_fp_ieee_invalid_op 0
		.amdhsa_exception_fp_denorm_src 0
		.amdhsa_exception_fp_ieee_div_zero 0
		.amdhsa_exception_fp_ieee_overflow 0
		.amdhsa_exception_fp_ieee_underflow 0
		.amdhsa_exception_fp_ieee_inexact 0
		.amdhsa_exception_int_div_zero 0
	.end_amdhsa_kernel
	.section	.text._Z6kernelI14inclusive_scanILN6hipcub18BlockScanAlgorithmE0EEiLj64ELj11ELj100EEvPKT0_PS4_S4_,"axG",@progbits,_Z6kernelI14inclusive_scanILN6hipcub18BlockScanAlgorithmE0EEiLj64ELj11ELj100EEvPKT0_PS4_S4_,comdat
.Lfunc_end58:
	.size	_Z6kernelI14inclusive_scanILN6hipcub18BlockScanAlgorithmE0EEiLj64ELj11ELj100EEvPKT0_PS4_S4_, .Lfunc_end58-_Z6kernelI14inclusive_scanILN6hipcub18BlockScanAlgorithmE0EEiLj64ELj11ELj100EEvPKT0_PS4_S4_
                                        ; -- End function
	.section	.AMDGPU.csdata,"",@progbits
; Kernel info:
; codeLenInByte = 1284
; NumSgprs: 18
; NumVgprs: 48
; ScratchSize: 0
; MemoryBound: 0
; FloatMode: 240
; IeeeMode: 1
; LDSByteSize: 8 bytes/workgroup (compile time only)
; SGPRBlocks: 2
; VGPRBlocks: 5
; NumSGPRsForWavesPerEU: 18
; NumVGPRsForWavesPerEU: 48
; Occupancy: 16
; WaveLimiterHint : 0
; COMPUTE_PGM_RSRC2:SCRATCH_EN: 0
; COMPUTE_PGM_RSRC2:USER_SGPR: 15
; COMPUTE_PGM_RSRC2:TRAP_HANDLER: 0
; COMPUTE_PGM_RSRC2:TGID_X_EN: 1
; COMPUTE_PGM_RSRC2:TGID_Y_EN: 0
; COMPUTE_PGM_RSRC2:TGID_Z_EN: 0
; COMPUTE_PGM_RSRC2:TIDIG_COMP_CNT: 0
	.section	.text._Z6kernelI14inclusive_scanILN6hipcub18BlockScanAlgorithmE0EEiLj64ELj16ELj100EEvPKT0_PS4_S4_,"axG",@progbits,_Z6kernelI14inclusive_scanILN6hipcub18BlockScanAlgorithmE0EEiLj64ELj16ELj100EEvPKT0_PS4_S4_,comdat
	.protected	_Z6kernelI14inclusive_scanILN6hipcub18BlockScanAlgorithmE0EEiLj64ELj16ELj100EEvPKT0_PS4_S4_ ; -- Begin function _Z6kernelI14inclusive_scanILN6hipcub18BlockScanAlgorithmE0EEiLj64ELj16ELj100EEvPKT0_PS4_S4_
	.globl	_Z6kernelI14inclusive_scanILN6hipcub18BlockScanAlgorithmE0EEiLj64ELj16ELj100EEvPKT0_PS4_S4_
	.p2align	8
	.type	_Z6kernelI14inclusive_scanILN6hipcub18BlockScanAlgorithmE0EEiLj64ELj16ELj100EEvPKT0_PS4_S4_,@function
_Z6kernelI14inclusive_scanILN6hipcub18BlockScanAlgorithmE0EEiLj64ELj16ELj100EEvPKT0_PS4_S4_: ; @_Z6kernelI14inclusive_scanILN6hipcub18BlockScanAlgorithmE0EEiLj64ELj16ELj100EEvPKT0_PS4_S4_
; %bb.0:
	s_clause 0x1
	s_load_b32 s2, s[0:1], 0x24
	s_load_b128 s[8:11], s[0:1], 0x0
	v_mbcnt_lo_u32_b32 v21, -1, 0
	v_mov_b32_e32 v2, 0
	v_or_b32_e32 v23, 31, v0
	v_cmp_gt_u32_e64 s5, 2, v0
	v_cmp_lt_u32_e64 s6, 31, v0
	v_and_b32_e32 v19, 15, v21
	v_and_b32_e32 v20, 16, v21
	v_add_nc_u32_e32 v22, -1, v21
	v_cmp_eq_u32_e64 s7, 0, v0
	s_movk_i32 s12, 0x64
	v_cmp_lt_u32_e64 s1, 3, v19
	v_cmp_eq_u32_e64 s3, 0, v20
	v_cmp_gt_i32_e64 s4, 0, v22
	v_lshrrev_b32_e32 v20, 3, v0
	s_delay_alu instid0(VALU_DEP_1)
	v_and_b32_e32 v20, 4, v20
	s_waitcnt lgkmcnt(0)
	s_and_b32 s0, s2, 0xffff
	v_cmp_lt_u32_e64 s2, 7, v19
	s_mul_i32 s15, s15, s0
	v_cmp_lt_u32_e64 s0, 1, v19
	v_add_lshl_u32 v1, s15, v0, 4
	s_delay_alu instid0(VALU_DEP_1) | instskip(NEXT) | instid1(VALU_DEP_1)
	v_lshlrev_b64 v[17:18], 2, v[1:2]
	v_add_co_u32 v1, vcc_lo, s8, v17
	s_delay_alu instid0(VALU_DEP_2)
	v_add_co_ci_u32_e32 v2, vcc_lo, s9, v18, vcc_lo
	v_cmp_eq_u32_e32 vcc_lo, 0, v19
	v_cndmask_b32_e64 v19, v22, v21, s4
	s_clause 0x3
	global_load_b128 v[13:16], v[1:2], off
	global_load_b128 v[9:12], v[1:2], off offset:16
	global_load_b128 v[5:8], v[1:2], off offset:32
	global_load_b128 v[1:4], v[1:2], off offset:48
	v_and_b32_e32 v22, 1, v21
	v_cmp_eq_u32_e64 s4, v23, v0
	v_lshlrev_b32_e32 v19, 2, v19
	v_cmp_eq_u32_e64 s8, 0, v21
	v_lshlrev_b32_e32 v0, 2, v0
	v_cmp_eq_u32_e64 s9, 0, v22
	v_add_nc_u32_e32 v21, -4, v20
	s_branch .LBB59_2
.LBB59_1:                               ;   in Loop: Header=BB59_2 Depth=1
	s_or_b32 exec_lo, exec_lo, s13
	ds_bpermute_b32 v22, v19, v22
	s_add_i32 s12, s12, -1
	s_delay_alu instid0(SALU_CYCLE_1) | instskip(SKIP_2) | instid1(VALU_DEP_1)
	s_cmp_lg_u32 s12, 0
	s_waitcnt lgkmcnt(0)
	v_cndmask_b32_e64 v22, v22, v23, s8
	v_cndmask_b32_e64 v22, v22, 0, s7
	s_delay_alu instid0(VALU_DEP_1) | instskip(NEXT) | instid1(VALU_DEP_1)
	v_add_nc_u32_e32 v13, v22, v13
	v_add_nc_u32_e32 v14, v13, v14
	s_delay_alu instid0(VALU_DEP_1) | instskip(NEXT) | instid1(VALU_DEP_1)
	v_add_nc_u32_e32 v15, v14, v15
	v_add_nc_u32_e32 v16, v15, v16
	;; [unrolled: 3-line block ×8, first 2 shown]
	s_cbranch_scc0 .LBB59_8
.LBB59_2:                               ; =>This Inner Loop Header: Depth=1
	s_waitcnt vmcnt(0)
	s_delay_alu instid0(VALU_DEP_1) | instskip(NEXT) | instid1(VALU_DEP_1)
	v_add_nc_u32_e32 v22, v3, v4
	v_add3_u32 v22, v22, v2, v1
	s_delay_alu instid0(VALU_DEP_1) | instskip(NEXT) | instid1(VALU_DEP_1)
	v_add3_u32 v22, v22, v8, v7
	v_add3_u32 v22, v22, v6, v5
	s_delay_alu instid0(VALU_DEP_1) | instskip(NEXT) | instid1(VALU_DEP_1)
	v_add3_u32 v22, v22, v12, v11
	;; [unrolled: 3-line block ×3, first 2 shown]
	v_add3_u32 v22, v22, v14, v13
	s_delay_alu instid0(VALU_DEP_1) | instskip(NEXT) | instid1(VALU_DEP_1)
	v_mov_b32_dpp v23, v22 row_shr:1 row_mask:0xf bank_mask:0xf
	v_cndmask_b32_e64 v23, v23, 0, vcc_lo
	s_delay_alu instid0(VALU_DEP_1) | instskip(NEXT) | instid1(VALU_DEP_1)
	v_add_nc_u32_e32 v22, v22, v23
	v_mov_b32_dpp v23, v22 row_shr:2 row_mask:0xf bank_mask:0xf
	s_delay_alu instid0(VALU_DEP_1) | instskip(NEXT) | instid1(VALU_DEP_1)
	v_cndmask_b32_e64 v23, 0, v23, s0
	v_add_nc_u32_e32 v22, v22, v23
	s_delay_alu instid0(VALU_DEP_1) | instskip(NEXT) | instid1(VALU_DEP_1)
	v_mov_b32_dpp v23, v22 row_shr:4 row_mask:0xf bank_mask:0xf
	v_cndmask_b32_e64 v23, 0, v23, s1
	s_delay_alu instid0(VALU_DEP_1) | instskip(NEXT) | instid1(VALU_DEP_1)
	v_add_nc_u32_e32 v22, v22, v23
	v_mov_b32_dpp v23, v22 row_shr:8 row_mask:0xf bank_mask:0xf
	s_delay_alu instid0(VALU_DEP_1) | instskip(NEXT) | instid1(VALU_DEP_1)
	v_cndmask_b32_e64 v23, 0, v23, s2
	v_add_nc_u32_e32 v22, v22, v23
	ds_swizzle_b32 v23, v22 offset:swizzle(BROADCAST,32,15)
	s_waitcnt lgkmcnt(0)
	v_cndmask_b32_e64 v23, v23, 0, s3
	s_delay_alu instid0(VALU_DEP_1)
	v_add_nc_u32_e32 v22, v22, v23
	s_and_saveexec_b32 s13, s4
	s_cbranch_execz .LBB59_4
; %bb.3:                                ;   in Loop: Header=BB59_2 Depth=1
	ds_store_b32 v20, v22
.LBB59_4:                               ;   in Loop: Header=BB59_2 Depth=1
	s_or_b32 exec_lo, exec_lo, s13
	s_waitcnt lgkmcnt(0)
	s_barrier
	buffer_gl0_inv
	s_and_saveexec_b32 s13, s5
	s_cbranch_execz .LBB59_6
; %bb.5:                                ;   in Loop: Header=BB59_2 Depth=1
	ds_load_b32 v23, v0
	s_waitcnt lgkmcnt(0)
	v_mov_b32_dpp v24, v23 row_shr:1 row_mask:0xf bank_mask:0xf
	s_delay_alu instid0(VALU_DEP_1) | instskip(NEXT) | instid1(VALU_DEP_1)
	v_cndmask_b32_e64 v24, v24, 0, s9
	v_add_nc_u32_e32 v23, v24, v23
	ds_store_b32 v0, v23
.LBB59_6:                               ;   in Loop: Header=BB59_2 Depth=1
	s_or_b32 exec_lo, exec_lo, s13
	s_waitcnt lgkmcnt(0)
	s_barrier
	buffer_gl0_inv
                                        ; implicit-def: $vgpr23
	s_and_saveexec_b32 s13, s6
	s_cbranch_execz .LBB59_1
; %bb.7:                                ;   in Loop: Header=BB59_2 Depth=1
	ds_load_b32 v23, v21
	s_waitcnt lgkmcnt(0)
	v_add_nc_u32_e32 v22, v23, v22
	s_branch .LBB59_1
.LBB59_8:
	v_add_co_u32 v17, vcc_lo, s10, v17
	v_add_co_ci_u32_e32 v18, vcc_lo, s11, v18, vcc_lo
	s_clause 0x3
	global_store_b128 v[17:18], v[13:16], off
	global_store_b128 v[17:18], v[9:12], off offset:16
	global_store_b128 v[17:18], v[5:8], off offset:32
	;; [unrolled: 1-line block ×3, first 2 shown]
	s_nop 0
	s_sendmsg sendmsg(MSG_DEALLOC_VGPRS)
	s_endpgm
	.section	.rodata,"a",@progbits
	.p2align	6, 0x0
	.amdhsa_kernel _Z6kernelI14inclusive_scanILN6hipcub18BlockScanAlgorithmE0EEiLj64ELj16ELj100EEvPKT0_PS4_S4_
		.amdhsa_group_segment_fixed_size 8
		.amdhsa_private_segment_fixed_size 0
		.amdhsa_kernarg_size 280
		.amdhsa_user_sgpr_count 15
		.amdhsa_user_sgpr_dispatch_ptr 0
		.amdhsa_user_sgpr_queue_ptr 0
		.amdhsa_user_sgpr_kernarg_segment_ptr 1
		.amdhsa_user_sgpr_dispatch_id 0
		.amdhsa_user_sgpr_private_segment_size 0
		.amdhsa_wavefront_size32 1
		.amdhsa_uses_dynamic_stack 0
		.amdhsa_enable_private_segment 0
		.amdhsa_system_sgpr_workgroup_id_x 1
		.amdhsa_system_sgpr_workgroup_id_y 0
		.amdhsa_system_sgpr_workgroup_id_z 0
		.amdhsa_system_sgpr_workgroup_info 0
		.amdhsa_system_vgpr_workitem_id 0
		.amdhsa_next_free_vgpr 25
		.amdhsa_next_free_sgpr 16
		.amdhsa_reserve_vcc 1
		.amdhsa_float_round_mode_32 0
		.amdhsa_float_round_mode_16_64 0
		.amdhsa_float_denorm_mode_32 3
		.amdhsa_float_denorm_mode_16_64 3
		.amdhsa_dx10_clamp 1
		.amdhsa_ieee_mode 1
		.amdhsa_fp16_overflow 0
		.amdhsa_workgroup_processor_mode 1
		.amdhsa_memory_ordered 1
		.amdhsa_forward_progress 0
		.amdhsa_shared_vgpr_count 0
		.amdhsa_exception_fp_ieee_invalid_op 0
		.amdhsa_exception_fp_denorm_src 0
		.amdhsa_exception_fp_ieee_div_zero 0
		.amdhsa_exception_fp_ieee_overflow 0
		.amdhsa_exception_fp_ieee_underflow 0
		.amdhsa_exception_fp_ieee_inexact 0
		.amdhsa_exception_int_div_zero 0
	.end_amdhsa_kernel
	.section	.text._Z6kernelI14inclusive_scanILN6hipcub18BlockScanAlgorithmE0EEiLj64ELj16ELj100EEvPKT0_PS4_S4_,"axG",@progbits,_Z6kernelI14inclusive_scanILN6hipcub18BlockScanAlgorithmE0EEiLj64ELj16ELj100EEvPKT0_PS4_S4_,comdat
.Lfunc_end59:
	.size	_Z6kernelI14inclusive_scanILN6hipcub18BlockScanAlgorithmE0EEiLj64ELj16ELj100EEvPKT0_PS4_S4_, .Lfunc_end59-_Z6kernelI14inclusive_scanILN6hipcub18BlockScanAlgorithmE0EEiLj64ELj16ELj100EEvPKT0_PS4_S4_
                                        ; -- End function
	.section	.AMDGPU.csdata,"",@progbits
; Kernel info:
; codeLenInByte = 824
; NumSgprs: 18
; NumVgprs: 25
; ScratchSize: 0
; MemoryBound: 0
; FloatMode: 240
; IeeeMode: 1
; LDSByteSize: 8 bytes/workgroup (compile time only)
; SGPRBlocks: 2
; VGPRBlocks: 3
; NumSGPRsForWavesPerEU: 18
; NumVGPRsForWavesPerEU: 25
; Occupancy: 16
; WaveLimiterHint : 0
; COMPUTE_PGM_RSRC2:SCRATCH_EN: 0
; COMPUTE_PGM_RSRC2:USER_SGPR: 15
; COMPUTE_PGM_RSRC2:TRAP_HANDLER: 0
; COMPUTE_PGM_RSRC2:TGID_X_EN: 1
; COMPUTE_PGM_RSRC2:TGID_Y_EN: 0
; COMPUTE_PGM_RSRC2:TGID_Z_EN: 0
; COMPUTE_PGM_RSRC2:TIDIG_COMP_CNT: 0
	.section	.text._Z6kernelI14inclusive_scanILN6hipcub18BlockScanAlgorithmE0EEfLj64ELj1ELj100EEvPKT0_PS4_S4_,"axG",@progbits,_Z6kernelI14inclusive_scanILN6hipcub18BlockScanAlgorithmE0EEfLj64ELj1ELj100EEvPKT0_PS4_S4_,comdat
	.protected	_Z6kernelI14inclusive_scanILN6hipcub18BlockScanAlgorithmE0EEfLj64ELj1ELj100EEvPKT0_PS4_S4_ ; -- Begin function _Z6kernelI14inclusive_scanILN6hipcub18BlockScanAlgorithmE0EEfLj64ELj1ELj100EEvPKT0_PS4_S4_
	.globl	_Z6kernelI14inclusive_scanILN6hipcub18BlockScanAlgorithmE0EEfLj64ELj1ELj100EEvPKT0_PS4_S4_
	.p2align	8
	.type	_Z6kernelI14inclusive_scanILN6hipcub18BlockScanAlgorithmE0EEfLj64ELj1ELj100EEvPKT0_PS4_S4_,@function
_Z6kernelI14inclusive_scanILN6hipcub18BlockScanAlgorithmE0EEfLj64ELj1ELj100EEvPKT0_PS4_S4_: ; @_Z6kernelI14inclusive_scanILN6hipcub18BlockScanAlgorithmE0EEfLj64ELj1ELj100EEvPKT0_PS4_S4_
; %bb.0:
	s_clause 0x1
	s_load_b32 s2, s[0:1], 0x24
	s_load_b128 s[8:11], s[0:1], 0x0
	v_lshrrev_b32_e32 v8, 3, v0
	v_or_b32_e32 v7, 31, v0
	v_cmp_gt_u32_e64 s5, 2, v0
	v_cmp_lt_u32_e64 s6, 31, v0
	s_delay_alu instid0(VALU_DEP_3) | instskip(SKIP_2) | instid1(SALU_CYCLE_1)
	v_cmp_eq_u32_e64 s4, v7, v0
	s_waitcnt lgkmcnt(0)
	s_and_b32 s0, s2, 0xffff
	v_mad_u64_u32 v[1:2], null, s15, s0, v[0:1]
	v_mov_b32_e32 v2, 0
	v_lshlrev_b32_e32 v0, 2, v0
	s_delay_alu instid0(VALU_DEP_2) | instskip(NEXT) | instid1(VALU_DEP_1)
	v_lshlrev_b64 v[1:2], 2, v[1:2]
	v_add_co_u32 v3, vcc_lo, s8, v1
	s_delay_alu instid0(VALU_DEP_2) | instskip(SKIP_3) | instid1(VALU_DEP_1)
	v_add_co_ci_u32_e32 v4, vcc_lo, s9, v2, vcc_lo
	s_movk_i32 s8, 0x64
	global_load_b32 v3, v[3:4], off
	v_mbcnt_lo_u32_b32 v4, -1, 0
	v_and_b32_e32 v5, 15, v4
	v_and_b32_e32 v6, 16, v4
	s_delay_alu instid0(VALU_DEP_2)
	v_cmp_eq_u32_e32 vcc_lo, 0, v5
	v_cmp_lt_u32_e64 s0, 1, v5
	v_cmp_lt_u32_e64 s1, 3, v5
	v_cmp_lt_u32_e64 s2, 7, v5
	v_and_b32_e32 v5, 1, v4
	v_and_b32_e32 v4, 4, v8
	v_cmp_eq_u32_e64 s3, 0, v6
	s_delay_alu instid0(VALU_DEP_3) | instskip(NEXT) | instid1(VALU_DEP_3)
	v_cmp_eq_u32_e64 s7, 0, v5
	v_add_nc_u32_e32 v5, -4, v4
	s_branch .LBB60_2
.LBB60_1:                               ;   in Loop: Header=BB60_2 Depth=1
	s_or_b32 exec_lo, exec_lo, s9
	s_add_i32 s8, s8, -1
	s_delay_alu instid0(SALU_CYCLE_1)
	s_cmp_lg_u32 s8, 0
	s_cbranch_scc0 .LBB60_8
.LBB60_2:                               ; =>This Inner Loop Header: Depth=1
	s_waitcnt vmcnt(0)
	v_mov_b32_dpp v6, v3 row_shr:1 row_mask:0xf bank_mask:0xf
	s_delay_alu instid0(VALU_DEP_1) | instskip(NEXT) | instid1(VALU_DEP_1)
	v_add_f32_e32 v6, v3, v6
	v_cndmask_b32_e32 v3, v6, v3, vcc_lo
	s_delay_alu instid0(VALU_DEP_1) | instskip(NEXT) | instid1(VALU_DEP_1)
	v_mov_b32_dpp v6, v3 row_shr:2 row_mask:0xf bank_mask:0xf
	v_add_f32_e32 v6, v3, v6
	s_delay_alu instid0(VALU_DEP_1) | instskip(NEXT) | instid1(VALU_DEP_1)
	v_cndmask_b32_e64 v3, v3, v6, s0
	v_mov_b32_dpp v6, v3 row_shr:4 row_mask:0xf bank_mask:0xf
	s_delay_alu instid0(VALU_DEP_1) | instskip(NEXT) | instid1(VALU_DEP_1)
	v_add_f32_e32 v6, v3, v6
	v_cndmask_b32_e64 v3, v3, v6, s1
	s_delay_alu instid0(VALU_DEP_1) | instskip(NEXT) | instid1(VALU_DEP_1)
	v_mov_b32_dpp v6, v3 row_shr:8 row_mask:0xf bank_mask:0xf
	v_add_f32_e32 v6, v3, v6
	s_delay_alu instid0(VALU_DEP_1) | instskip(SKIP_3) | instid1(VALU_DEP_1)
	v_cndmask_b32_e64 v3, v3, v6, s2
	ds_swizzle_b32 v6, v3 offset:swizzle(BROADCAST,32,15)
	s_waitcnt lgkmcnt(0)
	v_add_f32_e32 v6, v3, v6
	v_cndmask_b32_e64 v3, v6, v3, s3
	s_and_saveexec_b32 s9, s4
	s_cbranch_execz .LBB60_4
; %bb.3:                                ;   in Loop: Header=BB60_2 Depth=1
	ds_store_b32 v4, v3
.LBB60_4:                               ;   in Loop: Header=BB60_2 Depth=1
	s_or_b32 exec_lo, exec_lo, s9
	s_waitcnt lgkmcnt(0)
	s_barrier
	buffer_gl0_inv
	s_and_saveexec_b32 s9, s5
	s_cbranch_execz .LBB60_6
; %bb.5:                                ;   in Loop: Header=BB60_2 Depth=1
	ds_load_b32 v6, v0
	s_waitcnt lgkmcnt(0)
	v_mov_b32_dpp v7, v6 row_shr:1 row_mask:0xf bank_mask:0xf
	s_delay_alu instid0(VALU_DEP_1) | instskip(NEXT) | instid1(VALU_DEP_1)
	v_add_f32_e32 v7, v6, v7
	v_cndmask_b32_e64 v6, v7, v6, s7
	ds_store_b32 v0, v6
.LBB60_6:                               ;   in Loop: Header=BB60_2 Depth=1
	s_or_b32 exec_lo, exec_lo, s9
	s_waitcnt lgkmcnt(0)
	s_barrier
	buffer_gl0_inv
	s_and_saveexec_b32 s9, s6
	s_cbranch_execz .LBB60_1
; %bb.7:                                ;   in Loop: Header=BB60_2 Depth=1
	ds_load_b32 v6, v5
	s_waitcnt lgkmcnt(0)
	v_add_f32_e32 v3, v3, v6
	s_branch .LBB60_1
.LBB60_8:
	v_add_co_u32 v0, vcc_lo, s10, v1
	v_add_co_ci_u32_e32 v1, vcc_lo, s11, v2, vcc_lo
	global_store_b32 v[0:1], v3, off
	s_nop 0
	s_sendmsg sendmsg(MSG_DEALLOC_VGPRS)
	s_endpgm
	.section	.rodata,"a",@progbits
	.p2align	6, 0x0
	.amdhsa_kernel _Z6kernelI14inclusive_scanILN6hipcub18BlockScanAlgorithmE0EEfLj64ELj1ELj100EEvPKT0_PS4_S4_
		.amdhsa_group_segment_fixed_size 8
		.amdhsa_private_segment_fixed_size 0
		.amdhsa_kernarg_size 280
		.amdhsa_user_sgpr_count 15
		.amdhsa_user_sgpr_dispatch_ptr 0
		.amdhsa_user_sgpr_queue_ptr 0
		.amdhsa_user_sgpr_kernarg_segment_ptr 1
		.amdhsa_user_sgpr_dispatch_id 0
		.amdhsa_user_sgpr_private_segment_size 0
		.amdhsa_wavefront_size32 1
		.amdhsa_uses_dynamic_stack 0
		.amdhsa_enable_private_segment 0
		.amdhsa_system_sgpr_workgroup_id_x 1
		.amdhsa_system_sgpr_workgroup_id_y 0
		.amdhsa_system_sgpr_workgroup_id_z 0
		.amdhsa_system_sgpr_workgroup_info 0
		.amdhsa_system_vgpr_workitem_id 0
		.amdhsa_next_free_vgpr 9
		.amdhsa_next_free_sgpr 16
		.amdhsa_reserve_vcc 1
		.amdhsa_float_round_mode_32 0
		.amdhsa_float_round_mode_16_64 0
		.amdhsa_float_denorm_mode_32 3
		.amdhsa_float_denorm_mode_16_64 3
		.amdhsa_dx10_clamp 1
		.amdhsa_ieee_mode 1
		.amdhsa_fp16_overflow 0
		.amdhsa_workgroup_processor_mode 1
		.amdhsa_memory_ordered 1
		.amdhsa_forward_progress 0
		.amdhsa_shared_vgpr_count 0
		.amdhsa_exception_fp_ieee_invalid_op 0
		.amdhsa_exception_fp_denorm_src 0
		.amdhsa_exception_fp_ieee_div_zero 0
		.amdhsa_exception_fp_ieee_overflow 0
		.amdhsa_exception_fp_ieee_underflow 0
		.amdhsa_exception_fp_ieee_inexact 0
		.amdhsa_exception_int_div_zero 0
	.end_amdhsa_kernel
	.section	.text._Z6kernelI14inclusive_scanILN6hipcub18BlockScanAlgorithmE0EEfLj64ELj1ELj100EEvPKT0_PS4_S4_,"axG",@progbits,_Z6kernelI14inclusive_scanILN6hipcub18BlockScanAlgorithmE0EEfLj64ELj1ELj100EEvPKT0_PS4_S4_,comdat
.Lfunc_end60:
	.size	_Z6kernelI14inclusive_scanILN6hipcub18BlockScanAlgorithmE0EEfLj64ELj1ELj100EEvPKT0_PS4_S4_, .Lfunc_end60-_Z6kernelI14inclusive_scanILN6hipcub18BlockScanAlgorithmE0EEfLj64ELj1ELj100EEvPKT0_PS4_S4_
                                        ; -- End function
	.section	.AMDGPU.csdata,"",@progbits
; Kernel info:
; codeLenInByte = 524
; NumSgprs: 18
; NumVgprs: 9
; ScratchSize: 0
; MemoryBound: 0
; FloatMode: 240
; IeeeMode: 1
; LDSByteSize: 8 bytes/workgroup (compile time only)
; SGPRBlocks: 2
; VGPRBlocks: 1
; NumSGPRsForWavesPerEU: 18
; NumVGPRsForWavesPerEU: 9
; Occupancy: 16
; WaveLimiterHint : 0
; COMPUTE_PGM_RSRC2:SCRATCH_EN: 0
; COMPUTE_PGM_RSRC2:USER_SGPR: 15
; COMPUTE_PGM_RSRC2:TRAP_HANDLER: 0
; COMPUTE_PGM_RSRC2:TGID_X_EN: 1
; COMPUTE_PGM_RSRC2:TGID_Y_EN: 0
; COMPUTE_PGM_RSRC2:TGID_Z_EN: 0
; COMPUTE_PGM_RSRC2:TIDIG_COMP_CNT: 0
	.section	.text._Z6kernelI14inclusive_scanILN6hipcub18BlockScanAlgorithmE0EEfLj64ELj3ELj100EEvPKT0_PS4_S4_,"axG",@progbits,_Z6kernelI14inclusive_scanILN6hipcub18BlockScanAlgorithmE0EEfLj64ELj3ELj100EEvPKT0_PS4_S4_,comdat
	.protected	_Z6kernelI14inclusive_scanILN6hipcub18BlockScanAlgorithmE0EEfLj64ELj3ELj100EEvPKT0_PS4_S4_ ; -- Begin function _Z6kernelI14inclusive_scanILN6hipcub18BlockScanAlgorithmE0EEfLj64ELj3ELj100EEvPKT0_PS4_S4_
	.globl	_Z6kernelI14inclusive_scanILN6hipcub18BlockScanAlgorithmE0EEfLj64ELj3ELj100EEvPKT0_PS4_S4_
	.p2align	8
	.type	_Z6kernelI14inclusive_scanILN6hipcub18BlockScanAlgorithmE0EEfLj64ELj3ELj100EEvPKT0_PS4_S4_,@function
_Z6kernelI14inclusive_scanILN6hipcub18BlockScanAlgorithmE0EEfLj64ELj3ELj100EEvPKT0_PS4_S4_: ; @_Z6kernelI14inclusive_scanILN6hipcub18BlockScanAlgorithmE0EEfLj64ELj3ELj100EEvPKT0_PS4_S4_
; %bb.0:
	s_clause 0x1
	s_load_b32 s2, s[0:1], 0x24
	s_load_b128 s[8:11], s[0:1], 0x0
	v_or_b32_e32 v14, 31, v0
	v_cmp_gt_u32_e64 s5, 2, v0
	v_cmp_lt_u32_e64 s6, 31, v0
	v_cmp_eq_u32_e64 s7, 0, v0
	s_movk_i32 s12, 0x64
	s_waitcnt lgkmcnt(0)
	s_and_b32 s2, s2, 0xffff
	s_delay_alu instid0(SALU_CYCLE_1) | instskip(NEXT) | instid1(VALU_DEP_1)
	v_mad_u64_u32 v[1:2], null, s15, s2, v[0:1]
	v_lshl_add_u32 v3, v1, 1, v1
	s_delay_alu instid0(VALU_DEP_1) | instskip(NEXT) | instid1(VALU_DEP_1)
	v_dual_mov_b32 v4, 0 :: v_dual_add_nc_u32 v5, 1, v3
	v_mov_b32_e32 v6, v4
	v_lshlrev_b64 v[1:2], 2, v[3:4]
	v_add_nc_u32_e32 v3, 2, v3
	s_delay_alu instid0(VALU_DEP_3) | instskip(NEXT) | instid1(VALU_DEP_2)
	v_lshlrev_b64 v[5:6], 2, v[5:6]
	v_lshlrev_b64 v[3:4], 2, v[3:4]
	s_delay_alu instid0(VALU_DEP_4) | instskip(SKIP_1) | instid1(VALU_DEP_4)
	v_add_co_u32 v7, vcc_lo, s8, v1
	v_add_co_ci_u32_e32 v8, vcc_lo, s9, v2, vcc_lo
	v_add_co_u32 v9, vcc_lo, s8, v5
	v_add_co_ci_u32_e32 v10, vcc_lo, s9, v6, vcc_lo
	v_add_co_u32 v11, vcc_lo, s8, v3
	v_add_co_ci_u32_e32 v12, vcc_lo, s9, v4, vcc_lo
	s_clause 0x2
	global_load_b32 v7, v[7:8], off
	global_load_b32 v8, v[9:10], off
	;; [unrolled: 1-line block ×3, first 2 shown]
	v_mbcnt_lo_u32_b32 v12, -1, 0
	s_delay_alu instid0(VALU_DEP_1) | instskip(SKIP_3) | instid1(VALU_DEP_4)
	v_and_b32_e32 v11, 16, v12
	v_add_nc_u32_e32 v13, -1, v12
	v_and_b32_e32 v10, 15, v12
	v_cmp_eq_u32_e64 s8, 0, v12
	v_cmp_eq_u32_e64 s3, 0, v11
	s_delay_alu instid0(VALU_DEP_4)
	v_cmp_gt_i32_e64 s4, 0, v13
	v_lshrrev_b32_e32 v11, 3, v0
	v_cmp_eq_u32_e32 vcc_lo, 0, v10
	v_cmp_lt_u32_e64 s0, 1, v10
	v_cmp_lt_u32_e64 s1, 3, v10
	;; [unrolled: 1-line block ×3, first 2 shown]
	v_cndmask_b32_e64 v10, v13, v12, s4
	v_and_b32_e32 v13, 1, v12
	v_and_b32_e32 v11, 4, v11
	v_cmp_eq_u32_e64 s4, v14, v0
	v_lshlrev_b32_e32 v0, 2, v0
	v_lshlrev_b32_e32 v10, 2, v10
	v_cmp_eq_u32_e64 s9, 0, v13
	v_add_nc_u32_e32 v12, -4, v11
	s_branch .LBB61_2
.LBB61_1:                               ;   in Loop: Header=BB61_2 Depth=1
	s_or_b32 exec_lo, exec_lo, s13
	ds_bpermute_b32 v13, v10, v13
	s_add_i32 s12, s12, -1
	s_delay_alu instid0(SALU_CYCLE_1) | instskip(SKIP_2) | instid1(VALU_DEP_1)
	s_cmp_lg_u32 s12, 0
	s_waitcnt lgkmcnt(0)
	v_cndmask_b32_e64 v13, v13, v14, s8
	v_add_f32_e32 v13, v7, v13
	s_delay_alu instid0(VALU_DEP_1) | instskip(NEXT) | instid1(VALU_DEP_1)
	v_cndmask_b32_e64 v7, v13, v7, s7
	v_add_f32_e32 v8, v8, v7
	s_delay_alu instid0(VALU_DEP_1)
	v_add_f32_e32 v9, v9, v8
	s_cbranch_scc0 .LBB61_8
.LBB61_2:                               ; =>This Inner Loop Header: Depth=1
	s_waitcnt vmcnt(1)
	v_add_f32_e32 v13, v7, v8
	s_waitcnt vmcnt(0)
	s_delay_alu instid0(VALU_DEP_1) | instskip(NEXT) | instid1(VALU_DEP_1)
	v_add_f32_e32 v13, v9, v13
	v_mov_b32_dpp v14, v13 row_shr:1 row_mask:0xf bank_mask:0xf
	s_delay_alu instid0(VALU_DEP_1) | instskip(NEXT) | instid1(VALU_DEP_1)
	v_add_f32_e32 v14, v13, v14
	v_cndmask_b32_e32 v13, v14, v13, vcc_lo
	s_delay_alu instid0(VALU_DEP_1) | instskip(NEXT) | instid1(VALU_DEP_1)
	v_mov_b32_dpp v14, v13 row_shr:2 row_mask:0xf bank_mask:0xf
	v_add_f32_e32 v14, v13, v14
	s_delay_alu instid0(VALU_DEP_1) | instskip(NEXT) | instid1(VALU_DEP_1)
	v_cndmask_b32_e64 v13, v13, v14, s0
	v_mov_b32_dpp v14, v13 row_shr:4 row_mask:0xf bank_mask:0xf
	s_delay_alu instid0(VALU_DEP_1) | instskip(NEXT) | instid1(VALU_DEP_1)
	v_add_f32_e32 v14, v13, v14
	v_cndmask_b32_e64 v13, v13, v14, s1
	s_delay_alu instid0(VALU_DEP_1) | instskip(NEXT) | instid1(VALU_DEP_1)
	v_mov_b32_dpp v14, v13 row_shr:8 row_mask:0xf bank_mask:0xf
	v_add_f32_e32 v14, v13, v14
	s_delay_alu instid0(VALU_DEP_1) | instskip(SKIP_3) | instid1(VALU_DEP_1)
	v_cndmask_b32_e64 v13, v13, v14, s2
	ds_swizzle_b32 v14, v13 offset:swizzle(BROADCAST,32,15)
	s_waitcnt lgkmcnt(0)
	v_add_f32_e32 v14, v13, v14
	v_cndmask_b32_e64 v13, v14, v13, s3
	s_and_saveexec_b32 s13, s4
	s_cbranch_execz .LBB61_4
; %bb.3:                                ;   in Loop: Header=BB61_2 Depth=1
	ds_store_b32 v11, v13
.LBB61_4:                               ;   in Loop: Header=BB61_2 Depth=1
	s_or_b32 exec_lo, exec_lo, s13
	s_waitcnt lgkmcnt(0)
	s_barrier
	buffer_gl0_inv
	s_and_saveexec_b32 s13, s5
	s_cbranch_execz .LBB61_6
; %bb.5:                                ;   in Loop: Header=BB61_2 Depth=1
	ds_load_b32 v14, v0
	s_waitcnt lgkmcnt(0)
	v_mov_b32_dpp v15, v14 row_shr:1 row_mask:0xf bank_mask:0xf
	s_delay_alu instid0(VALU_DEP_1) | instskip(NEXT) | instid1(VALU_DEP_1)
	v_add_f32_e32 v15, v14, v15
	v_cndmask_b32_e64 v14, v15, v14, s9
	ds_store_b32 v0, v14
.LBB61_6:                               ;   in Loop: Header=BB61_2 Depth=1
	s_or_b32 exec_lo, exec_lo, s13
	s_waitcnt lgkmcnt(0)
	s_barrier
	buffer_gl0_inv
                                        ; implicit-def: $vgpr14
	s_and_saveexec_b32 s13, s6
	s_cbranch_execz .LBB61_1
; %bb.7:                                ;   in Loop: Header=BB61_2 Depth=1
	ds_load_b32 v14, v12
	s_waitcnt lgkmcnt(0)
	v_add_f32_e32 v13, v13, v14
	s_branch .LBB61_1
.LBB61_8:
	v_add_co_u32 v0, vcc_lo, s10, v1
	v_add_co_ci_u32_e32 v1, vcc_lo, s11, v2, vcc_lo
	v_add_co_u32 v5, vcc_lo, s10, v5
	v_add_co_ci_u32_e32 v6, vcc_lo, s11, v6, vcc_lo
	;; [unrolled: 2-line block ×3, first 2 shown]
	s_clause 0x2
	global_store_b32 v[0:1], v7, off
	global_store_b32 v[5:6], v8, off
	;; [unrolled: 1-line block ×3, first 2 shown]
	s_nop 0
	s_sendmsg sendmsg(MSG_DEALLOC_VGPRS)
	s_endpgm
	.section	.rodata,"a",@progbits
	.p2align	6, 0x0
	.amdhsa_kernel _Z6kernelI14inclusive_scanILN6hipcub18BlockScanAlgorithmE0EEfLj64ELj3ELj100EEvPKT0_PS4_S4_
		.amdhsa_group_segment_fixed_size 8
		.amdhsa_private_segment_fixed_size 0
		.amdhsa_kernarg_size 280
		.amdhsa_user_sgpr_count 15
		.amdhsa_user_sgpr_dispatch_ptr 0
		.amdhsa_user_sgpr_queue_ptr 0
		.amdhsa_user_sgpr_kernarg_segment_ptr 1
		.amdhsa_user_sgpr_dispatch_id 0
		.amdhsa_user_sgpr_private_segment_size 0
		.amdhsa_wavefront_size32 1
		.amdhsa_uses_dynamic_stack 0
		.amdhsa_enable_private_segment 0
		.amdhsa_system_sgpr_workgroup_id_x 1
		.amdhsa_system_sgpr_workgroup_id_y 0
		.amdhsa_system_sgpr_workgroup_id_z 0
		.amdhsa_system_sgpr_workgroup_info 0
		.amdhsa_system_vgpr_workitem_id 0
		.amdhsa_next_free_vgpr 16
		.amdhsa_next_free_sgpr 16
		.amdhsa_reserve_vcc 1
		.amdhsa_float_round_mode_32 0
		.amdhsa_float_round_mode_16_64 0
		.amdhsa_float_denorm_mode_32 3
		.amdhsa_float_denorm_mode_16_64 3
		.amdhsa_dx10_clamp 1
		.amdhsa_ieee_mode 1
		.amdhsa_fp16_overflow 0
		.amdhsa_workgroup_processor_mode 1
		.amdhsa_memory_ordered 1
		.amdhsa_forward_progress 0
		.amdhsa_shared_vgpr_count 0
		.amdhsa_exception_fp_ieee_invalid_op 0
		.amdhsa_exception_fp_denorm_src 0
		.amdhsa_exception_fp_ieee_div_zero 0
		.amdhsa_exception_fp_ieee_overflow 0
		.amdhsa_exception_fp_ieee_underflow 0
		.amdhsa_exception_fp_ieee_inexact 0
		.amdhsa_exception_int_div_zero 0
	.end_amdhsa_kernel
	.section	.text._Z6kernelI14inclusive_scanILN6hipcub18BlockScanAlgorithmE0EEfLj64ELj3ELj100EEvPKT0_PS4_S4_,"axG",@progbits,_Z6kernelI14inclusive_scanILN6hipcub18BlockScanAlgorithmE0EEfLj64ELj3ELj100EEvPKT0_PS4_S4_,comdat
.Lfunc_end61:
	.size	_Z6kernelI14inclusive_scanILN6hipcub18BlockScanAlgorithmE0EEfLj64ELj3ELj100EEvPKT0_PS4_S4_, .Lfunc_end61-_Z6kernelI14inclusive_scanILN6hipcub18BlockScanAlgorithmE0EEfLj64ELj3ELj100EEvPKT0_PS4_S4_
                                        ; -- End function
	.section	.AMDGPU.csdata,"",@progbits
; Kernel info:
; codeLenInByte = 756
; NumSgprs: 18
; NumVgprs: 16
; ScratchSize: 0
; MemoryBound: 0
; FloatMode: 240
; IeeeMode: 1
; LDSByteSize: 8 bytes/workgroup (compile time only)
; SGPRBlocks: 2
; VGPRBlocks: 1
; NumSGPRsForWavesPerEU: 18
; NumVGPRsForWavesPerEU: 16
; Occupancy: 16
; WaveLimiterHint : 0
; COMPUTE_PGM_RSRC2:SCRATCH_EN: 0
; COMPUTE_PGM_RSRC2:USER_SGPR: 15
; COMPUTE_PGM_RSRC2:TRAP_HANDLER: 0
; COMPUTE_PGM_RSRC2:TGID_X_EN: 1
; COMPUTE_PGM_RSRC2:TGID_Y_EN: 0
; COMPUTE_PGM_RSRC2:TGID_Z_EN: 0
; COMPUTE_PGM_RSRC2:TIDIG_COMP_CNT: 0
	.section	.text._Z6kernelI14inclusive_scanILN6hipcub18BlockScanAlgorithmE0EEfLj64ELj4ELj100EEvPKT0_PS4_S4_,"axG",@progbits,_Z6kernelI14inclusive_scanILN6hipcub18BlockScanAlgorithmE0EEfLj64ELj4ELj100EEvPKT0_PS4_S4_,comdat
	.protected	_Z6kernelI14inclusive_scanILN6hipcub18BlockScanAlgorithmE0EEfLj64ELj4ELj100EEvPKT0_PS4_S4_ ; -- Begin function _Z6kernelI14inclusive_scanILN6hipcub18BlockScanAlgorithmE0EEfLj64ELj4ELj100EEvPKT0_PS4_S4_
	.globl	_Z6kernelI14inclusive_scanILN6hipcub18BlockScanAlgorithmE0EEfLj64ELj4ELj100EEvPKT0_PS4_S4_
	.p2align	8
	.type	_Z6kernelI14inclusive_scanILN6hipcub18BlockScanAlgorithmE0EEfLj64ELj4ELj100EEvPKT0_PS4_S4_,@function
_Z6kernelI14inclusive_scanILN6hipcub18BlockScanAlgorithmE0EEfLj64ELj4ELj100EEvPKT0_PS4_S4_: ; @_Z6kernelI14inclusive_scanILN6hipcub18BlockScanAlgorithmE0EEfLj64ELj4ELj100EEvPKT0_PS4_S4_
; %bb.0:
	s_clause 0x1
	s_load_b32 s2, s[0:1], 0x24
	s_load_b128 s[8:11], s[0:1], 0x0
	v_mbcnt_lo_u32_b32 v9, -1, 0
	v_mov_b32_e32 v2, 0
	v_or_b32_e32 v11, 31, v0
	v_cmp_gt_u32_e64 s5, 2, v0
	v_cmp_lt_u32_e64 s6, 31, v0
	v_and_b32_e32 v7, 15, v9
	v_and_b32_e32 v8, 16, v9
	v_add_nc_u32_e32 v10, -1, v9
	v_cmp_eq_u32_e64 s7, 0, v0
	s_movk_i32 s12, 0x64
	v_cmp_lt_u32_e64 s1, 3, v7
	v_cmp_eq_u32_e64 s3, 0, v8
	v_cmp_gt_i32_e64 s4, 0, v10
	v_lshrrev_b32_e32 v8, 3, v0
	s_delay_alu instid0(VALU_DEP_1)
	v_and_b32_e32 v8, 4, v8
	s_waitcnt lgkmcnt(0)
	s_and_b32 s0, s2, 0xffff
	v_cmp_lt_u32_e64 s2, 7, v7
	s_mul_i32 s15, s15, s0
	v_cmp_lt_u32_e64 s0, 1, v7
	v_add_lshl_u32 v1, s15, v0, 2
	s_delay_alu instid0(VALU_DEP_1) | instskip(NEXT) | instid1(VALU_DEP_1)
	v_lshlrev_b64 v[5:6], 2, v[1:2]
	v_add_co_u32 v1, vcc_lo, s8, v5
	s_delay_alu instid0(VALU_DEP_2)
	v_add_co_ci_u32_e32 v2, vcc_lo, s9, v6, vcc_lo
	v_cmp_eq_u32_e32 vcc_lo, 0, v7
	v_cndmask_b32_e64 v7, v10, v9, s4
	v_and_b32_e32 v10, 1, v9
	global_load_b128 v[1:4], v[1:2], off
	v_cmp_eq_u32_e64 s4, v11, v0
	v_cmp_eq_u32_e64 s8, 0, v9
	v_lshlrev_b32_e32 v7, 2, v7
	v_lshlrev_b32_e32 v0, 2, v0
	v_cmp_eq_u32_e64 s9, 0, v10
	v_add_nc_u32_e32 v9, -4, v8
	s_branch .LBB62_2
.LBB62_1:                               ;   in Loop: Header=BB62_2 Depth=1
	s_or_b32 exec_lo, exec_lo, s13
	ds_bpermute_b32 v10, v7, v10
	s_add_i32 s12, s12, -1
	s_delay_alu instid0(SALU_CYCLE_1) | instskip(SKIP_2) | instid1(VALU_DEP_1)
	s_cmp_lg_u32 s12, 0
	s_waitcnt lgkmcnt(0)
	v_cndmask_b32_e64 v10, v10, v11, s8
	v_add_f32_e32 v10, v1, v10
	s_delay_alu instid0(VALU_DEP_1) | instskip(NEXT) | instid1(VALU_DEP_1)
	v_cndmask_b32_e64 v1, v10, v1, s7
	v_add_f32_e32 v2, v2, v1
	s_delay_alu instid0(VALU_DEP_1) | instskip(NEXT) | instid1(VALU_DEP_1)
	v_add_f32_e32 v3, v3, v2
	v_add_f32_e32 v4, v4, v3
	s_cbranch_scc0 .LBB62_8
.LBB62_2:                               ; =>This Inner Loop Header: Depth=1
	s_waitcnt vmcnt(0)
	v_add_f32_e32 v10, v1, v2
	s_delay_alu instid0(VALU_DEP_1) | instskip(NEXT) | instid1(VALU_DEP_1)
	v_add_f32_e32 v10, v3, v10
	v_add_f32_e32 v10, v4, v10
	s_delay_alu instid0(VALU_DEP_1) | instskip(NEXT) | instid1(VALU_DEP_1)
	v_mov_b32_dpp v11, v10 row_shr:1 row_mask:0xf bank_mask:0xf
	v_add_f32_e32 v11, v10, v11
	s_delay_alu instid0(VALU_DEP_1) | instskip(NEXT) | instid1(VALU_DEP_1)
	v_cndmask_b32_e32 v10, v11, v10, vcc_lo
	v_mov_b32_dpp v11, v10 row_shr:2 row_mask:0xf bank_mask:0xf
	s_delay_alu instid0(VALU_DEP_1) | instskip(NEXT) | instid1(VALU_DEP_1)
	v_add_f32_e32 v11, v10, v11
	v_cndmask_b32_e64 v10, v10, v11, s0
	s_delay_alu instid0(VALU_DEP_1) | instskip(NEXT) | instid1(VALU_DEP_1)
	v_mov_b32_dpp v11, v10 row_shr:4 row_mask:0xf bank_mask:0xf
	v_add_f32_e32 v11, v10, v11
	s_delay_alu instid0(VALU_DEP_1) | instskip(NEXT) | instid1(VALU_DEP_1)
	v_cndmask_b32_e64 v10, v10, v11, s1
	v_mov_b32_dpp v11, v10 row_shr:8 row_mask:0xf bank_mask:0xf
	s_delay_alu instid0(VALU_DEP_1) | instskip(NEXT) | instid1(VALU_DEP_1)
	v_add_f32_e32 v11, v10, v11
	v_cndmask_b32_e64 v10, v10, v11, s2
	ds_swizzle_b32 v11, v10 offset:swizzle(BROADCAST,32,15)
	s_waitcnt lgkmcnt(0)
	v_add_f32_e32 v11, v10, v11
	s_delay_alu instid0(VALU_DEP_1)
	v_cndmask_b32_e64 v10, v11, v10, s3
	s_and_saveexec_b32 s13, s4
	s_cbranch_execz .LBB62_4
; %bb.3:                                ;   in Loop: Header=BB62_2 Depth=1
	ds_store_b32 v8, v10
.LBB62_4:                               ;   in Loop: Header=BB62_2 Depth=1
	s_or_b32 exec_lo, exec_lo, s13
	s_waitcnt lgkmcnt(0)
	s_barrier
	buffer_gl0_inv
	s_and_saveexec_b32 s13, s5
	s_cbranch_execz .LBB62_6
; %bb.5:                                ;   in Loop: Header=BB62_2 Depth=1
	ds_load_b32 v11, v0
	s_waitcnt lgkmcnt(0)
	v_mov_b32_dpp v12, v11 row_shr:1 row_mask:0xf bank_mask:0xf
	s_delay_alu instid0(VALU_DEP_1) | instskip(NEXT) | instid1(VALU_DEP_1)
	v_add_f32_e32 v12, v11, v12
	v_cndmask_b32_e64 v11, v12, v11, s9
	ds_store_b32 v0, v11
.LBB62_6:                               ;   in Loop: Header=BB62_2 Depth=1
	s_or_b32 exec_lo, exec_lo, s13
	s_waitcnt lgkmcnt(0)
	s_barrier
	buffer_gl0_inv
                                        ; implicit-def: $vgpr11
	s_and_saveexec_b32 s13, s6
	s_cbranch_execz .LBB62_1
; %bb.7:                                ;   in Loop: Header=BB62_2 Depth=1
	ds_load_b32 v11, v9
	s_waitcnt lgkmcnt(0)
	v_add_f32_e32 v10, v10, v11
	s_branch .LBB62_1
.LBB62_8:
	v_add_co_u32 v5, vcc_lo, s10, v5
	v_add_co_ci_u32_e32 v6, vcc_lo, s11, v6, vcc_lo
	global_store_b128 v[5:6], v[1:4], off
	s_nop 0
	s_sendmsg sendmsg(MSG_DEALLOC_VGPRS)
	s_endpgm
	.section	.rodata,"a",@progbits
	.p2align	6, 0x0
	.amdhsa_kernel _Z6kernelI14inclusive_scanILN6hipcub18BlockScanAlgorithmE0EEfLj64ELj4ELj100EEvPKT0_PS4_S4_
		.amdhsa_group_segment_fixed_size 8
		.amdhsa_private_segment_fixed_size 0
		.amdhsa_kernarg_size 280
		.amdhsa_user_sgpr_count 15
		.amdhsa_user_sgpr_dispatch_ptr 0
		.amdhsa_user_sgpr_queue_ptr 0
		.amdhsa_user_sgpr_kernarg_segment_ptr 1
		.amdhsa_user_sgpr_dispatch_id 0
		.amdhsa_user_sgpr_private_segment_size 0
		.amdhsa_wavefront_size32 1
		.amdhsa_uses_dynamic_stack 0
		.amdhsa_enable_private_segment 0
		.amdhsa_system_sgpr_workgroup_id_x 1
		.amdhsa_system_sgpr_workgroup_id_y 0
		.amdhsa_system_sgpr_workgroup_id_z 0
		.amdhsa_system_sgpr_workgroup_info 0
		.amdhsa_system_vgpr_workitem_id 0
		.amdhsa_next_free_vgpr 13
		.amdhsa_next_free_sgpr 16
		.amdhsa_reserve_vcc 1
		.amdhsa_float_round_mode_32 0
		.amdhsa_float_round_mode_16_64 0
		.amdhsa_float_denorm_mode_32 3
		.amdhsa_float_denorm_mode_16_64 3
		.amdhsa_dx10_clamp 1
		.amdhsa_ieee_mode 1
		.amdhsa_fp16_overflow 0
		.amdhsa_workgroup_processor_mode 1
		.amdhsa_memory_ordered 1
		.amdhsa_forward_progress 0
		.amdhsa_shared_vgpr_count 0
		.amdhsa_exception_fp_ieee_invalid_op 0
		.amdhsa_exception_fp_denorm_src 0
		.amdhsa_exception_fp_ieee_div_zero 0
		.amdhsa_exception_fp_ieee_overflow 0
		.amdhsa_exception_fp_ieee_underflow 0
		.amdhsa_exception_fp_ieee_inexact 0
		.amdhsa_exception_int_div_zero 0
	.end_amdhsa_kernel
	.section	.text._Z6kernelI14inclusive_scanILN6hipcub18BlockScanAlgorithmE0EEfLj64ELj4ELj100EEvPKT0_PS4_S4_,"axG",@progbits,_Z6kernelI14inclusive_scanILN6hipcub18BlockScanAlgorithmE0EEfLj64ELj4ELj100EEvPKT0_PS4_S4_,comdat
.Lfunc_end62:
	.size	_Z6kernelI14inclusive_scanILN6hipcub18BlockScanAlgorithmE0EEfLj64ELj4ELj100EEvPKT0_PS4_S4_, .Lfunc_end62-_Z6kernelI14inclusive_scanILN6hipcub18BlockScanAlgorithmE0EEfLj64ELj4ELj100EEvPKT0_PS4_S4_
                                        ; -- End function
	.section	.AMDGPU.csdata,"",@progbits
; Kernel info:
; codeLenInByte = 632
; NumSgprs: 18
; NumVgprs: 13
; ScratchSize: 0
; MemoryBound: 0
; FloatMode: 240
; IeeeMode: 1
; LDSByteSize: 8 bytes/workgroup (compile time only)
; SGPRBlocks: 2
; VGPRBlocks: 1
; NumSGPRsForWavesPerEU: 18
; NumVGPRsForWavesPerEU: 13
; Occupancy: 16
; WaveLimiterHint : 0
; COMPUTE_PGM_RSRC2:SCRATCH_EN: 0
; COMPUTE_PGM_RSRC2:USER_SGPR: 15
; COMPUTE_PGM_RSRC2:TRAP_HANDLER: 0
; COMPUTE_PGM_RSRC2:TGID_X_EN: 1
; COMPUTE_PGM_RSRC2:TGID_Y_EN: 0
; COMPUTE_PGM_RSRC2:TGID_Z_EN: 0
; COMPUTE_PGM_RSRC2:TIDIG_COMP_CNT: 0
	.section	.text._Z6kernelI14inclusive_scanILN6hipcub18BlockScanAlgorithmE0EEfLj64ELj8ELj100EEvPKT0_PS4_S4_,"axG",@progbits,_Z6kernelI14inclusive_scanILN6hipcub18BlockScanAlgorithmE0EEfLj64ELj8ELj100EEvPKT0_PS4_S4_,comdat
	.protected	_Z6kernelI14inclusive_scanILN6hipcub18BlockScanAlgorithmE0EEfLj64ELj8ELj100EEvPKT0_PS4_S4_ ; -- Begin function _Z6kernelI14inclusive_scanILN6hipcub18BlockScanAlgorithmE0EEfLj64ELj8ELj100EEvPKT0_PS4_S4_
	.globl	_Z6kernelI14inclusive_scanILN6hipcub18BlockScanAlgorithmE0EEfLj64ELj8ELj100EEvPKT0_PS4_S4_
	.p2align	8
	.type	_Z6kernelI14inclusive_scanILN6hipcub18BlockScanAlgorithmE0EEfLj64ELj8ELj100EEvPKT0_PS4_S4_,@function
_Z6kernelI14inclusive_scanILN6hipcub18BlockScanAlgorithmE0EEfLj64ELj8ELj100EEvPKT0_PS4_S4_: ; @_Z6kernelI14inclusive_scanILN6hipcub18BlockScanAlgorithmE0EEfLj64ELj8ELj100EEvPKT0_PS4_S4_
; %bb.0:
	s_clause 0x1
	s_load_b32 s2, s[0:1], 0x24
	s_load_b128 s[8:11], s[0:1], 0x0
	v_mbcnt_lo_u32_b32 v13, -1, 0
	v_mov_b32_e32 v2, 0
	v_or_b32_e32 v15, 31, v0
	v_cmp_gt_u32_e64 s5, 2, v0
	v_cmp_lt_u32_e64 s6, 31, v0
	v_and_b32_e32 v11, 15, v13
	v_and_b32_e32 v12, 16, v13
	v_add_nc_u32_e32 v14, -1, v13
	v_cmp_eq_u32_e64 s7, 0, v0
	s_movk_i32 s12, 0x64
	v_cmp_lt_u32_e64 s1, 3, v11
	v_cmp_eq_u32_e64 s3, 0, v12
	v_cmp_gt_i32_e64 s4, 0, v14
	v_lshrrev_b32_e32 v12, 3, v0
	s_delay_alu instid0(VALU_DEP_1)
	v_and_b32_e32 v12, 4, v12
	s_waitcnt lgkmcnt(0)
	s_and_b32 s0, s2, 0xffff
	v_cmp_lt_u32_e64 s2, 7, v11
	s_mul_i32 s15, s15, s0
	v_cmp_lt_u32_e64 s0, 1, v11
	v_add_lshl_u32 v1, s15, v0, 3
	s_delay_alu instid0(VALU_DEP_1) | instskip(NEXT) | instid1(VALU_DEP_1)
	v_lshlrev_b64 v[9:10], 2, v[1:2]
	v_add_co_u32 v1, vcc_lo, s8, v9
	s_delay_alu instid0(VALU_DEP_2)
	v_add_co_ci_u32_e32 v2, vcc_lo, s9, v10, vcc_lo
	v_cmp_eq_u32_e32 vcc_lo, 0, v11
	v_cndmask_b32_e64 v11, v14, v13, s4
	s_clause 0x1
	global_load_b128 v[5:8], v[1:2], off
	global_load_b128 v[1:4], v[1:2], off offset:16
	v_and_b32_e32 v14, 1, v13
	v_cmp_eq_u32_e64 s4, v15, v0
	v_lshlrev_b32_e32 v11, 2, v11
	v_cmp_eq_u32_e64 s8, 0, v13
	v_lshlrev_b32_e32 v0, 2, v0
	v_cmp_eq_u32_e64 s9, 0, v14
	v_add_nc_u32_e32 v13, -4, v12
	s_branch .LBB63_2
.LBB63_1:                               ;   in Loop: Header=BB63_2 Depth=1
	s_or_b32 exec_lo, exec_lo, s13
	ds_bpermute_b32 v14, v11, v14
	s_add_i32 s12, s12, -1
	s_delay_alu instid0(SALU_CYCLE_1) | instskip(SKIP_2) | instid1(VALU_DEP_1)
	s_cmp_lg_u32 s12, 0
	s_waitcnt lgkmcnt(0)
	v_cndmask_b32_e64 v14, v14, v15, s8
	v_add_f32_e32 v14, v5, v14
	s_delay_alu instid0(VALU_DEP_1) | instskip(NEXT) | instid1(VALU_DEP_1)
	v_cndmask_b32_e64 v5, v14, v5, s7
	v_add_f32_e32 v6, v6, v5
	s_delay_alu instid0(VALU_DEP_1) | instskip(NEXT) | instid1(VALU_DEP_1)
	v_add_f32_e32 v7, v7, v6
	v_add_f32_e32 v8, v8, v7
	s_delay_alu instid0(VALU_DEP_1) | instskip(NEXT) | instid1(VALU_DEP_1)
	v_add_f32_e32 v1, v1, v8
	;; [unrolled: 3-line block ×3, first 2 shown]
	v_add_f32_e32 v4, v4, v3
	s_cbranch_scc0 .LBB63_8
.LBB63_2:                               ; =>This Inner Loop Header: Depth=1
	s_waitcnt vmcnt(1)
	v_add_f32_e32 v14, v5, v6
	s_delay_alu instid0(VALU_DEP_1) | instskip(NEXT) | instid1(VALU_DEP_1)
	v_add_f32_e32 v14, v7, v14
	v_add_f32_e32 v14, v8, v14
	s_waitcnt vmcnt(0)
	s_delay_alu instid0(VALU_DEP_1) | instskip(NEXT) | instid1(VALU_DEP_1)
	v_add_f32_e32 v14, v1, v14
	v_add_f32_e32 v14, v2, v14
	s_delay_alu instid0(VALU_DEP_1) | instskip(NEXT) | instid1(VALU_DEP_1)
	v_add_f32_e32 v14, v3, v14
	v_add_f32_e32 v14, v4, v14
	s_delay_alu instid0(VALU_DEP_1) | instskip(NEXT) | instid1(VALU_DEP_1)
	v_mov_b32_dpp v15, v14 row_shr:1 row_mask:0xf bank_mask:0xf
	v_add_f32_e32 v15, v14, v15
	s_delay_alu instid0(VALU_DEP_1) | instskip(NEXT) | instid1(VALU_DEP_1)
	v_cndmask_b32_e32 v14, v15, v14, vcc_lo
	v_mov_b32_dpp v15, v14 row_shr:2 row_mask:0xf bank_mask:0xf
	s_delay_alu instid0(VALU_DEP_1) | instskip(NEXT) | instid1(VALU_DEP_1)
	v_add_f32_e32 v15, v14, v15
	v_cndmask_b32_e64 v14, v14, v15, s0
	s_delay_alu instid0(VALU_DEP_1) | instskip(NEXT) | instid1(VALU_DEP_1)
	v_mov_b32_dpp v15, v14 row_shr:4 row_mask:0xf bank_mask:0xf
	v_add_f32_e32 v15, v14, v15
	s_delay_alu instid0(VALU_DEP_1) | instskip(NEXT) | instid1(VALU_DEP_1)
	v_cndmask_b32_e64 v14, v14, v15, s1
	v_mov_b32_dpp v15, v14 row_shr:8 row_mask:0xf bank_mask:0xf
	s_delay_alu instid0(VALU_DEP_1) | instskip(NEXT) | instid1(VALU_DEP_1)
	v_add_f32_e32 v15, v14, v15
	v_cndmask_b32_e64 v14, v14, v15, s2
	ds_swizzle_b32 v15, v14 offset:swizzle(BROADCAST,32,15)
	s_waitcnt lgkmcnt(0)
	v_add_f32_e32 v15, v14, v15
	s_delay_alu instid0(VALU_DEP_1)
	v_cndmask_b32_e64 v14, v15, v14, s3
	s_and_saveexec_b32 s13, s4
	s_cbranch_execz .LBB63_4
; %bb.3:                                ;   in Loop: Header=BB63_2 Depth=1
	ds_store_b32 v12, v14
.LBB63_4:                               ;   in Loop: Header=BB63_2 Depth=1
	s_or_b32 exec_lo, exec_lo, s13
	s_waitcnt lgkmcnt(0)
	s_barrier
	buffer_gl0_inv
	s_and_saveexec_b32 s13, s5
	s_cbranch_execz .LBB63_6
; %bb.5:                                ;   in Loop: Header=BB63_2 Depth=1
	ds_load_b32 v15, v0
	s_waitcnt lgkmcnt(0)
	v_mov_b32_dpp v16, v15 row_shr:1 row_mask:0xf bank_mask:0xf
	s_delay_alu instid0(VALU_DEP_1) | instskip(NEXT) | instid1(VALU_DEP_1)
	v_add_f32_e32 v16, v15, v16
	v_cndmask_b32_e64 v15, v16, v15, s9
	ds_store_b32 v0, v15
.LBB63_6:                               ;   in Loop: Header=BB63_2 Depth=1
	s_or_b32 exec_lo, exec_lo, s13
	s_waitcnt lgkmcnt(0)
	s_barrier
	buffer_gl0_inv
                                        ; implicit-def: $vgpr15
	s_and_saveexec_b32 s13, s6
	s_cbranch_execz .LBB63_1
; %bb.7:                                ;   in Loop: Header=BB63_2 Depth=1
	ds_load_b32 v15, v13
	s_waitcnt lgkmcnt(0)
	v_add_f32_e32 v14, v14, v15
	s_branch .LBB63_1
.LBB63_8:
	v_add_co_u32 v9, vcc_lo, s10, v9
	v_add_co_ci_u32_e32 v10, vcc_lo, s11, v10, vcc_lo
	s_clause 0x1
	global_store_b128 v[9:10], v[5:8], off
	global_store_b128 v[9:10], v[1:4], off offset:16
	s_nop 0
	s_sendmsg sendmsg(MSG_DEALLOC_VGPRS)
	s_endpgm
	.section	.rodata,"a",@progbits
	.p2align	6, 0x0
	.amdhsa_kernel _Z6kernelI14inclusive_scanILN6hipcub18BlockScanAlgorithmE0EEfLj64ELj8ELj100EEvPKT0_PS4_S4_
		.amdhsa_group_segment_fixed_size 8
		.amdhsa_private_segment_fixed_size 0
		.amdhsa_kernarg_size 280
		.amdhsa_user_sgpr_count 15
		.amdhsa_user_sgpr_dispatch_ptr 0
		.amdhsa_user_sgpr_queue_ptr 0
		.amdhsa_user_sgpr_kernarg_segment_ptr 1
		.amdhsa_user_sgpr_dispatch_id 0
		.amdhsa_user_sgpr_private_segment_size 0
		.amdhsa_wavefront_size32 1
		.amdhsa_uses_dynamic_stack 0
		.amdhsa_enable_private_segment 0
		.amdhsa_system_sgpr_workgroup_id_x 1
		.amdhsa_system_sgpr_workgroup_id_y 0
		.amdhsa_system_sgpr_workgroup_id_z 0
		.amdhsa_system_sgpr_workgroup_info 0
		.amdhsa_system_vgpr_workitem_id 0
		.amdhsa_next_free_vgpr 17
		.amdhsa_next_free_sgpr 16
		.amdhsa_reserve_vcc 1
		.amdhsa_float_round_mode_32 0
		.amdhsa_float_round_mode_16_64 0
		.amdhsa_float_denorm_mode_32 3
		.amdhsa_float_denorm_mode_16_64 3
		.amdhsa_dx10_clamp 1
		.amdhsa_ieee_mode 1
		.amdhsa_fp16_overflow 0
		.amdhsa_workgroup_processor_mode 1
		.amdhsa_memory_ordered 1
		.amdhsa_forward_progress 0
		.amdhsa_shared_vgpr_count 0
		.amdhsa_exception_fp_ieee_invalid_op 0
		.amdhsa_exception_fp_denorm_src 0
		.amdhsa_exception_fp_ieee_div_zero 0
		.amdhsa_exception_fp_ieee_overflow 0
		.amdhsa_exception_fp_ieee_underflow 0
		.amdhsa_exception_fp_ieee_inexact 0
		.amdhsa_exception_int_div_zero 0
	.end_amdhsa_kernel
	.section	.text._Z6kernelI14inclusive_scanILN6hipcub18BlockScanAlgorithmE0EEfLj64ELj8ELj100EEvPKT0_PS4_S4_,"axG",@progbits,_Z6kernelI14inclusive_scanILN6hipcub18BlockScanAlgorithmE0EEfLj64ELj8ELj100EEvPKT0_PS4_S4_,comdat
.Lfunc_end63:
	.size	_Z6kernelI14inclusive_scanILN6hipcub18BlockScanAlgorithmE0EEfLj64ELj8ELj100EEvPKT0_PS4_S4_, .Lfunc_end63-_Z6kernelI14inclusive_scanILN6hipcub18BlockScanAlgorithmE0EEfLj64ELj8ELj100EEvPKT0_PS4_S4_
                                        ; -- End function
	.section	.AMDGPU.csdata,"",@progbits
; Kernel info:
; codeLenInByte = 708
; NumSgprs: 18
; NumVgprs: 17
; ScratchSize: 0
; MemoryBound: 0
; FloatMode: 240
; IeeeMode: 1
; LDSByteSize: 8 bytes/workgroup (compile time only)
; SGPRBlocks: 2
; VGPRBlocks: 2
; NumSGPRsForWavesPerEU: 18
; NumVGPRsForWavesPerEU: 17
; Occupancy: 16
; WaveLimiterHint : 0
; COMPUTE_PGM_RSRC2:SCRATCH_EN: 0
; COMPUTE_PGM_RSRC2:USER_SGPR: 15
; COMPUTE_PGM_RSRC2:TRAP_HANDLER: 0
; COMPUTE_PGM_RSRC2:TGID_X_EN: 1
; COMPUTE_PGM_RSRC2:TGID_Y_EN: 0
; COMPUTE_PGM_RSRC2:TGID_Z_EN: 0
; COMPUTE_PGM_RSRC2:TIDIG_COMP_CNT: 0
	.section	.text._Z6kernelI14inclusive_scanILN6hipcub18BlockScanAlgorithmE0EEfLj64ELj11ELj100EEvPKT0_PS4_S4_,"axG",@progbits,_Z6kernelI14inclusive_scanILN6hipcub18BlockScanAlgorithmE0EEfLj64ELj11ELj100EEvPKT0_PS4_S4_,comdat
	.protected	_Z6kernelI14inclusive_scanILN6hipcub18BlockScanAlgorithmE0EEfLj64ELj11ELj100EEvPKT0_PS4_S4_ ; -- Begin function _Z6kernelI14inclusive_scanILN6hipcub18BlockScanAlgorithmE0EEfLj64ELj11ELj100EEvPKT0_PS4_S4_
	.globl	_Z6kernelI14inclusive_scanILN6hipcub18BlockScanAlgorithmE0EEfLj64ELj11ELj100EEvPKT0_PS4_S4_
	.p2align	8
	.type	_Z6kernelI14inclusive_scanILN6hipcub18BlockScanAlgorithmE0EEfLj64ELj11ELj100EEvPKT0_PS4_S4_,@function
_Z6kernelI14inclusive_scanILN6hipcub18BlockScanAlgorithmE0EEfLj64ELj11ELj100EEvPKT0_PS4_S4_: ; @_Z6kernelI14inclusive_scanILN6hipcub18BlockScanAlgorithmE0EEfLj64ELj11ELj100EEvPKT0_PS4_S4_
; %bb.0:
	s_clause 0x1
	s_load_b32 s2, s[0:1], 0x24
	s_load_b128 s[8:11], s[0:1], 0x0
	v_cmp_gt_u32_e64 s5, 2, v0
	v_cmp_lt_u32_e64 s6, 31, v0
	v_cmp_eq_u32_e64 s7, 0, v0
	s_movk_i32 s12, 0x64
	s_waitcnt lgkmcnt(0)
	s_and_b32 s2, s2, 0xffff
	s_delay_alu instid0(SALU_CYCLE_1) | instskip(NEXT) | instid1(VALU_DEP_1)
	v_mad_u64_u32 v[1:2], null, s15, s2, v[0:1]
	v_mul_lo_u32 v21, v1, 11
	s_delay_alu instid0(VALU_DEP_1) | instskip(NEXT) | instid1(VALU_DEP_1)
	v_dual_mov_b32 v22, 0 :: v_dual_add_nc_u32 v1, 1, v21
	v_dual_mov_b32 v2, v22 :: v_dual_add_nc_u32 v3, 2, v21
	v_lshlrev_b64 v[15:16], 2, v[21:22]
	v_dual_mov_b32 v4, v22 :: v_dual_add_nc_u32 v5, 3, v21
	s_delay_alu instid0(VALU_DEP_3) | instskip(SKIP_1) | instid1(VALU_DEP_3)
	v_lshlrev_b64 v[17:18], 2, v[1:2]
	v_dual_mov_b32 v6, v22 :: v_dual_add_nc_u32 v7, 4, v21
	v_lshlrev_b64 v[13:14], 2, v[3:4]
	v_add_co_u32 v25, vcc_lo, s8, v15
	v_dual_mov_b32 v8, v22 :: v_dual_add_nc_u32 v11, 5, v21
	v_add_co_ci_u32_e32 v26, vcc_lo, s9, v16, vcc_lo
	v_lshlrev_b64 v[9:10], 2, v[5:6]
	v_add_co_u32 v27, vcc_lo, s8, v17
	v_dual_mov_b32 v12, v22 :: v_dual_add_nc_u32 v19, 6, v21
	v_add_co_ci_u32_e32 v28, vcc_lo, s9, v18, vcc_lo
	;; [unrolled: 4-line block ×4, first 2 shown]
	v_lshlrev_b64 v[1:2], 2, v[19:20]
	v_add_co_u32 v36, vcc_lo, s8, v5
	v_add_co_ci_u32_e32 v37, vcc_lo, s9, v6, vcc_lo
	v_add_co_u32 v38, vcc_lo, s8, v3
	v_lshlrev_b64 v[7:8], 2, v[23:24]
	v_add_nc_u32_e32 v19, 9, v21
	v_add_co_ci_u32_e32 v39, vcc_lo, s9, v4, vcc_lo
	v_add_co_u32 v23, vcc_lo, s8, v1
	v_lshlrev_b64 v[11:12], 2, v[11:12]
	v_add_nc_u32_e32 v21, 10, v21
	v_add_co_ci_u32_e32 v24, vcc_lo, s9, v2, vcc_lo
	v_add_co_u32 v40, vcc_lo, s8, v7
	v_lshlrev_b64 v[19:20], 2, v[19:20]
	v_add_co_ci_u32_e32 v41, vcc_lo, s9, v8, vcc_lo
	v_add_co_u32 v42, vcc_lo, s8, v11
	v_lshlrev_b64 v[21:22], 2, v[21:22]
	v_add_co_ci_u32_e32 v43, vcc_lo, s9, v12, vcc_lo
	v_add_co_u32 v44, vcc_lo, s8, v19
	v_add_co_ci_u32_e32 v45, vcc_lo, s9, v20, vcc_lo
	s_delay_alu instid0(VALU_DEP_4)
	v_add_co_u32 v46, vcc_lo, s8, v21
	v_add_co_ci_u32_e32 v47, vcc_lo, s9, v22, vcc_lo
	s_clause 0xa
	global_load_b32 v33, v[25:26], off
	global_load_b32 v32, v[27:28], off
	;; [unrolled: 1-line block ×11, first 2 shown]
	v_mbcnt_lo_u32_b32 v36, -1, 0
	v_or_b32_e32 v38, 31, v0
	s_delay_alu instid0(VALU_DEP_2) | instskip(SKIP_3) | instid1(VALU_DEP_4)
	v_and_b32_e32 v35, 16, v36
	v_add_nc_u32_e32 v37, -1, v36
	v_and_b32_e32 v34, 15, v36
	v_cmp_eq_u32_e64 s8, 0, v36
	v_cmp_eq_u32_e64 s3, 0, v35
	s_delay_alu instid0(VALU_DEP_4)
	v_cmp_gt_i32_e64 s4, 0, v37
	v_lshrrev_b32_e32 v35, 3, v0
	v_cmp_eq_u32_e32 vcc_lo, 0, v34
	v_cmp_lt_u32_e64 s0, 1, v34
	v_cmp_lt_u32_e64 s1, 3, v34
	;; [unrolled: 1-line block ×3, first 2 shown]
	v_cndmask_b32_e64 v34, v37, v36, s4
	v_and_b32_e32 v37, 1, v36
	v_and_b32_e32 v35, 4, v35
	v_cmp_eq_u32_e64 s4, v38, v0
	v_lshlrev_b32_e32 v0, 2, v0
	v_lshlrev_b32_e32 v34, 2, v34
	v_cmp_eq_u32_e64 s9, 0, v37
	v_add_nc_u32_e32 v36, -4, v35
	s_branch .LBB64_2
.LBB64_1:                               ;   in Loop: Header=BB64_2 Depth=1
	s_or_b32 exec_lo, exec_lo, s13
	ds_bpermute_b32 v37, v34, v37
	s_add_i32 s12, s12, -1
	s_delay_alu instid0(SALU_CYCLE_1) | instskip(SKIP_2) | instid1(VALU_DEP_1)
	s_cmp_lg_u32 s12, 0
	s_waitcnt lgkmcnt(0)
	v_cndmask_b32_e64 v37, v37, v38, s8
	v_add_f32_e32 v37, v33, v37
	s_delay_alu instid0(VALU_DEP_1) | instskip(NEXT) | instid1(VALU_DEP_1)
	v_cndmask_b32_e64 v33, v37, v33, s7
	v_add_f32_e32 v32, v32, v33
	s_delay_alu instid0(VALU_DEP_1) | instskip(NEXT) | instid1(VALU_DEP_1)
	v_add_f32_e32 v31, v31, v32
	v_add_f32_e32 v30, v30, v31
	s_delay_alu instid0(VALU_DEP_1) | instskip(NEXT) | instid1(VALU_DEP_1)
	v_add_f32_e32 v29, v29, v30
	;; [unrolled: 3-line block ×4, first 2 shown]
	v_add_f32_e32 v24, v24, v25
	s_delay_alu instid0(VALU_DEP_1)
	v_add_f32_e32 v23, v23, v24
	s_cbranch_scc0 .LBB64_8
.LBB64_2:                               ; =>This Inner Loop Header: Depth=1
	s_waitcnt vmcnt(9)
	v_add_f32_e32 v37, v32, v33
	s_waitcnt vmcnt(8)
	s_delay_alu instid0(VALU_DEP_1) | instskip(SKIP_1) | instid1(VALU_DEP_1)
	v_add_f32_e32 v37, v31, v37
	s_waitcnt vmcnt(7)
	v_add_f32_e32 v37, v30, v37
	s_waitcnt vmcnt(6)
	s_delay_alu instid0(VALU_DEP_1) | instskip(SKIP_1) | instid1(VALU_DEP_1)
	v_add_f32_e32 v37, v29, v37
	;; [unrolled: 5-line block ×4, first 2 shown]
	s_waitcnt vmcnt(1)
	v_add_f32_e32 v37, v24, v37
	s_waitcnt vmcnt(0)
	s_delay_alu instid0(VALU_DEP_1) | instskip(NEXT) | instid1(VALU_DEP_1)
	v_add_f32_e32 v37, v23, v37
	v_mov_b32_dpp v38, v37 row_shr:1 row_mask:0xf bank_mask:0xf
	s_delay_alu instid0(VALU_DEP_1) | instskip(NEXT) | instid1(VALU_DEP_1)
	v_add_f32_e32 v38, v37, v38
	v_cndmask_b32_e32 v37, v38, v37, vcc_lo
	s_delay_alu instid0(VALU_DEP_1) | instskip(NEXT) | instid1(VALU_DEP_1)
	v_mov_b32_dpp v38, v37 row_shr:2 row_mask:0xf bank_mask:0xf
	v_add_f32_e32 v38, v37, v38
	s_delay_alu instid0(VALU_DEP_1) | instskip(NEXT) | instid1(VALU_DEP_1)
	v_cndmask_b32_e64 v37, v37, v38, s0
	v_mov_b32_dpp v38, v37 row_shr:4 row_mask:0xf bank_mask:0xf
	s_delay_alu instid0(VALU_DEP_1) | instskip(NEXT) | instid1(VALU_DEP_1)
	v_add_f32_e32 v38, v37, v38
	v_cndmask_b32_e64 v37, v37, v38, s1
	s_delay_alu instid0(VALU_DEP_1) | instskip(NEXT) | instid1(VALU_DEP_1)
	v_mov_b32_dpp v38, v37 row_shr:8 row_mask:0xf bank_mask:0xf
	v_add_f32_e32 v38, v37, v38
	s_delay_alu instid0(VALU_DEP_1) | instskip(SKIP_3) | instid1(VALU_DEP_1)
	v_cndmask_b32_e64 v37, v37, v38, s2
	ds_swizzle_b32 v38, v37 offset:swizzle(BROADCAST,32,15)
	s_waitcnt lgkmcnt(0)
	v_add_f32_e32 v38, v37, v38
	v_cndmask_b32_e64 v37, v38, v37, s3
	s_and_saveexec_b32 s13, s4
	s_cbranch_execz .LBB64_4
; %bb.3:                                ;   in Loop: Header=BB64_2 Depth=1
	ds_store_b32 v35, v37
.LBB64_4:                               ;   in Loop: Header=BB64_2 Depth=1
	s_or_b32 exec_lo, exec_lo, s13
	s_waitcnt lgkmcnt(0)
	s_barrier
	buffer_gl0_inv
	s_and_saveexec_b32 s13, s5
	s_cbranch_execz .LBB64_6
; %bb.5:                                ;   in Loop: Header=BB64_2 Depth=1
	ds_load_b32 v38, v0
	s_waitcnt lgkmcnt(0)
	v_mov_b32_dpp v39, v38 row_shr:1 row_mask:0xf bank_mask:0xf
	s_delay_alu instid0(VALU_DEP_1) | instskip(NEXT) | instid1(VALU_DEP_1)
	v_add_f32_e32 v39, v38, v39
	v_cndmask_b32_e64 v38, v39, v38, s9
	ds_store_b32 v0, v38
.LBB64_6:                               ;   in Loop: Header=BB64_2 Depth=1
	s_or_b32 exec_lo, exec_lo, s13
	s_waitcnt lgkmcnt(0)
	s_barrier
	buffer_gl0_inv
                                        ; implicit-def: $vgpr38
	s_and_saveexec_b32 s13, s6
	s_cbranch_execz .LBB64_1
; %bb.7:                                ;   in Loop: Header=BB64_2 Depth=1
	ds_load_b32 v38, v36
	s_waitcnt lgkmcnt(0)
	v_add_f32_e32 v37, v37, v38
	s_branch .LBB64_1
.LBB64_8:
	v_add_co_u32 v15, vcc_lo, s10, v15
	v_add_co_ci_u32_e32 v16, vcc_lo, s11, v16, vcc_lo
	v_add_co_u32 v17, vcc_lo, s10, v17
	v_add_co_ci_u32_e32 v18, vcc_lo, s11, v18, vcc_lo
	;; [unrolled: 2-line block ×11, first 2 shown]
	s_clause 0xa
	global_store_b32 v[15:16], v33, off
	global_store_b32 v[17:18], v32, off
	;; [unrolled: 1-line block ×11, first 2 shown]
	s_nop 0
	s_sendmsg sendmsg(MSG_DEALLOC_VGPRS)
	s_endpgm
	.section	.rodata,"a",@progbits
	.p2align	6, 0x0
	.amdhsa_kernel _Z6kernelI14inclusive_scanILN6hipcub18BlockScanAlgorithmE0EEfLj64ELj11ELj100EEvPKT0_PS4_S4_
		.amdhsa_group_segment_fixed_size 8
		.amdhsa_private_segment_fixed_size 0
		.amdhsa_kernarg_size 280
		.amdhsa_user_sgpr_count 15
		.amdhsa_user_sgpr_dispatch_ptr 0
		.amdhsa_user_sgpr_queue_ptr 0
		.amdhsa_user_sgpr_kernarg_segment_ptr 1
		.amdhsa_user_sgpr_dispatch_id 0
		.amdhsa_user_sgpr_private_segment_size 0
		.amdhsa_wavefront_size32 1
		.amdhsa_uses_dynamic_stack 0
		.amdhsa_enable_private_segment 0
		.amdhsa_system_sgpr_workgroup_id_x 1
		.amdhsa_system_sgpr_workgroup_id_y 0
		.amdhsa_system_sgpr_workgroup_id_z 0
		.amdhsa_system_sgpr_workgroup_info 0
		.amdhsa_system_vgpr_workitem_id 0
		.amdhsa_next_free_vgpr 48
		.amdhsa_next_free_sgpr 16
		.amdhsa_reserve_vcc 1
		.amdhsa_float_round_mode_32 0
		.amdhsa_float_round_mode_16_64 0
		.amdhsa_float_denorm_mode_32 3
		.amdhsa_float_denorm_mode_16_64 3
		.amdhsa_dx10_clamp 1
		.amdhsa_ieee_mode 1
		.amdhsa_fp16_overflow 0
		.amdhsa_workgroup_processor_mode 1
		.amdhsa_memory_ordered 1
		.amdhsa_forward_progress 0
		.amdhsa_shared_vgpr_count 0
		.amdhsa_exception_fp_ieee_invalid_op 0
		.amdhsa_exception_fp_denorm_src 0
		.amdhsa_exception_fp_ieee_div_zero 0
		.amdhsa_exception_fp_ieee_overflow 0
		.amdhsa_exception_fp_ieee_underflow 0
		.amdhsa_exception_fp_ieee_inexact 0
		.amdhsa_exception_int_div_zero 0
	.end_amdhsa_kernel
	.section	.text._Z6kernelI14inclusive_scanILN6hipcub18BlockScanAlgorithmE0EEfLj64ELj11ELj100EEvPKT0_PS4_S4_,"axG",@progbits,_Z6kernelI14inclusive_scanILN6hipcub18BlockScanAlgorithmE0EEfLj64ELj11ELj100EEvPKT0_PS4_S4_,comdat
.Lfunc_end64:
	.size	_Z6kernelI14inclusive_scanILN6hipcub18BlockScanAlgorithmE0EEfLj64ELj11ELj100EEvPKT0_PS4_S4_, .Lfunc_end64-_Z6kernelI14inclusive_scanILN6hipcub18BlockScanAlgorithmE0EEfLj64ELj11ELj100EEvPKT0_PS4_S4_
                                        ; -- End function
	.section	.AMDGPU.csdata,"",@progbits
; Kernel info:
; codeLenInByte = 1324
; NumSgprs: 18
; NumVgprs: 48
; ScratchSize: 0
; MemoryBound: 0
; FloatMode: 240
; IeeeMode: 1
; LDSByteSize: 8 bytes/workgroup (compile time only)
; SGPRBlocks: 2
; VGPRBlocks: 5
; NumSGPRsForWavesPerEU: 18
; NumVGPRsForWavesPerEU: 48
; Occupancy: 16
; WaveLimiterHint : 0
; COMPUTE_PGM_RSRC2:SCRATCH_EN: 0
; COMPUTE_PGM_RSRC2:USER_SGPR: 15
; COMPUTE_PGM_RSRC2:TRAP_HANDLER: 0
; COMPUTE_PGM_RSRC2:TGID_X_EN: 1
; COMPUTE_PGM_RSRC2:TGID_Y_EN: 0
; COMPUTE_PGM_RSRC2:TGID_Z_EN: 0
; COMPUTE_PGM_RSRC2:TIDIG_COMP_CNT: 0
	.section	.text._Z6kernelI14inclusive_scanILN6hipcub18BlockScanAlgorithmE0EEfLj64ELj16ELj100EEvPKT0_PS4_S4_,"axG",@progbits,_Z6kernelI14inclusive_scanILN6hipcub18BlockScanAlgorithmE0EEfLj64ELj16ELj100EEvPKT0_PS4_S4_,comdat
	.protected	_Z6kernelI14inclusive_scanILN6hipcub18BlockScanAlgorithmE0EEfLj64ELj16ELj100EEvPKT0_PS4_S4_ ; -- Begin function _Z6kernelI14inclusive_scanILN6hipcub18BlockScanAlgorithmE0EEfLj64ELj16ELj100EEvPKT0_PS4_S4_
	.globl	_Z6kernelI14inclusive_scanILN6hipcub18BlockScanAlgorithmE0EEfLj64ELj16ELj100EEvPKT0_PS4_S4_
	.p2align	8
	.type	_Z6kernelI14inclusive_scanILN6hipcub18BlockScanAlgorithmE0EEfLj64ELj16ELj100EEvPKT0_PS4_S4_,@function
_Z6kernelI14inclusive_scanILN6hipcub18BlockScanAlgorithmE0EEfLj64ELj16ELj100EEvPKT0_PS4_S4_: ; @_Z6kernelI14inclusive_scanILN6hipcub18BlockScanAlgorithmE0EEfLj64ELj16ELj100EEvPKT0_PS4_S4_
; %bb.0:
	s_clause 0x1
	s_load_b32 s2, s[0:1], 0x24
	s_load_b128 s[8:11], s[0:1], 0x0
	v_mbcnt_lo_u32_b32 v21, -1, 0
	v_mov_b32_e32 v2, 0
	v_or_b32_e32 v23, 31, v0
	v_cmp_gt_u32_e64 s5, 2, v0
	v_cmp_lt_u32_e64 s6, 31, v0
	v_and_b32_e32 v19, 15, v21
	v_and_b32_e32 v20, 16, v21
	v_add_nc_u32_e32 v22, -1, v21
	v_cmp_eq_u32_e64 s7, 0, v0
	s_movk_i32 s12, 0x64
	v_cmp_lt_u32_e64 s1, 3, v19
	v_cmp_eq_u32_e64 s3, 0, v20
	v_cmp_gt_i32_e64 s4, 0, v22
	v_lshrrev_b32_e32 v20, 3, v0
	s_delay_alu instid0(VALU_DEP_1)
	v_and_b32_e32 v20, 4, v20
	s_waitcnt lgkmcnt(0)
	s_and_b32 s0, s2, 0xffff
	v_cmp_lt_u32_e64 s2, 7, v19
	s_mul_i32 s15, s15, s0
	v_cmp_lt_u32_e64 s0, 1, v19
	v_add_lshl_u32 v1, s15, v0, 4
	s_delay_alu instid0(VALU_DEP_1) | instskip(NEXT) | instid1(VALU_DEP_1)
	v_lshlrev_b64 v[17:18], 2, v[1:2]
	v_add_co_u32 v1, vcc_lo, s8, v17
	s_delay_alu instid0(VALU_DEP_2)
	v_add_co_ci_u32_e32 v2, vcc_lo, s9, v18, vcc_lo
	v_cmp_eq_u32_e32 vcc_lo, 0, v19
	v_cndmask_b32_e64 v19, v22, v21, s4
	s_clause 0x3
	global_load_b128 v[13:16], v[1:2], off
	global_load_b128 v[9:12], v[1:2], off offset:16
	global_load_b128 v[5:8], v[1:2], off offset:32
	;; [unrolled: 1-line block ×3, first 2 shown]
	v_and_b32_e32 v22, 1, v21
	v_cmp_eq_u32_e64 s4, v23, v0
	v_lshlrev_b32_e32 v19, 2, v19
	v_cmp_eq_u32_e64 s8, 0, v21
	v_lshlrev_b32_e32 v0, 2, v0
	v_cmp_eq_u32_e64 s9, 0, v22
	v_add_nc_u32_e32 v21, -4, v20
	s_branch .LBB65_2
.LBB65_1:                               ;   in Loop: Header=BB65_2 Depth=1
	s_or_b32 exec_lo, exec_lo, s13
	ds_bpermute_b32 v22, v19, v22
	s_add_i32 s12, s12, -1
	s_delay_alu instid0(SALU_CYCLE_1) | instskip(SKIP_2) | instid1(VALU_DEP_1)
	s_cmp_lg_u32 s12, 0
	s_waitcnt lgkmcnt(0)
	v_cndmask_b32_e64 v22, v22, v23, s8
	v_add_f32_e32 v22, v13, v22
	s_delay_alu instid0(VALU_DEP_1) | instskip(NEXT) | instid1(VALU_DEP_1)
	v_cndmask_b32_e64 v13, v22, v13, s7
	v_add_f32_e32 v14, v14, v13
	s_delay_alu instid0(VALU_DEP_1) | instskip(NEXT) | instid1(VALU_DEP_1)
	v_add_f32_e32 v15, v15, v14
	v_add_f32_e32 v16, v16, v15
	s_delay_alu instid0(VALU_DEP_1) | instskip(NEXT) | instid1(VALU_DEP_1)
	v_add_f32_e32 v9, v9, v16
	;; [unrolled: 3-line block ×7, first 2 shown]
	v_add_f32_e32 v4, v4, v3
	s_cbranch_scc0 .LBB65_8
.LBB65_2:                               ; =>This Inner Loop Header: Depth=1
	s_waitcnt vmcnt(3)
	v_add_f32_e32 v22, v14, v13
	s_delay_alu instid0(VALU_DEP_1) | instskip(NEXT) | instid1(VALU_DEP_1)
	v_add_f32_e32 v22, v15, v22
	v_add_f32_e32 v22, v16, v22
	s_waitcnt vmcnt(2)
	s_delay_alu instid0(VALU_DEP_1) | instskip(NEXT) | instid1(VALU_DEP_1)
	v_add_f32_e32 v22, v9, v22
	v_add_f32_e32 v22, v10, v22
	s_delay_alu instid0(VALU_DEP_1) | instskip(NEXT) | instid1(VALU_DEP_1)
	v_add_f32_e32 v22, v11, v22
	v_add_f32_e32 v22, v12, v22
	s_waitcnt vmcnt(1)
	s_delay_alu instid0(VALU_DEP_1) | instskip(NEXT) | instid1(VALU_DEP_1)
	v_add_f32_e32 v22, v5, v22
	;; [unrolled: 7-line block ×3, first 2 shown]
	v_add_f32_e32 v22, v2, v22
	s_delay_alu instid0(VALU_DEP_1) | instskip(NEXT) | instid1(VALU_DEP_1)
	v_add_f32_e32 v22, v3, v22
	v_add_f32_e32 v22, v4, v22
	s_delay_alu instid0(VALU_DEP_1) | instskip(NEXT) | instid1(VALU_DEP_1)
	v_mov_b32_dpp v23, v22 row_shr:1 row_mask:0xf bank_mask:0xf
	v_add_f32_e32 v23, v22, v23
	s_delay_alu instid0(VALU_DEP_1) | instskip(NEXT) | instid1(VALU_DEP_1)
	v_cndmask_b32_e32 v22, v23, v22, vcc_lo
	v_mov_b32_dpp v23, v22 row_shr:2 row_mask:0xf bank_mask:0xf
	s_delay_alu instid0(VALU_DEP_1) | instskip(NEXT) | instid1(VALU_DEP_1)
	v_add_f32_e32 v23, v22, v23
	v_cndmask_b32_e64 v22, v22, v23, s0
	s_delay_alu instid0(VALU_DEP_1) | instskip(NEXT) | instid1(VALU_DEP_1)
	v_mov_b32_dpp v23, v22 row_shr:4 row_mask:0xf bank_mask:0xf
	v_add_f32_e32 v23, v22, v23
	s_delay_alu instid0(VALU_DEP_1) | instskip(NEXT) | instid1(VALU_DEP_1)
	v_cndmask_b32_e64 v22, v22, v23, s1
	v_mov_b32_dpp v23, v22 row_shr:8 row_mask:0xf bank_mask:0xf
	s_delay_alu instid0(VALU_DEP_1) | instskip(NEXT) | instid1(VALU_DEP_1)
	v_add_f32_e32 v23, v22, v23
	v_cndmask_b32_e64 v22, v22, v23, s2
	ds_swizzle_b32 v23, v22 offset:swizzle(BROADCAST,32,15)
	s_waitcnt lgkmcnt(0)
	v_add_f32_e32 v23, v22, v23
	s_delay_alu instid0(VALU_DEP_1)
	v_cndmask_b32_e64 v22, v23, v22, s3
	s_and_saveexec_b32 s13, s4
	s_cbranch_execz .LBB65_4
; %bb.3:                                ;   in Loop: Header=BB65_2 Depth=1
	ds_store_b32 v20, v22
.LBB65_4:                               ;   in Loop: Header=BB65_2 Depth=1
	s_or_b32 exec_lo, exec_lo, s13
	s_waitcnt lgkmcnt(0)
	s_barrier
	buffer_gl0_inv
	s_and_saveexec_b32 s13, s5
	s_cbranch_execz .LBB65_6
; %bb.5:                                ;   in Loop: Header=BB65_2 Depth=1
	ds_load_b32 v23, v0
	s_waitcnt lgkmcnt(0)
	v_mov_b32_dpp v24, v23 row_shr:1 row_mask:0xf bank_mask:0xf
	s_delay_alu instid0(VALU_DEP_1) | instskip(NEXT) | instid1(VALU_DEP_1)
	v_add_f32_e32 v24, v23, v24
	v_cndmask_b32_e64 v23, v24, v23, s9
	ds_store_b32 v0, v23
.LBB65_6:                               ;   in Loop: Header=BB65_2 Depth=1
	s_or_b32 exec_lo, exec_lo, s13
	s_waitcnt lgkmcnt(0)
	s_barrier
	buffer_gl0_inv
                                        ; implicit-def: $vgpr23
	s_and_saveexec_b32 s13, s6
	s_cbranch_execz .LBB65_1
; %bb.7:                                ;   in Loop: Header=BB65_2 Depth=1
	ds_load_b32 v23, v21
	s_waitcnt lgkmcnt(0)
	v_add_f32_e32 v22, v22, v23
	s_branch .LBB65_1
.LBB65_8:
	v_add_co_u32 v17, vcc_lo, s10, v17
	v_add_co_ci_u32_e32 v18, vcc_lo, s11, v18, vcc_lo
	s_clause 0x3
	global_store_b128 v[17:18], v[13:16], off
	global_store_b128 v[17:18], v[9:12], off offset:16
	global_store_b128 v[17:18], v[5:8], off offset:32
	;; [unrolled: 1-line block ×3, first 2 shown]
	s_nop 0
	s_sendmsg sendmsg(MSG_DEALLOC_VGPRS)
	s_endpgm
	.section	.rodata,"a",@progbits
	.p2align	6, 0x0
	.amdhsa_kernel _Z6kernelI14inclusive_scanILN6hipcub18BlockScanAlgorithmE0EEfLj64ELj16ELj100EEvPKT0_PS4_S4_
		.amdhsa_group_segment_fixed_size 8
		.amdhsa_private_segment_fixed_size 0
		.amdhsa_kernarg_size 280
		.amdhsa_user_sgpr_count 15
		.amdhsa_user_sgpr_dispatch_ptr 0
		.amdhsa_user_sgpr_queue_ptr 0
		.amdhsa_user_sgpr_kernarg_segment_ptr 1
		.amdhsa_user_sgpr_dispatch_id 0
		.amdhsa_user_sgpr_private_segment_size 0
		.amdhsa_wavefront_size32 1
		.amdhsa_uses_dynamic_stack 0
		.amdhsa_enable_private_segment 0
		.amdhsa_system_sgpr_workgroup_id_x 1
		.amdhsa_system_sgpr_workgroup_id_y 0
		.amdhsa_system_sgpr_workgroup_id_z 0
		.amdhsa_system_sgpr_workgroup_info 0
		.amdhsa_system_vgpr_workitem_id 0
		.amdhsa_next_free_vgpr 25
		.amdhsa_next_free_sgpr 16
		.amdhsa_reserve_vcc 1
		.amdhsa_float_round_mode_32 0
		.amdhsa_float_round_mode_16_64 0
		.amdhsa_float_denorm_mode_32 3
		.amdhsa_float_denorm_mode_16_64 3
		.amdhsa_dx10_clamp 1
		.amdhsa_ieee_mode 1
		.amdhsa_fp16_overflow 0
		.amdhsa_workgroup_processor_mode 1
		.amdhsa_memory_ordered 1
		.amdhsa_forward_progress 0
		.amdhsa_shared_vgpr_count 0
		.amdhsa_exception_fp_ieee_invalid_op 0
		.amdhsa_exception_fp_denorm_src 0
		.amdhsa_exception_fp_ieee_div_zero 0
		.amdhsa_exception_fp_ieee_overflow 0
		.amdhsa_exception_fp_ieee_underflow 0
		.amdhsa_exception_fp_ieee_inexact 0
		.amdhsa_exception_int_div_zero 0
	.end_amdhsa_kernel
	.section	.text._Z6kernelI14inclusive_scanILN6hipcub18BlockScanAlgorithmE0EEfLj64ELj16ELj100EEvPKT0_PS4_S4_,"axG",@progbits,_Z6kernelI14inclusive_scanILN6hipcub18BlockScanAlgorithmE0EEfLj64ELj16ELj100EEvPKT0_PS4_S4_,comdat
.Lfunc_end65:
	.size	_Z6kernelI14inclusive_scanILN6hipcub18BlockScanAlgorithmE0EEfLj64ELj16ELj100EEvPKT0_PS4_S4_, .Lfunc_end65-_Z6kernelI14inclusive_scanILN6hipcub18BlockScanAlgorithmE0EEfLj64ELj16ELj100EEvPKT0_PS4_S4_
                                        ; -- End function
	.section	.AMDGPU.csdata,"",@progbits
; Kernel info:
; codeLenInByte = 844
; NumSgprs: 18
; NumVgprs: 25
; ScratchSize: 0
; MemoryBound: 0
; FloatMode: 240
; IeeeMode: 1
; LDSByteSize: 8 bytes/workgroup (compile time only)
; SGPRBlocks: 2
; VGPRBlocks: 3
; NumSGPRsForWavesPerEU: 18
; NumVGPRsForWavesPerEU: 25
; Occupancy: 16
; WaveLimiterHint : 0
; COMPUTE_PGM_RSRC2:SCRATCH_EN: 0
; COMPUTE_PGM_RSRC2:USER_SGPR: 15
; COMPUTE_PGM_RSRC2:TRAP_HANDLER: 0
; COMPUTE_PGM_RSRC2:TGID_X_EN: 1
; COMPUTE_PGM_RSRC2:TGID_Y_EN: 0
; COMPUTE_PGM_RSRC2:TGID_Z_EN: 0
; COMPUTE_PGM_RSRC2:TIDIG_COMP_CNT: 0
	.section	.text._Z6kernelI14inclusive_scanILN6hipcub18BlockScanAlgorithmE0EEdLj64ELj1ELj100EEvPKT0_PS4_S4_,"axG",@progbits,_Z6kernelI14inclusive_scanILN6hipcub18BlockScanAlgorithmE0EEdLj64ELj1ELj100EEvPKT0_PS4_S4_,comdat
	.protected	_Z6kernelI14inclusive_scanILN6hipcub18BlockScanAlgorithmE0EEdLj64ELj1ELj100EEvPKT0_PS4_S4_ ; -- Begin function _Z6kernelI14inclusive_scanILN6hipcub18BlockScanAlgorithmE0EEdLj64ELj1ELj100EEvPKT0_PS4_S4_
	.globl	_Z6kernelI14inclusive_scanILN6hipcub18BlockScanAlgorithmE0EEdLj64ELj1ELj100EEvPKT0_PS4_S4_
	.p2align	8
	.type	_Z6kernelI14inclusive_scanILN6hipcub18BlockScanAlgorithmE0EEdLj64ELj1ELj100EEvPKT0_PS4_S4_,@function
_Z6kernelI14inclusive_scanILN6hipcub18BlockScanAlgorithmE0EEdLj64ELj1ELj100EEvPKT0_PS4_S4_: ; @_Z6kernelI14inclusive_scanILN6hipcub18BlockScanAlgorithmE0EEdLj64ELj1ELj100EEvPKT0_PS4_S4_
; %bb.0:
	s_clause 0x1
	s_load_b32 s2, s[0:1], 0x24
	s_load_b128 s[8:11], s[0:1], 0x0
	v_mbcnt_lo_u32_b32 v5, -1, 0
	v_lshrrev_b32_e32 v9, 2, v0
	v_or_b32_e32 v8, 31, v0
	v_cmp_gt_u32_e64 s5, 2, v0
	v_cmp_lt_u32_e64 s6, 31, v0
	v_and_b32_e32 v6, 15, v5
	v_and_b32_e32 v9, 8, v9
	v_cmp_eq_u32_e64 s4, v8, v0
	v_and_b32_e32 v7, 16, v5
	v_and_b32_e32 v5, 1, v5
	v_cmp_lt_u32_e64 s1, 3, v6
	v_add_nc_u32_e32 v10, -8, v9
	s_delay_alu instid0(VALU_DEP_4) | instskip(NEXT) | instid1(VALU_DEP_4)
	v_cmp_ne_u32_e64 s3, 0, v7
	v_cmp_eq_u32_e64 s7, 1, v5
	s_waitcnt lgkmcnt(0)
	s_and_b32 s0, s2, 0xffff
	v_cmp_lt_u32_e64 s2, 7, v6
	v_mad_u64_u32 v[1:2], null, s15, s0, v[0:1]
	v_mov_b32_e32 v2, 0
	v_cmp_lt_u32_e64 s0, 1, v6
	v_lshlrev_b32_e32 v0, 3, v0
	s_delay_alu instid0(VALU_DEP_3) | instskip(NEXT) | instid1(VALU_DEP_1)
	v_lshlrev_b64 v[1:2], 3, v[1:2]
	v_add_co_u32 v3, vcc_lo, s8, v1
	s_delay_alu instid0(VALU_DEP_2)
	v_add_co_ci_u32_e32 v4, vcc_lo, s9, v2, vcc_lo
	v_cmp_ne_u32_e32 vcc_lo, 0, v6
	s_movk_i32 s8, 0x64
	global_load_b64 v[3:4], v[3:4], off
	s_branch .LBB66_2
.LBB66_1:                               ;   in Loop: Header=BB66_2 Depth=1
	s_or_b32 exec_lo, exec_lo, s9
	s_add_i32 s8, s8, -1
	s_delay_alu instid0(SALU_CYCLE_1)
	s_cmp_lg_u32 s8, 0
	s_cbranch_scc0 .LBB66_20
.LBB66_2:                               ; =>This Inner Loop Header: Depth=1
	s_waitcnt vmcnt(0)
	s_delay_alu instid0(VALU_DEP_1) | instskip(NEXT) | instid1(VALU_DEP_2)
	v_mov_b32_dpp v5, v3 row_shr:1 row_mask:0xf bank_mask:0xf
	v_mov_b32_dpp v6, v4 row_shr:1 row_mask:0xf bank_mask:0xf
	s_and_saveexec_b32 s9, vcc_lo
; %bb.3:                                ;   in Loop: Header=BB66_2 Depth=1
	s_delay_alu instid0(VALU_DEP_1)
	v_add_f64 v[3:4], v[3:4], v[5:6]
; %bb.4:                                ;   in Loop: Header=BB66_2 Depth=1
	s_or_b32 exec_lo, exec_lo, s9
	s_delay_alu instid0(VALU_DEP_1) | instskip(NEXT) | instid1(VALU_DEP_2)
	v_mov_b32_dpp v5, v3 row_shr:2 row_mask:0xf bank_mask:0xf
	v_mov_b32_dpp v6, v4 row_shr:2 row_mask:0xf bank_mask:0xf
	s_and_saveexec_b32 s9, s0
; %bb.5:                                ;   in Loop: Header=BB66_2 Depth=1
	s_delay_alu instid0(VALU_DEP_1)
	v_add_f64 v[3:4], v[3:4], v[5:6]
; %bb.6:                                ;   in Loop: Header=BB66_2 Depth=1
	s_or_b32 exec_lo, exec_lo, s9
	s_delay_alu instid0(VALU_DEP_1) | instskip(NEXT) | instid1(VALU_DEP_2)
	v_mov_b32_dpp v5, v3 row_shr:4 row_mask:0xf bank_mask:0xf
	v_mov_b32_dpp v6, v4 row_shr:4 row_mask:0xf bank_mask:0xf
	s_and_saveexec_b32 s9, s1
; %bb.7:                                ;   in Loop: Header=BB66_2 Depth=1
	s_delay_alu instid0(VALU_DEP_1)
	v_add_f64 v[3:4], v[3:4], v[5:6]
; %bb.8:                                ;   in Loop: Header=BB66_2 Depth=1
	s_or_b32 exec_lo, exec_lo, s9
	s_delay_alu instid0(VALU_DEP_1) | instskip(NEXT) | instid1(VALU_DEP_2)
	v_mov_b32_dpp v5, v3 row_shr:8 row_mask:0xf bank_mask:0xf
	v_mov_b32_dpp v6, v4 row_shr:8 row_mask:0xf bank_mask:0xf
	s_and_saveexec_b32 s9, s2
; %bb.9:                                ;   in Loop: Header=BB66_2 Depth=1
	s_delay_alu instid0(VALU_DEP_1)
	v_add_f64 v[3:4], v[3:4], v[5:6]
; %bb.10:                               ;   in Loop: Header=BB66_2 Depth=1
	s_or_b32 exec_lo, exec_lo, s9
	ds_swizzle_b32 v5, v3 offset:swizzle(BROADCAST,32,15)
	ds_swizzle_b32 v6, v4 offset:swizzle(BROADCAST,32,15)
	s_and_saveexec_b32 s9, s3
	s_cbranch_execz .LBB66_12
; %bb.11:                               ;   in Loop: Header=BB66_2 Depth=1
	s_waitcnt lgkmcnt(0)
	v_add_f64 v[3:4], v[3:4], v[5:6]
.LBB66_12:                              ;   in Loop: Header=BB66_2 Depth=1
	s_or_b32 exec_lo, exec_lo, s9
	s_and_saveexec_b32 s9, s4
	s_cbranch_execz .LBB66_14
; %bb.13:                               ;   in Loop: Header=BB66_2 Depth=1
	ds_store_b64 v9, v[3:4]
.LBB66_14:                              ;   in Loop: Header=BB66_2 Depth=1
	s_or_b32 exec_lo, exec_lo, s9
	s_waitcnt lgkmcnt(0)
	s_barrier
	buffer_gl0_inv
	s_and_saveexec_b32 s9, s5
	s_cbranch_execz .LBB66_18
; %bb.15:                               ;   in Loop: Header=BB66_2 Depth=1
	ds_load_b64 v[5:6], v0
	s_waitcnt lgkmcnt(0)
	v_mov_b32_dpp v7, v5 row_shr:1 row_mask:0xf bank_mask:0xf
	v_mov_b32_dpp v8, v6 row_shr:1 row_mask:0xf bank_mask:0xf
	s_and_saveexec_b32 s12, s7
; %bb.16:                               ;   in Loop: Header=BB66_2 Depth=1
	s_delay_alu instid0(VALU_DEP_1)
	v_add_f64 v[5:6], v[5:6], v[7:8]
; %bb.17:                               ;   in Loop: Header=BB66_2 Depth=1
	s_or_b32 exec_lo, exec_lo, s12
	ds_store_b64 v0, v[5:6]
.LBB66_18:                              ;   in Loop: Header=BB66_2 Depth=1
	s_or_b32 exec_lo, exec_lo, s9
	s_waitcnt lgkmcnt(0)
	s_barrier
	buffer_gl0_inv
	s_and_saveexec_b32 s9, s6
	s_cbranch_execz .LBB66_1
; %bb.19:                               ;   in Loop: Header=BB66_2 Depth=1
	ds_load_b64 v[5:6], v10
	s_waitcnt lgkmcnt(0)
	v_add_f64 v[3:4], v[3:4], v[5:6]
	s_branch .LBB66_1
.LBB66_20:
	v_add_co_u32 v0, vcc_lo, s10, v1
	v_add_co_ci_u32_e32 v1, vcc_lo, s11, v2, vcc_lo
	global_store_b64 v[0:1], v[3:4], off
	s_nop 0
	s_sendmsg sendmsg(MSG_DEALLOC_VGPRS)
	s_endpgm
	.section	.rodata,"a",@progbits
	.p2align	6, 0x0
	.amdhsa_kernel _Z6kernelI14inclusive_scanILN6hipcub18BlockScanAlgorithmE0EEdLj64ELj1ELj100EEvPKT0_PS4_S4_
		.amdhsa_group_segment_fixed_size 16
		.amdhsa_private_segment_fixed_size 0
		.amdhsa_kernarg_size 280
		.amdhsa_user_sgpr_count 15
		.amdhsa_user_sgpr_dispatch_ptr 0
		.amdhsa_user_sgpr_queue_ptr 0
		.amdhsa_user_sgpr_kernarg_segment_ptr 1
		.amdhsa_user_sgpr_dispatch_id 0
		.amdhsa_user_sgpr_private_segment_size 0
		.amdhsa_wavefront_size32 1
		.amdhsa_uses_dynamic_stack 0
		.amdhsa_enable_private_segment 0
		.amdhsa_system_sgpr_workgroup_id_x 1
		.amdhsa_system_sgpr_workgroup_id_y 0
		.amdhsa_system_sgpr_workgroup_id_z 0
		.amdhsa_system_sgpr_workgroup_info 0
		.amdhsa_system_vgpr_workitem_id 0
		.amdhsa_next_free_vgpr 11
		.amdhsa_next_free_sgpr 16
		.amdhsa_reserve_vcc 1
		.amdhsa_float_round_mode_32 0
		.amdhsa_float_round_mode_16_64 0
		.amdhsa_float_denorm_mode_32 3
		.amdhsa_float_denorm_mode_16_64 3
		.amdhsa_dx10_clamp 1
		.amdhsa_ieee_mode 1
		.amdhsa_fp16_overflow 0
		.amdhsa_workgroup_processor_mode 1
		.amdhsa_memory_ordered 1
		.amdhsa_forward_progress 0
		.amdhsa_shared_vgpr_count 0
		.amdhsa_exception_fp_ieee_invalid_op 0
		.amdhsa_exception_fp_denorm_src 0
		.amdhsa_exception_fp_ieee_div_zero 0
		.amdhsa_exception_fp_ieee_overflow 0
		.amdhsa_exception_fp_ieee_underflow 0
		.amdhsa_exception_fp_ieee_inexact 0
		.amdhsa_exception_int_div_zero 0
	.end_amdhsa_kernel
	.section	.text._Z6kernelI14inclusive_scanILN6hipcub18BlockScanAlgorithmE0EEdLj64ELj1ELj100EEvPKT0_PS4_S4_,"axG",@progbits,_Z6kernelI14inclusive_scanILN6hipcub18BlockScanAlgorithmE0EEdLj64ELj1ELj100EEvPKT0_PS4_S4_,comdat
.Lfunc_end66:
	.size	_Z6kernelI14inclusive_scanILN6hipcub18BlockScanAlgorithmE0EEdLj64ELj1ELj100EEvPKT0_PS4_S4_, .Lfunc_end66-_Z6kernelI14inclusive_scanILN6hipcub18BlockScanAlgorithmE0EEdLj64ELj1ELj100EEvPKT0_PS4_S4_
                                        ; -- End function
	.section	.AMDGPU.csdata,"",@progbits
; Kernel info:
; codeLenInByte = 608
; NumSgprs: 18
; NumVgprs: 11
; ScratchSize: 0
; MemoryBound: 0
; FloatMode: 240
; IeeeMode: 1
; LDSByteSize: 16 bytes/workgroup (compile time only)
; SGPRBlocks: 2
; VGPRBlocks: 1
; NumSGPRsForWavesPerEU: 18
; NumVGPRsForWavesPerEU: 11
; Occupancy: 16
; WaveLimiterHint : 0
; COMPUTE_PGM_RSRC2:SCRATCH_EN: 0
; COMPUTE_PGM_RSRC2:USER_SGPR: 15
; COMPUTE_PGM_RSRC2:TRAP_HANDLER: 0
; COMPUTE_PGM_RSRC2:TGID_X_EN: 1
; COMPUTE_PGM_RSRC2:TGID_Y_EN: 0
; COMPUTE_PGM_RSRC2:TGID_Z_EN: 0
; COMPUTE_PGM_RSRC2:TIDIG_COMP_CNT: 0
	.section	.text._Z6kernelI14inclusive_scanILN6hipcub18BlockScanAlgorithmE0EEdLj64ELj3ELj100EEvPKT0_PS4_S4_,"axG",@progbits,_Z6kernelI14inclusive_scanILN6hipcub18BlockScanAlgorithmE0EEdLj64ELj3ELj100EEvPKT0_PS4_S4_,comdat
	.protected	_Z6kernelI14inclusive_scanILN6hipcub18BlockScanAlgorithmE0EEdLj64ELj3ELj100EEvPKT0_PS4_S4_ ; -- Begin function _Z6kernelI14inclusive_scanILN6hipcub18BlockScanAlgorithmE0EEdLj64ELj3ELj100EEvPKT0_PS4_S4_
	.globl	_Z6kernelI14inclusive_scanILN6hipcub18BlockScanAlgorithmE0EEdLj64ELj3ELj100EEvPKT0_PS4_S4_
	.p2align	8
	.type	_Z6kernelI14inclusive_scanILN6hipcub18BlockScanAlgorithmE0EEdLj64ELj3ELj100EEvPKT0_PS4_S4_,@function
_Z6kernelI14inclusive_scanILN6hipcub18BlockScanAlgorithmE0EEdLj64ELj3ELj100EEvPKT0_PS4_S4_: ; @_Z6kernelI14inclusive_scanILN6hipcub18BlockScanAlgorithmE0EEdLj64ELj3ELj100EEvPKT0_PS4_S4_
; %bb.0:
	s_clause 0x1
	s_load_b32 s2, s[0:1], 0x24
	s_load_b128 s[8:11], s[0:1], 0x0
	v_mbcnt_lo_u32_b32 v13, -1, 0
	v_or_b32_e32 v16, 31, v0
	v_cmp_lt_u32_e64 s6, 31, v0
	v_cmp_ne_u32_e64 s7, 0, v0
	s_movk_i32 s12, 0x64
	v_and_b32_e32 v14, 15, v13
	v_add_nc_u32_e32 v17, -1, v13
	v_and_b32_e32 v15, 16, v13
	v_cmp_eq_u32_e64 s4, v16, v0
	v_and_b32_e32 v16, 1, v13
	v_cmp_lt_u32_e64 s0, 1, v14
	v_cmp_lt_u32_e64 s1, 3, v14
	v_cmp_gt_i32_e64 s5, 0, v17
	v_cmp_ne_u32_e64 s3, 0, v15
	s_delay_alu instid0(VALU_DEP_2)
	v_cndmask_b32_e64 v15, v17, v13, s5
	s_waitcnt lgkmcnt(0)
	s_and_b32 s2, s2, 0xffff
	v_cmp_gt_u32_e64 s5, 2, v0
	v_mad_u64_u32 v[1:2], null, s15, s2, v[0:1]
	v_cmp_lt_u32_e64 s2, 7, v14
	v_lshlrev_b32_e32 v24, 2, v15
	s_delay_alu instid0(VALU_DEP_3) | instskip(NEXT) | instid1(VALU_DEP_1)
	v_lshl_add_u32 v3, v1, 1, v1
	v_dual_mov_b32 v4, 0 :: v_dual_add_nc_u32 v5, 1, v3
	s_delay_alu instid0(VALU_DEP_1) | instskip(SKIP_2) | instid1(VALU_DEP_3)
	v_mov_b32_e32 v6, v4
	v_lshlrev_b64 v[1:2], 3, v[3:4]
	v_add_nc_u32_e32 v3, 2, v3
	v_lshlrev_b64 v[5:6], 3, v[5:6]
	s_delay_alu instid0(VALU_DEP_2) | instskip(NEXT) | instid1(VALU_DEP_4)
	v_lshlrev_b64 v[3:4], 3, v[3:4]
	v_add_co_u32 v7, vcc_lo, s8, v1
	v_add_co_ci_u32_e32 v8, vcc_lo, s9, v2, vcc_lo
	s_delay_alu instid0(VALU_DEP_4)
	v_add_co_u32 v9, vcc_lo, s8, v5
	v_add_co_ci_u32_e32 v10, vcc_lo, s9, v6, vcc_lo
	v_add_co_u32 v11, vcc_lo, s8, v3
	v_add_co_ci_u32_e32 v12, vcc_lo, s9, v4, vcc_lo
	s_clause 0x2
	global_load_b64 v[7:8], v[7:8], off
	global_load_b64 v[9:10], v[9:10], off
	;; [unrolled: 1-line block ×3, first 2 shown]
	v_cmp_ne_u32_e32 vcc_lo, 0, v14
	v_lshrrev_b32_e32 v14, 2, v0
	v_lshlrev_b32_e32 v0, 3, v0
	v_cmp_eq_u32_e64 s8, 1, v16
	v_cmp_eq_u32_e64 s9, 0, v13
	s_delay_alu instid0(VALU_DEP_4) | instskip(NEXT) | instid1(VALU_DEP_1)
	v_and_b32_e32 v23, 8, v14
	v_add_nc_u32_e32 v25, -8, v23
.LBB67_1:                               ; =>This Inner Loop Header: Depth=1
	s_waitcnt vmcnt(1)
	s_delay_alu instid0(VALU_DEP_2) | instskip(SKIP_1) | instid1(VALU_DEP_1)
	v_add_f64 v[15:16], v[7:8], v[9:10]
	s_waitcnt vmcnt(0)
	v_add_f64 v[13:14], v[11:12], v[15:16]
	s_delay_alu instid0(VALU_DEP_1) | instskip(NEXT) | instid1(VALU_DEP_2)
	v_mov_b32_dpp v21, v13 row_shr:1 row_mask:0xf bank_mask:0xf
	v_mov_b32_dpp v22, v14 row_shr:1 row_mask:0xf bank_mask:0xf
	s_waitcnt lgkmcnt(0)
	v_dual_mov_b32 v18, v14 :: v_dual_mov_b32 v17, v13
	v_dual_mov_b32 v20, v14 :: v_dual_mov_b32 v19, v13
	s_and_saveexec_b32 s13, vcc_lo
; %bb.2:                                ;   in Loop: Header=BB67_1 Depth=1
	v_add_f64 v[17:18], v[13:14], v[21:22]
	s_delay_alu instid0(VALU_DEP_1)
	v_dual_mov_b32 v20, v18 :: v_dual_mov_b32 v19, v17
; %bb.3:                                ;   in Loop: Header=BB67_1 Depth=1
	s_or_b32 exec_lo, exec_lo, s13
	s_delay_alu instid0(VALU_DEP_1) | instskip(NEXT) | instid1(VALU_DEP_2)
	v_mov_b32_dpp v21, v19 row_shr:2 row_mask:0xf bank_mask:0xf
	v_mov_b32_dpp v22, v20 row_shr:2 row_mask:0xf bank_mask:0xf
	s_and_saveexec_b32 s13, s0
; %bb.4:                                ;   in Loop: Header=BB67_1 Depth=1
	s_delay_alu instid0(VALU_DEP_1) | instskip(NEXT) | instid1(VALU_DEP_1)
	v_add_f64 v[19:20], v[17:18], v[21:22]
	v_dual_mov_b32 v17, v19 :: v_dual_mov_b32 v18, v20
; %bb.5:                                ;   in Loop: Header=BB67_1 Depth=1
	s_or_b32 exec_lo, exec_lo, s13
	v_mov_b32_dpp v21, v19 row_shr:4 row_mask:0xf bank_mask:0xf
	v_mov_b32_dpp v22, v20 row_shr:4 row_mask:0xf bank_mask:0xf
	s_and_saveexec_b32 s13, s1
; %bb.6:                                ;   in Loop: Header=BB67_1 Depth=1
	s_delay_alu instid0(VALU_DEP_1) | instskip(NEXT) | instid1(VALU_DEP_1)
	v_add_f64 v[19:20], v[17:18], v[21:22]
	v_dual_mov_b32 v17, v19 :: v_dual_mov_b32 v18, v20
; %bb.7:                                ;   in Loop: Header=BB67_1 Depth=1
	s_or_b32 exec_lo, exec_lo, s13
	;; [unrolled: 9-line block ×3, first 2 shown]
	ds_swizzle_b32 v19, v19 offset:swizzle(BROADCAST,32,15)
	ds_swizzle_b32 v20, v20 offset:swizzle(BROADCAST,32,15)
	s_and_saveexec_b32 s13, s3
	s_cbranch_execz .LBB67_11
; %bb.10:                               ;   in Loop: Header=BB67_1 Depth=1
	s_waitcnt lgkmcnt(0)
	v_add_f64 v[17:18], v[17:18], v[19:20]
.LBB67_11:                              ;   in Loop: Header=BB67_1 Depth=1
	s_or_b32 exec_lo, exec_lo, s13
	s_and_saveexec_b32 s13, s4
	s_cbranch_execz .LBB67_13
; %bb.12:                               ;   in Loop: Header=BB67_1 Depth=1
	ds_store_b64 v23, v[17:18]
.LBB67_13:                              ;   in Loop: Header=BB67_1 Depth=1
	s_or_b32 exec_lo, exec_lo, s13
	s_waitcnt lgkmcnt(0)
	s_barrier
	buffer_gl0_inv
	s_and_saveexec_b32 s13, s5
	s_cbranch_execz .LBB67_17
; %bb.14:                               ;   in Loop: Header=BB67_1 Depth=1
	ds_load_b64 v[19:20], v0
	s_waitcnt lgkmcnt(0)
	v_mov_b32_dpp v21, v19 row_shr:1 row_mask:0xf bank_mask:0xf
	v_mov_b32_dpp v22, v20 row_shr:1 row_mask:0xf bank_mask:0xf
	s_and_saveexec_b32 s14, s8
; %bb.15:                               ;   in Loop: Header=BB67_1 Depth=1
	s_delay_alu instid0(VALU_DEP_1)
	v_add_f64 v[19:20], v[19:20], v[21:22]
; %bb.16:                               ;   in Loop: Header=BB67_1 Depth=1
	s_or_b32 exec_lo, exec_lo, s14
	ds_store_b64 v0, v[19:20]
.LBB67_17:                              ;   in Loop: Header=BB67_1 Depth=1
	s_or_b32 exec_lo, exec_lo, s13
	s_waitcnt lgkmcnt(0)
	s_barrier
	buffer_gl0_inv
                                        ; implicit-def: $vgpr19_vgpr20
	s_and_saveexec_b32 s13, s6
	s_cbranch_execz .LBB67_19
; %bb.18:                               ;   in Loop: Header=BB67_1 Depth=1
	ds_load_b64 v[19:20], v25
	s_waitcnt lgkmcnt(0)
	v_add_f64 v[17:18], v[17:18], v[19:20]
.LBB67_19:                              ;   in Loop: Header=BB67_1 Depth=1
	s_or_b32 exec_lo, exec_lo, s13
	ds_bpermute_b32 v17, v24, v17
	ds_bpermute_b32 v18, v24, v18
	s_and_saveexec_b32 s13, s7
	s_cbranch_execz .LBB67_21
; %bb.20:                               ;   in Loop: Header=BB67_1 Depth=1
	s_waitcnt lgkmcnt(0)
	v_cndmask_b32_e64 v14, v18, v20, s9
	v_cndmask_b32_e64 v13, v17, v19, s9
	s_delay_alu instid0(VALU_DEP_1) | instskip(NEXT) | instid1(VALU_DEP_1)
	v_add_f64 v[7:8], v[7:8], v[13:14]
	v_add_f64 v[15:16], v[9:10], v[7:8]
	s_delay_alu instid0(VALU_DEP_1)
	v_add_f64 v[13:14], v[11:12], v[15:16]
.LBB67_21:                              ;   in Loop: Header=BB67_1 Depth=1
	s_or_b32 exec_lo, exec_lo, s13
	s_add_i32 s12, s12, -1
	s_delay_alu instid0(SALU_CYCLE_1)
	s_cmp_lg_u32 s12, 0
	s_cbranch_scc0 .LBB67_23
; %bb.22:                               ;   in Loop: Header=BB67_1 Depth=1
	v_dual_mov_b32 v9, v15 :: v_dual_mov_b32 v10, v16
	s_delay_alu instid0(VALU_DEP_2)
	v_dual_mov_b32 v11, v13 :: v_dual_mov_b32 v12, v14
	s_branch .LBB67_1
.LBB67_23:
	v_add_co_u32 v0, vcc_lo, s10, v1
	v_add_co_ci_u32_e32 v1, vcc_lo, s11, v2, vcc_lo
	v_add_co_u32 v5, vcc_lo, s10, v5
	v_add_co_ci_u32_e32 v6, vcc_lo, s11, v6, vcc_lo
	;; [unrolled: 2-line block ×3, first 2 shown]
	s_clause 0x2
	global_store_b64 v[0:1], v[7:8], off
	global_store_b64 v[5:6], v[15:16], off
	;; [unrolled: 1-line block ×3, first 2 shown]
	s_nop 0
	s_sendmsg sendmsg(MSG_DEALLOC_VGPRS)
	s_endpgm
	.section	.rodata,"a",@progbits
	.p2align	6, 0x0
	.amdhsa_kernel _Z6kernelI14inclusive_scanILN6hipcub18BlockScanAlgorithmE0EEdLj64ELj3ELj100EEvPKT0_PS4_S4_
		.amdhsa_group_segment_fixed_size 16
		.amdhsa_private_segment_fixed_size 0
		.amdhsa_kernarg_size 280
		.amdhsa_user_sgpr_count 15
		.amdhsa_user_sgpr_dispatch_ptr 0
		.amdhsa_user_sgpr_queue_ptr 0
		.amdhsa_user_sgpr_kernarg_segment_ptr 1
		.amdhsa_user_sgpr_dispatch_id 0
		.amdhsa_user_sgpr_private_segment_size 0
		.amdhsa_wavefront_size32 1
		.amdhsa_uses_dynamic_stack 0
		.amdhsa_enable_private_segment 0
		.amdhsa_system_sgpr_workgroup_id_x 1
		.amdhsa_system_sgpr_workgroup_id_y 0
		.amdhsa_system_sgpr_workgroup_id_z 0
		.amdhsa_system_sgpr_workgroup_info 0
		.amdhsa_system_vgpr_workitem_id 0
		.amdhsa_next_free_vgpr 26
		.amdhsa_next_free_sgpr 16
		.amdhsa_reserve_vcc 1
		.amdhsa_float_round_mode_32 0
		.amdhsa_float_round_mode_16_64 0
		.amdhsa_float_denorm_mode_32 3
		.amdhsa_float_denorm_mode_16_64 3
		.amdhsa_dx10_clamp 1
		.amdhsa_ieee_mode 1
		.amdhsa_fp16_overflow 0
		.amdhsa_workgroup_processor_mode 1
		.amdhsa_memory_ordered 1
		.amdhsa_forward_progress 0
		.amdhsa_shared_vgpr_count 0
		.amdhsa_exception_fp_ieee_invalid_op 0
		.amdhsa_exception_fp_denorm_src 0
		.amdhsa_exception_fp_ieee_div_zero 0
		.amdhsa_exception_fp_ieee_overflow 0
		.amdhsa_exception_fp_ieee_underflow 0
		.amdhsa_exception_fp_ieee_inexact 0
		.amdhsa_exception_int_div_zero 0
	.end_amdhsa_kernel
	.section	.text._Z6kernelI14inclusive_scanILN6hipcub18BlockScanAlgorithmE0EEdLj64ELj3ELj100EEvPKT0_PS4_S4_,"axG",@progbits,_Z6kernelI14inclusive_scanILN6hipcub18BlockScanAlgorithmE0EEdLj64ELj3ELj100EEvPKT0_PS4_S4_,comdat
.Lfunc_end67:
	.size	_Z6kernelI14inclusive_scanILN6hipcub18BlockScanAlgorithmE0EEdLj64ELj3ELj100EEvPKT0_PS4_S4_, .Lfunc_end67-_Z6kernelI14inclusive_scanILN6hipcub18BlockScanAlgorithmE0EEdLj64ELj3ELj100EEvPKT0_PS4_S4_
                                        ; -- End function
	.section	.AMDGPU.csdata,"",@progbits
; Kernel info:
; codeLenInByte = 948
; NumSgprs: 18
; NumVgprs: 26
; ScratchSize: 0
; MemoryBound: 0
; FloatMode: 240
; IeeeMode: 1
; LDSByteSize: 16 bytes/workgroup (compile time only)
; SGPRBlocks: 2
; VGPRBlocks: 3
; NumSGPRsForWavesPerEU: 18
; NumVGPRsForWavesPerEU: 26
; Occupancy: 16
; WaveLimiterHint : 0
; COMPUTE_PGM_RSRC2:SCRATCH_EN: 0
; COMPUTE_PGM_RSRC2:USER_SGPR: 15
; COMPUTE_PGM_RSRC2:TRAP_HANDLER: 0
; COMPUTE_PGM_RSRC2:TGID_X_EN: 1
; COMPUTE_PGM_RSRC2:TGID_Y_EN: 0
; COMPUTE_PGM_RSRC2:TGID_Z_EN: 0
; COMPUTE_PGM_RSRC2:TIDIG_COMP_CNT: 0
	.section	.text._Z6kernelI14inclusive_scanILN6hipcub18BlockScanAlgorithmE0EEdLj64ELj4ELj100EEvPKT0_PS4_S4_,"axG",@progbits,_Z6kernelI14inclusive_scanILN6hipcub18BlockScanAlgorithmE0EEdLj64ELj4ELj100EEvPKT0_PS4_S4_,comdat
	.protected	_Z6kernelI14inclusive_scanILN6hipcub18BlockScanAlgorithmE0EEdLj64ELj4ELj100EEvPKT0_PS4_S4_ ; -- Begin function _Z6kernelI14inclusive_scanILN6hipcub18BlockScanAlgorithmE0EEdLj64ELj4ELj100EEvPKT0_PS4_S4_
	.globl	_Z6kernelI14inclusive_scanILN6hipcub18BlockScanAlgorithmE0EEdLj64ELj4ELj100EEvPKT0_PS4_S4_
	.p2align	8
	.type	_Z6kernelI14inclusive_scanILN6hipcub18BlockScanAlgorithmE0EEdLj64ELj4ELj100EEvPKT0_PS4_S4_,@function
_Z6kernelI14inclusive_scanILN6hipcub18BlockScanAlgorithmE0EEdLj64ELj4ELj100EEvPKT0_PS4_S4_: ; @_Z6kernelI14inclusive_scanILN6hipcub18BlockScanAlgorithmE0EEdLj64ELj4ELj100EEvPKT0_PS4_S4_
; %bb.0:
	s_clause 0x1
	s_load_b32 s2, s[0:1], 0x24
	s_load_b128 s[8:11], s[0:1], 0x0
	v_mbcnt_lo_u32_b32 v9, -1, 0
	v_mov_b32_e32 v2, 0
	v_or_b32_e32 v12, 31, v0
	v_cmp_lt_u32_e64 s6, 31, v0
	v_cmp_ne_u32_e64 s7, 0, v0
	v_and_b32_e32 v11, 16, v9
	v_and_b32_e32 v10, 15, v9
	v_add_nc_u32_e32 v15, -1, v9
	v_cmp_eq_u32_e64 s4, v12, v0
	v_and_b32_e32 v12, 1, v9
	v_cmp_ne_u32_e64 s3, 0, v11
	v_cmp_lt_u32_e64 s1, 3, v10
	v_cmp_gt_i32_e64 s5, 0, v15
	s_movk_i32 s12, 0x64
	s_delay_alu instid0(VALU_DEP_1)
	v_cndmask_b32_e64 v11, v15, v9, s5
	s_waitcnt lgkmcnt(0)
	s_and_b32 s0, s2, 0xffff
	v_cmp_lt_u32_e64 s2, 7, v10
	s_mul_i32 s15, s15, s0
	v_cmp_lt_u32_e64 s0, 1, v10
	v_add_lshl_u32 v1, s15, v0, 2
	v_cmp_gt_u32_e64 s5, 2, v0
	v_lshlrev_b32_e32 v24, 2, v11
	s_delay_alu instid0(VALU_DEP_3) | instskip(NEXT) | instid1(VALU_DEP_1)
	v_lshlrev_b64 v[13:14], 3, v[1:2]
	v_add_co_u32 v1, vcc_lo, s8, v13
	s_delay_alu instid0(VALU_DEP_2)
	v_add_co_ci_u32_e32 v2, vcc_lo, s9, v14, vcc_lo
	v_cmp_ne_u32_e32 vcc_lo, 0, v10
	v_lshrrev_b32_e32 v10, 2, v0
	v_lshlrev_b32_e32 v0, 3, v0
	s_clause 0x1
	global_load_b128 v[5:8], v[1:2], off offset:16
	global_load_b128 v[1:4], v[1:2], off
	v_cmp_eq_u32_e64 s8, 1, v12
	v_cmp_eq_u32_e64 s9, 0, v9
	v_and_b32_e32 v23, 8, v10
	s_delay_alu instid0(VALU_DEP_1)
	v_add_nc_u32_e32 v25, -8, v23
.LBB68_1:                               ; =>This Inner Loop Header: Depth=1
	s_waitcnt vmcnt(0)
	v_add_f64 v[15:16], v[1:2], v[3:4]
	s_delay_alu instid0(VALU_DEP_1) | instskip(NEXT) | instid1(VALU_DEP_1)
	v_add_f64 v[9:10], v[5:6], v[15:16]
	v_add_f64 v[11:12], v[7:8], v[9:10]
	s_delay_alu instid0(VALU_DEP_1) | instskip(NEXT) | instid1(VALU_DEP_2)
	v_mov_b32_dpp v21, v11 row_shr:1 row_mask:0xf bank_mask:0xf
	v_mov_b32_dpp v22, v12 row_shr:1 row_mask:0xf bank_mask:0xf
	s_waitcnt lgkmcnt(0)
	v_dual_mov_b32 v18, v12 :: v_dual_mov_b32 v17, v11
	v_dual_mov_b32 v20, v12 :: v_dual_mov_b32 v19, v11
	s_and_saveexec_b32 s13, vcc_lo
; %bb.2:                                ;   in Loop: Header=BB68_1 Depth=1
	v_add_f64 v[17:18], v[11:12], v[21:22]
	s_delay_alu instid0(VALU_DEP_1)
	v_dual_mov_b32 v20, v18 :: v_dual_mov_b32 v19, v17
; %bb.3:                                ;   in Loop: Header=BB68_1 Depth=1
	s_or_b32 exec_lo, exec_lo, s13
	s_delay_alu instid0(VALU_DEP_1) | instskip(NEXT) | instid1(VALU_DEP_2)
	v_mov_b32_dpp v21, v19 row_shr:2 row_mask:0xf bank_mask:0xf
	v_mov_b32_dpp v22, v20 row_shr:2 row_mask:0xf bank_mask:0xf
	s_and_saveexec_b32 s13, s0
; %bb.4:                                ;   in Loop: Header=BB68_1 Depth=1
	s_delay_alu instid0(VALU_DEP_1) | instskip(NEXT) | instid1(VALU_DEP_1)
	v_add_f64 v[19:20], v[17:18], v[21:22]
	v_dual_mov_b32 v17, v19 :: v_dual_mov_b32 v18, v20
; %bb.5:                                ;   in Loop: Header=BB68_1 Depth=1
	s_or_b32 exec_lo, exec_lo, s13
	v_mov_b32_dpp v21, v19 row_shr:4 row_mask:0xf bank_mask:0xf
	v_mov_b32_dpp v22, v20 row_shr:4 row_mask:0xf bank_mask:0xf
	s_and_saveexec_b32 s13, s1
; %bb.6:                                ;   in Loop: Header=BB68_1 Depth=1
	s_delay_alu instid0(VALU_DEP_1) | instskip(NEXT) | instid1(VALU_DEP_1)
	v_add_f64 v[19:20], v[17:18], v[21:22]
	v_dual_mov_b32 v17, v19 :: v_dual_mov_b32 v18, v20
; %bb.7:                                ;   in Loop: Header=BB68_1 Depth=1
	s_or_b32 exec_lo, exec_lo, s13
	;; [unrolled: 9-line block ×3, first 2 shown]
	ds_swizzle_b32 v19, v19 offset:swizzle(BROADCAST,32,15)
	ds_swizzle_b32 v20, v20 offset:swizzle(BROADCAST,32,15)
	s_and_saveexec_b32 s13, s3
	s_cbranch_execz .LBB68_11
; %bb.10:                               ;   in Loop: Header=BB68_1 Depth=1
	s_waitcnt lgkmcnt(0)
	v_add_f64 v[17:18], v[17:18], v[19:20]
.LBB68_11:                              ;   in Loop: Header=BB68_1 Depth=1
	s_or_b32 exec_lo, exec_lo, s13
	s_and_saveexec_b32 s13, s4
	s_cbranch_execz .LBB68_13
; %bb.12:                               ;   in Loop: Header=BB68_1 Depth=1
	ds_store_b64 v23, v[17:18]
.LBB68_13:                              ;   in Loop: Header=BB68_1 Depth=1
	s_or_b32 exec_lo, exec_lo, s13
	s_waitcnt lgkmcnt(0)
	s_barrier
	buffer_gl0_inv
	s_and_saveexec_b32 s13, s5
	s_cbranch_execz .LBB68_17
; %bb.14:                               ;   in Loop: Header=BB68_1 Depth=1
	ds_load_b64 v[19:20], v0
	s_waitcnt lgkmcnt(0)
	v_mov_b32_dpp v21, v19 row_shr:1 row_mask:0xf bank_mask:0xf
	v_mov_b32_dpp v22, v20 row_shr:1 row_mask:0xf bank_mask:0xf
	s_and_saveexec_b32 s14, s8
; %bb.15:                               ;   in Loop: Header=BB68_1 Depth=1
	s_delay_alu instid0(VALU_DEP_1)
	v_add_f64 v[19:20], v[19:20], v[21:22]
; %bb.16:                               ;   in Loop: Header=BB68_1 Depth=1
	s_or_b32 exec_lo, exec_lo, s14
	ds_store_b64 v0, v[19:20]
.LBB68_17:                              ;   in Loop: Header=BB68_1 Depth=1
	s_or_b32 exec_lo, exec_lo, s13
	s_waitcnt lgkmcnt(0)
	s_barrier
	buffer_gl0_inv
                                        ; implicit-def: $vgpr19_vgpr20
	s_and_saveexec_b32 s13, s6
	s_cbranch_execz .LBB68_19
; %bb.18:                               ;   in Loop: Header=BB68_1 Depth=1
	ds_load_b64 v[19:20], v25
	s_waitcnt lgkmcnt(0)
	v_add_f64 v[17:18], v[17:18], v[19:20]
.LBB68_19:                              ;   in Loop: Header=BB68_1 Depth=1
	s_or_b32 exec_lo, exec_lo, s13
	ds_bpermute_b32 v17, v24, v17
	ds_bpermute_b32 v18, v24, v18
	s_and_saveexec_b32 s13, s7
	s_cbranch_execz .LBB68_21
; %bb.20:                               ;   in Loop: Header=BB68_1 Depth=1
	s_waitcnt lgkmcnt(0)
	v_cndmask_b32_e64 v10, v18, v20, s9
	v_cndmask_b32_e64 v9, v17, v19, s9
	s_delay_alu instid0(VALU_DEP_1) | instskip(NEXT) | instid1(VALU_DEP_1)
	v_add_f64 v[1:2], v[1:2], v[9:10]
	v_add_f64 v[15:16], v[3:4], v[1:2]
	s_delay_alu instid0(VALU_DEP_1) | instskip(NEXT) | instid1(VALU_DEP_1)
	v_add_f64 v[9:10], v[5:6], v[15:16]
	v_add_f64 v[11:12], v[7:8], v[9:10]
.LBB68_21:                              ;   in Loop: Header=BB68_1 Depth=1
	s_or_b32 exec_lo, exec_lo, s13
	s_add_i32 s12, s12, -1
	s_delay_alu instid0(SALU_CYCLE_1)
	s_cmp_lg_u32 s12, 0
	s_cbranch_scc0 .LBB68_23
; %bb.22:                               ;   in Loop: Header=BB68_1 Depth=1
	v_dual_mov_b32 v3, v15 :: v_dual_mov_b32 v4, v16
	v_dual_mov_b32 v5, v9 :: v_dual_mov_b32 v6, v10
	s_delay_alu instid0(VALU_DEP_3)
	v_dual_mov_b32 v7, v11 :: v_dual_mov_b32 v8, v12
	s_branch .LBB68_1
.LBB68_23:
	v_add_co_u32 v5, vcc_lo, s10, v13
	v_add_co_ci_u32_e32 v6, vcc_lo, s11, v14, vcc_lo
	v_dual_mov_b32 v3, v15 :: v_dual_mov_b32 v4, v16
	s_clause 0x1
	global_store_b128 v[5:6], v[1:4], off
	global_store_b128 v[5:6], v[9:12], off offset:16
	s_nop 0
	s_sendmsg sendmsg(MSG_DEALLOC_VGPRS)
	s_endpgm
	.section	.rodata,"a",@progbits
	.p2align	6, 0x0
	.amdhsa_kernel _Z6kernelI14inclusive_scanILN6hipcub18BlockScanAlgorithmE0EEdLj64ELj4ELj100EEvPKT0_PS4_S4_
		.amdhsa_group_segment_fixed_size 16
		.amdhsa_private_segment_fixed_size 0
		.amdhsa_kernarg_size 280
		.amdhsa_user_sgpr_count 15
		.amdhsa_user_sgpr_dispatch_ptr 0
		.amdhsa_user_sgpr_queue_ptr 0
		.amdhsa_user_sgpr_kernarg_segment_ptr 1
		.amdhsa_user_sgpr_dispatch_id 0
		.amdhsa_user_sgpr_private_segment_size 0
		.amdhsa_wavefront_size32 1
		.amdhsa_uses_dynamic_stack 0
		.amdhsa_enable_private_segment 0
		.amdhsa_system_sgpr_workgroup_id_x 1
		.amdhsa_system_sgpr_workgroup_id_y 0
		.amdhsa_system_sgpr_workgroup_id_z 0
		.amdhsa_system_sgpr_workgroup_info 0
		.amdhsa_system_vgpr_workitem_id 0
		.amdhsa_next_free_vgpr 26
		.amdhsa_next_free_sgpr 16
		.amdhsa_reserve_vcc 1
		.amdhsa_float_round_mode_32 0
		.amdhsa_float_round_mode_16_64 0
		.amdhsa_float_denorm_mode_32 3
		.amdhsa_float_denorm_mode_16_64 3
		.amdhsa_dx10_clamp 1
		.amdhsa_ieee_mode 1
		.amdhsa_fp16_overflow 0
		.amdhsa_workgroup_processor_mode 1
		.amdhsa_memory_ordered 1
		.amdhsa_forward_progress 0
		.amdhsa_shared_vgpr_count 0
		.amdhsa_exception_fp_ieee_invalid_op 0
		.amdhsa_exception_fp_denorm_src 0
		.amdhsa_exception_fp_ieee_div_zero 0
		.amdhsa_exception_fp_ieee_overflow 0
		.amdhsa_exception_fp_ieee_underflow 0
		.amdhsa_exception_fp_ieee_inexact 0
		.amdhsa_exception_int_div_zero 0
	.end_amdhsa_kernel
	.section	.text._Z6kernelI14inclusive_scanILN6hipcub18BlockScanAlgorithmE0EEdLj64ELj4ELj100EEvPKT0_PS4_S4_,"axG",@progbits,_Z6kernelI14inclusive_scanILN6hipcub18BlockScanAlgorithmE0EEdLj64ELj4ELj100EEvPKT0_PS4_S4_,comdat
.Lfunc_end68:
	.size	_Z6kernelI14inclusive_scanILN6hipcub18BlockScanAlgorithmE0EEdLj64ELj4ELj100EEvPKT0_PS4_S4_, .Lfunc_end68-_Z6kernelI14inclusive_scanILN6hipcub18BlockScanAlgorithmE0EEdLj64ELj4ELj100EEvPKT0_PS4_S4_
                                        ; -- End function
	.section	.AMDGPU.csdata,"",@progbits
; Kernel info:
; codeLenInByte = 872
; NumSgprs: 18
; NumVgprs: 26
; ScratchSize: 0
; MemoryBound: 0
; FloatMode: 240
; IeeeMode: 1
; LDSByteSize: 16 bytes/workgroup (compile time only)
; SGPRBlocks: 2
; VGPRBlocks: 3
; NumSGPRsForWavesPerEU: 18
; NumVGPRsForWavesPerEU: 26
; Occupancy: 16
; WaveLimiterHint : 0
; COMPUTE_PGM_RSRC2:SCRATCH_EN: 0
; COMPUTE_PGM_RSRC2:USER_SGPR: 15
; COMPUTE_PGM_RSRC2:TRAP_HANDLER: 0
; COMPUTE_PGM_RSRC2:TGID_X_EN: 1
; COMPUTE_PGM_RSRC2:TGID_Y_EN: 0
; COMPUTE_PGM_RSRC2:TGID_Z_EN: 0
; COMPUTE_PGM_RSRC2:TIDIG_COMP_CNT: 0
	.section	.text._Z6kernelI14inclusive_scanILN6hipcub18BlockScanAlgorithmE0EEdLj64ELj8ELj100EEvPKT0_PS4_S4_,"axG",@progbits,_Z6kernelI14inclusive_scanILN6hipcub18BlockScanAlgorithmE0EEdLj64ELj8ELj100EEvPKT0_PS4_S4_,comdat
	.protected	_Z6kernelI14inclusive_scanILN6hipcub18BlockScanAlgorithmE0EEdLj64ELj8ELj100EEvPKT0_PS4_S4_ ; -- Begin function _Z6kernelI14inclusive_scanILN6hipcub18BlockScanAlgorithmE0EEdLj64ELj8ELj100EEvPKT0_PS4_S4_
	.globl	_Z6kernelI14inclusive_scanILN6hipcub18BlockScanAlgorithmE0EEdLj64ELj8ELj100EEvPKT0_PS4_S4_
	.p2align	8
	.type	_Z6kernelI14inclusive_scanILN6hipcub18BlockScanAlgorithmE0EEdLj64ELj8ELj100EEvPKT0_PS4_S4_,@function
_Z6kernelI14inclusive_scanILN6hipcub18BlockScanAlgorithmE0EEdLj64ELj8ELj100EEvPKT0_PS4_S4_: ; @_Z6kernelI14inclusive_scanILN6hipcub18BlockScanAlgorithmE0EEdLj64ELj8ELj100EEvPKT0_PS4_S4_
; %bb.0:
	s_clause 0x1
	s_load_b32 s2, s[0:1], 0x24
	s_load_b128 s[8:11], s[0:1], 0x0
	v_mbcnt_lo_u32_b32 v17, -1, 0
	v_mov_b32_e32 v2, 0
	v_or_b32_e32 v20, 31, v0
	v_cmp_lt_u32_e64 s6, 31, v0
	v_cmp_ne_u32_e64 s7, 0, v0
	v_and_b32_e32 v19, 16, v17
	v_and_b32_e32 v18, 15, v17
	v_add_nc_u32_e32 v21, -1, v17
	v_cmp_eq_u32_e64 s4, v20, v0
	v_and_b32_e32 v20, 1, v17
	v_cmp_ne_u32_e64 s3, 0, v19
	v_cmp_lt_u32_e64 s1, 3, v18
	v_cmp_gt_i32_e64 s5, 0, v21
	s_movk_i32 s12, 0x64
	s_delay_alu instid0(VALU_DEP_1)
	v_cndmask_b32_e64 v19, v21, v17, s5
	s_waitcnt lgkmcnt(0)
	s_and_b32 s0, s2, 0xffff
	v_cmp_lt_u32_e64 s2, 7, v18
	s_mul_i32 s15, s15, s0
	v_cmp_lt_u32_e64 s0, 1, v18
	v_add_lshl_u32 v1, s15, v0, 3
	v_cmp_gt_u32_e64 s5, 2, v0
	v_lshlrev_b32_e32 v40, 2, v19
	s_delay_alu instid0(VALU_DEP_3) | instskip(NEXT) | instid1(VALU_DEP_1)
	v_lshlrev_b64 v[29:30], 3, v[1:2]
	v_add_co_u32 v1, vcc_lo, s8, v29
	s_delay_alu instid0(VALU_DEP_2)
	v_add_co_ci_u32_e32 v2, vcc_lo, s9, v30, vcc_lo
	v_cmp_ne_u32_e32 vcc_lo, 0, v18
	v_lshrrev_b32_e32 v18, 2, v0
	v_lshlrev_b32_e32 v0, 3, v0
	s_clause 0x3
	global_load_b128 v[5:8], v[1:2], off offset:48
	global_load_b128 v[9:12], v[1:2], off offset:32
	;; [unrolled: 1-line block ×3, first 2 shown]
	global_load_b128 v[1:4], v[1:2], off
	v_cmp_eq_u32_e64 s8, 1, v20
	v_cmp_eq_u32_e64 s9, 0, v17
	v_and_b32_e32 v39, 8, v18
	s_delay_alu instid0(VALU_DEP_1)
	v_add_nc_u32_e32 v41, -8, v39
.LBB69_1:                               ; =>This Inner Loop Header: Depth=1
	s_waitcnt vmcnt(0)
	s_delay_alu instid0(VALU_DEP_1) | instskip(NEXT) | instid1(VALU_DEP_1)
	v_add_f64 v[31:32], v[3:4], v[1:2]
	v_add_f64 v[25:26], v[13:14], v[31:32]
	s_delay_alu instid0(VALU_DEP_1) | instskip(NEXT) | instid1(VALU_DEP_1)
	v_add_f64 v[27:28], v[15:16], v[25:26]
	v_add_f64 v[21:22], v[9:10], v[27:28]
	;; [unrolled: 3-line block ×3, first 2 shown]
	s_delay_alu instid0(VALU_DEP_1) | instskip(NEXT) | instid1(VALU_DEP_1)
	v_add_f64 v[19:20], v[7:8], v[17:18]
	v_mov_b32_dpp v37, v19 row_shr:1 row_mask:0xf bank_mask:0xf
	s_delay_alu instid0(VALU_DEP_2)
	v_mov_b32_dpp v38, v20 row_shr:1 row_mask:0xf bank_mask:0xf
	s_waitcnt lgkmcnt(0)
	v_dual_mov_b32 v34, v20 :: v_dual_mov_b32 v33, v19
	v_dual_mov_b32 v36, v20 :: v_dual_mov_b32 v35, v19
	s_and_saveexec_b32 s13, vcc_lo
; %bb.2:                                ;   in Loop: Header=BB69_1 Depth=1
	v_add_f64 v[33:34], v[19:20], v[37:38]
	s_delay_alu instid0(VALU_DEP_1)
	v_dual_mov_b32 v36, v34 :: v_dual_mov_b32 v35, v33
; %bb.3:                                ;   in Loop: Header=BB69_1 Depth=1
	s_or_b32 exec_lo, exec_lo, s13
	s_delay_alu instid0(VALU_DEP_1) | instskip(NEXT) | instid1(VALU_DEP_2)
	v_mov_b32_dpp v37, v35 row_shr:2 row_mask:0xf bank_mask:0xf
	v_mov_b32_dpp v38, v36 row_shr:2 row_mask:0xf bank_mask:0xf
	s_and_saveexec_b32 s13, s0
; %bb.4:                                ;   in Loop: Header=BB69_1 Depth=1
	s_delay_alu instid0(VALU_DEP_1) | instskip(NEXT) | instid1(VALU_DEP_1)
	v_add_f64 v[35:36], v[33:34], v[37:38]
	v_dual_mov_b32 v33, v35 :: v_dual_mov_b32 v34, v36
; %bb.5:                                ;   in Loop: Header=BB69_1 Depth=1
	s_or_b32 exec_lo, exec_lo, s13
	v_mov_b32_dpp v37, v35 row_shr:4 row_mask:0xf bank_mask:0xf
	v_mov_b32_dpp v38, v36 row_shr:4 row_mask:0xf bank_mask:0xf
	s_and_saveexec_b32 s13, s1
; %bb.6:                                ;   in Loop: Header=BB69_1 Depth=1
	s_delay_alu instid0(VALU_DEP_1) | instskip(NEXT) | instid1(VALU_DEP_1)
	v_add_f64 v[35:36], v[33:34], v[37:38]
	v_dual_mov_b32 v33, v35 :: v_dual_mov_b32 v34, v36
; %bb.7:                                ;   in Loop: Header=BB69_1 Depth=1
	s_or_b32 exec_lo, exec_lo, s13
	;; [unrolled: 9-line block ×3, first 2 shown]
	ds_swizzle_b32 v35, v35 offset:swizzle(BROADCAST,32,15)
	ds_swizzle_b32 v36, v36 offset:swizzle(BROADCAST,32,15)
	s_and_saveexec_b32 s13, s3
	s_cbranch_execz .LBB69_11
; %bb.10:                               ;   in Loop: Header=BB69_1 Depth=1
	s_waitcnt lgkmcnt(0)
	v_add_f64 v[33:34], v[33:34], v[35:36]
.LBB69_11:                              ;   in Loop: Header=BB69_1 Depth=1
	s_or_b32 exec_lo, exec_lo, s13
	s_and_saveexec_b32 s13, s4
	s_cbranch_execz .LBB69_13
; %bb.12:                               ;   in Loop: Header=BB69_1 Depth=1
	ds_store_b64 v39, v[33:34]
.LBB69_13:                              ;   in Loop: Header=BB69_1 Depth=1
	s_or_b32 exec_lo, exec_lo, s13
	s_waitcnt lgkmcnt(0)
	s_barrier
	buffer_gl0_inv
	s_and_saveexec_b32 s13, s5
	s_cbranch_execz .LBB69_17
; %bb.14:                               ;   in Loop: Header=BB69_1 Depth=1
	ds_load_b64 v[35:36], v0
	s_waitcnt lgkmcnt(0)
	v_mov_b32_dpp v37, v35 row_shr:1 row_mask:0xf bank_mask:0xf
	v_mov_b32_dpp v38, v36 row_shr:1 row_mask:0xf bank_mask:0xf
	s_and_saveexec_b32 s14, s8
; %bb.15:                               ;   in Loop: Header=BB69_1 Depth=1
	s_delay_alu instid0(VALU_DEP_1)
	v_add_f64 v[35:36], v[35:36], v[37:38]
; %bb.16:                               ;   in Loop: Header=BB69_1 Depth=1
	s_or_b32 exec_lo, exec_lo, s14
	ds_store_b64 v0, v[35:36]
.LBB69_17:                              ;   in Loop: Header=BB69_1 Depth=1
	s_or_b32 exec_lo, exec_lo, s13
	s_waitcnt lgkmcnt(0)
	s_barrier
	buffer_gl0_inv
                                        ; implicit-def: $vgpr35_vgpr36
	s_and_saveexec_b32 s13, s6
	s_cbranch_execz .LBB69_19
; %bb.18:                               ;   in Loop: Header=BB69_1 Depth=1
	ds_load_b64 v[35:36], v41
	s_waitcnt lgkmcnt(0)
	v_add_f64 v[33:34], v[33:34], v[35:36]
.LBB69_19:                              ;   in Loop: Header=BB69_1 Depth=1
	s_or_b32 exec_lo, exec_lo, s13
	ds_bpermute_b32 v33, v40, v33
	ds_bpermute_b32 v34, v40, v34
	s_and_saveexec_b32 s13, s7
	s_cbranch_execz .LBB69_21
; %bb.20:                               ;   in Loop: Header=BB69_1 Depth=1
	s_waitcnt lgkmcnt(0)
	v_cndmask_b32_e64 v18, v34, v36, s9
	v_cndmask_b32_e64 v17, v33, v35, s9
	s_delay_alu instid0(VALU_DEP_1) | instskip(NEXT) | instid1(VALU_DEP_1)
	v_add_f64 v[1:2], v[1:2], v[17:18]
	v_add_f64 v[31:32], v[3:4], v[1:2]
	s_delay_alu instid0(VALU_DEP_1) | instskip(NEXT) | instid1(VALU_DEP_1)
	v_add_f64 v[25:26], v[13:14], v[31:32]
	v_add_f64 v[27:28], v[15:16], v[25:26]
	;; [unrolled: 3-line block ×4, first 2 shown]
.LBB69_21:                              ;   in Loop: Header=BB69_1 Depth=1
	s_or_b32 exec_lo, exec_lo, s13
	s_add_i32 s12, s12, -1
	s_delay_alu instid0(SALU_CYCLE_1)
	s_cmp_lg_u32 s12, 0
	s_cbranch_scc0 .LBB69_23
; %bb.22:                               ;   in Loop: Header=BB69_1 Depth=1
	s_delay_alu instid0(VALU_DEP_1)
	v_dual_mov_b32 v7, v19 :: v_dual_mov_b32 v8, v20
	v_dual_mov_b32 v5, v17 :: v_dual_mov_b32 v6, v18
	;; [unrolled: 1-line block ×7, first 2 shown]
	s_branch .LBB69_1
.LBB69_23:
	v_add_co_u32 v5, vcc_lo, s10, v29
	v_add_co_ci_u32_e32 v6, vcc_lo, s11, v30, vcc_lo
	v_dual_mov_b32 v3, v31 :: v_dual_mov_b32 v4, v32
	s_clause 0x3
	global_store_b128 v[5:6], v[1:4], off
	global_store_b128 v[5:6], v[25:28], off offset:16
	global_store_b128 v[5:6], v[21:24], off offset:32
	;; [unrolled: 1-line block ×3, first 2 shown]
	s_nop 0
	s_sendmsg sendmsg(MSG_DEALLOC_VGPRS)
	s_endpgm
	.section	.rodata,"a",@progbits
	.p2align	6, 0x0
	.amdhsa_kernel _Z6kernelI14inclusive_scanILN6hipcub18BlockScanAlgorithmE0EEdLj64ELj8ELj100EEvPKT0_PS4_S4_
		.amdhsa_group_segment_fixed_size 16
		.amdhsa_private_segment_fixed_size 0
		.amdhsa_kernarg_size 280
		.amdhsa_user_sgpr_count 15
		.amdhsa_user_sgpr_dispatch_ptr 0
		.amdhsa_user_sgpr_queue_ptr 0
		.amdhsa_user_sgpr_kernarg_segment_ptr 1
		.amdhsa_user_sgpr_dispatch_id 0
		.amdhsa_user_sgpr_private_segment_size 0
		.amdhsa_wavefront_size32 1
		.amdhsa_uses_dynamic_stack 0
		.amdhsa_enable_private_segment 0
		.amdhsa_system_sgpr_workgroup_id_x 1
		.amdhsa_system_sgpr_workgroup_id_y 0
		.amdhsa_system_sgpr_workgroup_id_z 0
		.amdhsa_system_sgpr_workgroup_info 0
		.amdhsa_system_vgpr_workitem_id 0
		.amdhsa_next_free_vgpr 42
		.amdhsa_next_free_sgpr 16
		.amdhsa_reserve_vcc 1
		.amdhsa_float_round_mode_32 0
		.amdhsa_float_round_mode_16_64 0
		.amdhsa_float_denorm_mode_32 3
		.amdhsa_float_denorm_mode_16_64 3
		.amdhsa_dx10_clamp 1
		.amdhsa_ieee_mode 1
		.amdhsa_fp16_overflow 0
		.amdhsa_workgroup_processor_mode 1
		.amdhsa_memory_ordered 1
		.amdhsa_forward_progress 0
		.amdhsa_shared_vgpr_count 0
		.amdhsa_exception_fp_ieee_invalid_op 0
		.amdhsa_exception_fp_denorm_src 0
		.amdhsa_exception_fp_ieee_div_zero 0
		.amdhsa_exception_fp_ieee_overflow 0
		.amdhsa_exception_fp_ieee_underflow 0
		.amdhsa_exception_fp_ieee_inexact 0
		.amdhsa_exception_int_div_zero 0
	.end_amdhsa_kernel
	.section	.text._Z6kernelI14inclusive_scanILN6hipcub18BlockScanAlgorithmE0EEdLj64ELj8ELj100EEvPKT0_PS4_S4_,"axG",@progbits,_Z6kernelI14inclusive_scanILN6hipcub18BlockScanAlgorithmE0EEdLj64ELj8ELj100EEvPKT0_PS4_S4_,comdat
.Lfunc_end69:
	.size	_Z6kernelI14inclusive_scanILN6hipcub18BlockScanAlgorithmE0EEdLj64ELj8ELj100EEvPKT0_PS4_S4_, .Lfunc_end69-_Z6kernelI14inclusive_scanILN6hipcub18BlockScanAlgorithmE0EEdLj64ELj8ELj100EEvPKT0_PS4_S4_
                                        ; -- End function
	.section	.AMDGPU.csdata,"",@progbits
; Kernel info:
; codeLenInByte = 1020
; NumSgprs: 18
; NumVgprs: 42
; ScratchSize: 0
; MemoryBound: 0
; FloatMode: 240
; IeeeMode: 1
; LDSByteSize: 16 bytes/workgroup (compile time only)
; SGPRBlocks: 2
; VGPRBlocks: 5
; NumSGPRsForWavesPerEU: 18
; NumVGPRsForWavesPerEU: 42
; Occupancy: 16
; WaveLimiterHint : 0
; COMPUTE_PGM_RSRC2:SCRATCH_EN: 0
; COMPUTE_PGM_RSRC2:USER_SGPR: 15
; COMPUTE_PGM_RSRC2:TRAP_HANDLER: 0
; COMPUTE_PGM_RSRC2:TGID_X_EN: 1
; COMPUTE_PGM_RSRC2:TGID_Y_EN: 0
; COMPUTE_PGM_RSRC2:TGID_Z_EN: 0
; COMPUTE_PGM_RSRC2:TIDIG_COMP_CNT: 0
	.section	.text._Z6kernelI14inclusive_scanILN6hipcub18BlockScanAlgorithmE0EEdLj64ELj11ELj100EEvPKT0_PS4_S4_,"axG",@progbits,_Z6kernelI14inclusive_scanILN6hipcub18BlockScanAlgorithmE0EEdLj64ELj11ELj100EEvPKT0_PS4_S4_,comdat
	.protected	_Z6kernelI14inclusive_scanILN6hipcub18BlockScanAlgorithmE0EEdLj64ELj11ELj100EEvPKT0_PS4_S4_ ; -- Begin function _Z6kernelI14inclusive_scanILN6hipcub18BlockScanAlgorithmE0EEdLj64ELj11ELj100EEvPKT0_PS4_S4_
	.globl	_Z6kernelI14inclusive_scanILN6hipcub18BlockScanAlgorithmE0EEdLj64ELj11ELj100EEvPKT0_PS4_S4_
	.p2align	8
	.type	_Z6kernelI14inclusive_scanILN6hipcub18BlockScanAlgorithmE0EEdLj64ELj11ELj100EEvPKT0_PS4_S4_,@function
_Z6kernelI14inclusive_scanILN6hipcub18BlockScanAlgorithmE0EEdLj64ELj11ELj100EEvPKT0_PS4_S4_: ; @_Z6kernelI14inclusive_scanILN6hipcub18BlockScanAlgorithmE0EEdLj64ELj11ELj100EEvPKT0_PS4_S4_
; %bb.0:
	s_clause 0x1
	s_load_b32 s2, s[0:1], 0x24
	s_load_b128 s[8:11], s[0:1], 0x0
	v_cmp_lt_u32_e64 s6, 31, v0
	v_cmp_ne_u32_e64 s7, 0, v0
	s_movk_i32 s12, 0x64
	s_waitcnt lgkmcnt(0)
	s_and_b32 s2, s2, 0xffff
	s_delay_alu instid0(SALU_CYCLE_1) | instskip(NEXT) | instid1(VALU_DEP_1)
	v_mad_u64_u32 v[1:2], null, s15, s2, v[0:1]
	v_mul_lo_u32 v23, v1, 11
	s_delay_alu instid0(VALU_DEP_1) | instskip(NEXT) | instid1(VALU_DEP_1)
	v_dual_mov_b32 v24, 0 :: v_dual_add_nc_u32 v1, 1, v23
	v_dual_mov_b32 v2, v24 :: v_dual_add_nc_u32 v3, 2, v23
	v_lshlrev_b64 v[15:16], 3, v[23:24]
	v_dual_mov_b32 v4, v24 :: v_dual_add_nc_u32 v5, 3, v23
	v_dual_mov_b32 v6, v24 :: v_dual_add_nc_u32 v7, 4, v23
	;; [unrolled: 1-line block ×3, first 2 shown]
	v_lshlrev_b64 v[17:18], 3, v[1:2]
	v_dual_mov_b32 v12, v24 :: v_dual_add_nc_u32 v19, 6, v23
	v_lshlrev_b64 v[13:14], 3, v[3:4]
	v_lshlrev_b64 v[9:10], 3, v[5:6]
	;; [unrolled: 1-line block ×3, first 2 shown]
	v_add_co_u32 v7, vcc_lo, s8, v15
	v_dual_mov_b32 v20, v24 :: v_dual_add_nc_u32 v31, 7, v23
	v_add_co_ci_u32_e32 v8, vcc_lo, s9, v16, vcc_lo
	v_lshlrev_b64 v[3:4], 3, v[11:12]
	v_add_co_u32 v11, vcc_lo, s8, v17
	v_add_co_ci_u32_e32 v12, vcc_lo, s9, v18, vcc_lo
	v_lshlrev_b64 v[1:2], 3, v[19:20]
	v_add_co_u32 v19, vcc_lo, s8, v13
	v_add_co_ci_u32_e32 v20, vcc_lo, s9, v14, vcc_lo
	v_add_co_u32 v25, vcc_lo, s8, v9
	v_mov_b32_e32 v32, v24
	v_add_co_ci_u32_e32 v26, vcc_lo, s9, v10, vcc_lo
	v_add_co_u32 v33, vcc_lo, s8, v5
	s_clause 0x3
	global_load_b64 v[21:22], v[7:8], off
	global_load_b64 v[29:30], v[11:12], off
	;; [unrolled: 1-line block ×4, first 2 shown]
	v_dual_mov_b32 v12, v24 :: v_dual_add_nc_u32 v11, 8, v23
	v_add_nc_u32_e32 v19, 9, v23
	v_add_co_ci_u32_e32 v34, vcc_lo, s9, v6, vcc_lo
	v_add_co_u32 v35, vcc_lo, s8, v3
	v_lshlrev_b64 v[7:8], 3, v[31:32]
	v_dual_mov_b32 v20, v24 :: v_dual_add_nc_u32 v23, 10, v23
	v_add_co_ci_u32_e32 v36, vcc_lo, s9, v4, vcc_lo
	v_add_co_u32 v31, vcc_lo, s8, v1
	v_lshlrev_b64 v[11:12], 3, v[11:12]
	v_add_co_ci_u32_e32 v32, vcc_lo, s9, v2, vcc_lo
	v_add_co_u32 v37, vcc_lo, s8, v7
	v_lshlrev_b64 v[19:20], 3, v[19:20]
	;; [unrolled: 3-line block ×3, first 2 shown]
	v_add_co_ci_u32_e32 v40, vcc_lo, s9, v12, vcc_lo
	v_add_co_u32 v43, vcc_lo, s8, v19
	v_add_co_ci_u32_e32 v44, vcc_lo, s9, v20, vcc_lo
	s_delay_alu instid0(VALU_DEP_4)
	v_add_co_u32 v49, vcc_lo, s8, v23
	v_add_co_ci_u32_e32 v50, vcc_lo, s9, v24, vcc_lo
	s_clause 0x6
	global_load_b64 v[53:54], v[33:34], off
	global_load_b64 v[51:52], v[35:36], off
	;; [unrolled: 1-line block ×7, first 2 shown]
	v_mbcnt_lo_u32_b32 v31, -1, 0
	v_or_b32_e32 v34, 31, v0
	s_delay_alu instid0(VALU_DEP_2) | instskip(SKIP_2) | instid1(VALU_DEP_4)
	v_and_b32_e32 v32, 15, v31
	v_add_nc_u32_e32 v35, -1, v31
	v_and_b32_e32 v33, 16, v31
	v_cmp_eq_u32_e64 s4, v34, v0
	v_and_b32_e32 v34, 1, v31
	v_cmp_ne_u32_e32 vcc_lo, 0, v32
	v_cmp_lt_u32_e64 s0, 1, v32
	v_cmp_lt_u32_e64 s1, 3, v32
	v_cmp_lt_u32_e64 s2, 7, v32
	v_lshrrev_b32_e32 v32, 2, v0
	v_cmp_gt_i32_e64 s5, 0, v35
	v_cmp_ne_u32_e64 s3, 0, v33
	v_cmp_eq_u32_e64 s8, 1, v34
	v_cmp_eq_u32_e64 s9, 0, v31
	v_and_b32_e32 v71, 8, v32
	v_cndmask_b32_e64 v33, v35, v31, s5
	v_cmp_gt_u32_e64 s5, 2, v0
	v_lshlrev_b32_e32 v0, 3, v0
	s_delay_alu instid0(VALU_DEP_4) | instskip(NEXT) | instid1(VALU_DEP_4)
	v_add_nc_u32_e32 v73, -8, v71
	v_lshlrev_b32_e32 v72, 2, v33
.LBB70_1:                               ; =>This Inner Loop Header: Depth=1
	s_waitcnt vmcnt(9)
	s_delay_alu instid0(VALU_DEP_1) | instskip(SKIP_1) | instid1(VALU_DEP_1)
	v_add_f64 v[59:60], v[29:30], v[21:22]
	s_waitcnt vmcnt(8)
	v_add_f64 v[63:64], v[27:28], v[59:60]
	s_waitcnt vmcnt(7)
	s_delay_alu instid0(VALU_DEP_1) | instskip(SKIP_1) | instid1(VALU_DEP_1)
	v_add_f64 v[61:62], v[25:26], v[63:64]
	s_waitcnt vmcnt(6)
	v_add_f64 v[31:32], v[53:54], v[61:62]
	;; [unrolled: 5-line block ×5, first 2 shown]
	s_delay_alu instid0(VALU_DEP_1) | instskip(NEXT) | instid1(VALU_DEP_2)
	v_mov_b32_dpp v69, v55 row_shr:1 row_mask:0xf bank_mask:0xf
	v_mov_b32_dpp v70, v56 row_shr:1 row_mask:0xf bank_mask:0xf
	s_waitcnt lgkmcnt(0)
	v_dual_mov_b32 v66, v56 :: v_dual_mov_b32 v65, v55
	v_dual_mov_b32 v68, v56 :: v_dual_mov_b32 v67, v55
	s_and_saveexec_b32 s13, vcc_lo
; %bb.2:                                ;   in Loop: Header=BB70_1 Depth=1
	v_add_f64 v[65:66], v[55:56], v[69:70]
	s_delay_alu instid0(VALU_DEP_1)
	v_dual_mov_b32 v68, v66 :: v_dual_mov_b32 v67, v65
; %bb.3:                                ;   in Loop: Header=BB70_1 Depth=1
	s_or_b32 exec_lo, exec_lo, s13
	s_delay_alu instid0(VALU_DEP_1) | instskip(NEXT) | instid1(VALU_DEP_2)
	v_mov_b32_dpp v69, v67 row_shr:2 row_mask:0xf bank_mask:0xf
	v_mov_b32_dpp v70, v68 row_shr:2 row_mask:0xf bank_mask:0xf
	s_and_saveexec_b32 s13, s0
; %bb.4:                                ;   in Loop: Header=BB70_1 Depth=1
	s_delay_alu instid0(VALU_DEP_1) | instskip(NEXT) | instid1(VALU_DEP_1)
	v_add_f64 v[67:68], v[65:66], v[69:70]
	v_dual_mov_b32 v65, v67 :: v_dual_mov_b32 v66, v68
; %bb.5:                                ;   in Loop: Header=BB70_1 Depth=1
	s_or_b32 exec_lo, exec_lo, s13
	v_mov_b32_dpp v69, v67 row_shr:4 row_mask:0xf bank_mask:0xf
	v_mov_b32_dpp v70, v68 row_shr:4 row_mask:0xf bank_mask:0xf
	s_and_saveexec_b32 s13, s1
; %bb.6:                                ;   in Loop: Header=BB70_1 Depth=1
	s_delay_alu instid0(VALU_DEP_1) | instskip(NEXT) | instid1(VALU_DEP_1)
	v_add_f64 v[67:68], v[65:66], v[69:70]
	v_dual_mov_b32 v65, v67 :: v_dual_mov_b32 v66, v68
; %bb.7:                                ;   in Loop: Header=BB70_1 Depth=1
	s_or_b32 exec_lo, exec_lo, s13
	;; [unrolled: 9-line block ×3, first 2 shown]
	ds_swizzle_b32 v67, v67 offset:swizzle(BROADCAST,32,15)
	ds_swizzle_b32 v68, v68 offset:swizzle(BROADCAST,32,15)
	s_and_saveexec_b32 s13, s3
	s_cbranch_execz .LBB70_11
; %bb.10:                               ;   in Loop: Header=BB70_1 Depth=1
	s_waitcnt lgkmcnt(0)
	v_add_f64 v[65:66], v[65:66], v[67:68]
.LBB70_11:                              ;   in Loop: Header=BB70_1 Depth=1
	s_or_b32 exec_lo, exec_lo, s13
	s_and_saveexec_b32 s13, s4
	s_cbranch_execz .LBB70_13
; %bb.12:                               ;   in Loop: Header=BB70_1 Depth=1
	ds_store_b64 v71, v[65:66]
.LBB70_13:                              ;   in Loop: Header=BB70_1 Depth=1
	s_or_b32 exec_lo, exec_lo, s13
	s_waitcnt lgkmcnt(0)
	s_barrier
	buffer_gl0_inv
	s_and_saveexec_b32 s13, s5
	s_cbranch_execz .LBB70_17
; %bb.14:                               ;   in Loop: Header=BB70_1 Depth=1
	ds_load_b64 v[67:68], v0
	s_waitcnt lgkmcnt(0)
	v_mov_b32_dpp v69, v67 row_shr:1 row_mask:0xf bank_mask:0xf
	v_mov_b32_dpp v70, v68 row_shr:1 row_mask:0xf bank_mask:0xf
	s_and_saveexec_b32 s14, s8
; %bb.15:                               ;   in Loop: Header=BB70_1 Depth=1
	s_delay_alu instid0(VALU_DEP_1)
	v_add_f64 v[67:68], v[67:68], v[69:70]
; %bb.16:                               ;   in Loop: Header=BB70_1 Depth=1
	s_or_b32 exec_lo, exec_lo, s14
	ds_store_b64 v0, v[67:68]
.LBB70_17:                              ;   in Loop: Header=BB70_1 Depth=1
	s_or_b32 exec_lo, exec_lo, s13
	s_waitcnt lgkmcnt(0)
	s_barrier
	buffer_gl0_inv
                                        ; implicit-def: $vgpr67_vgpr68
	s_and_saveexec_b32 s13, s6
	s_cbranch_execz .LBB70_19
; %bb.18:                               ;   in Loop: Header=BB70_1 Depth=1
	ds_load_b64 v[67:68], v73
	s_waitcnt lgkmcnt(0)
	v_add_f64 v[65:66], v[65:66], v[67:68]
.LBB70_19:                              ;   in Loop: Header=BB70_1 Depth=1
	s_or_b32 exec_lo, exec_lo, s13
	ds_bpermute_b32 v65, v72, v65
	ds_bpermute_b32 v66, v72, v66
	s_and_saveexec_b32 s13, s7
	s_cbranch_execz .LBB70_21
; %bb.20:                               ;   in Loop: Header=BB70_1 Depth=1
	s_waitcnt lgkmcnt(0)
	v_cndmask_b32_e64 v32, v66, v68, s9
	v_cndmask_b32_e64 v31, v65, v67, s9
	s_delay_alu instid0(VALU_DEP_1) | instskip(NEXT) | instid1(VALU_DEP_1)
	v_add_f64 v[21:22], v[21:22], v[31:32]
	v_add_f64 v[59:60], v[29:30], v[21:22]
	s_delay_alu instid0(VALU_DEP_1) | instskip(NEXT) | instid1(VALU_DEP_1)
	v_add_f64 v[63:64], v[27:28], v[59:60]
	v_add_f64 v[61:62], v[25:26], v[63:64]
	s_delay_alu instid0(VALU_DEP_1) | instskip(NEXT) | instid1(VALU_DEP_1)
	v_add_f64 v[31:32], v[53:54], v[61:62]
	v_add_f64 v[33:34], v[51:52], v[31:32]
	s_delay_alu instid0(VALU_DEP_1) | instskip(NEXT) | instid1(VALU_DEP_1)
	v_add_f64 v[35:36], v[47:48], v[33:34]
	v_add_f64 v[43:44], v[45:46], v[35:36]
	s_delay_alu instid0(VALU_DEP_1) | instskip(NEXT) | instid1(VALU_DEP_1)
	v_add_f64 v[49:50], v[41:42], v[43:44]
	v_add_f64 v[57:58], v[37:38], v[49:50]
	s_delay_alu instid0(VALU_DEP_1)
	v_add_f64 v[55:56], v[39:40], v[57:58]
.LBB70_21:                              ;   in Loop: Header=BB70_1 Depth=1
	s_or_b32 exec_lo, exec_lo, s13
	s_add_i32 s12, s12, -1
	s_delay_alu instid0(SALU_CYCLE_1)
	s_cmp_lg_u32 s12, 0
	s_cbranch_scc0 .LBB70_23
; %bb.22:                               ;   in Loop: Header=BB70_1 Depth=1
	s_delay_alu instid0(VALU_DEP_1)
	v_dual_mov_b32 v39, v55 :: v_dual_mov_b32 v40, v56
	v_dual_mov_b32 v37, v57 :: v_dual_mov_b32 v38, v58
	;; [unrolled: 1-line block ×10, first 2 shown]
	s_branch .LBB70_1
.LBB70_23:
	v_add_co_u32 v15, vcc_lo, s10, v15
	v_add_co_ci_u32_e32 v16, vcc_lo, s11, v16, vcc_lo
	v_add_co_u32 v17, vcc_lo, s10, v17
	v_add_co_ci_u32_e32 v18, vcc_lo, s11, v18, vcc_lo
	;; [unrolled: 2-line block ×8, first 2 shown]
	s_clause 0x3
	global_store_b64 v[15:16], v[21:22], off
	global_store_b64 v[17:18], v[59:60], off
	;; [unrolled: 1-line block ×4, first 2 shown]
	v_add_co_u32 v9, vcc_lo, s10, v11
	v_add_co_ci_u32_e32 v10, vcc_lo, s11, v12, vcc_lo
	v_add_co_u32 v11, vcc_lo, s10, v19
	v_add_co_ci_u32_e32 v12, vcc_lo, s11, v20, vcc_lo
	;; [unrolled: 2-line block ×3, first 2 shown]
	s_clause 0x6
	global_store_b64 v[5:6], v[31:32], off
	global_store_b64 v[3:4], v[33:34], off
	;; [unrolled: 1-line block ×7, first 2 shown]
	s_nop 0
	s_sendmsg sendmsg(MSG_DEALLOC_VGPRS)
	s_endpgm
	.section	.rodata,"a",@progbits
	.p2align	6, 0x0
	.amdhsa_kernel _Z6kernelI14inclusive_scanILN6hipcub18BlockScanAlgorithmE0EEdLj64ELj11ELj100EEvPKT0_PS4_S4_
		.amdhsa_group_segment_fixed_size 16
		.amdhsa_private_segment_fixed_size 0
		.amdhsa_kernarg_size 280
		.amdhsa_user_sgpr_count 15
		.amdhsa_user_sgpr_dispatch_ptr 0
		.amdhsa_user_sgpr_queue_ptr 0
		.amdhsa_user_sgpr_kernarg_segment_ptr 1
		.amdhsa_user_sgpr_dispatch_id 0
		.amdhsa_user_sgpr_private_segment_size 0
		.amdhsa_wavefront_size32 1
		.amdhsa_uses_dynamic_stack 0
		.amdhsa_enable_private_segment 0
		.amdhsa_system_sgpr_workgroup_id_x 1
		.amdhsa_system_sgpr_workgroup_id_y 0
		.amdhsa_system_sgpr_workgroup_id_z 0
		.amdhsa_system_sgpr_workgroup_info 0
		.amdhsa_system_vgpr_workitem_id 0
		.amdhsa_next_free_vgpr 74
		.amdhsa_next_free_sgpr 16
		.amdhsa_reserve_vcc 1
		.amdhsa_float_round_mode_32 0
		.amdhsa_float_round_mode_16_64 0
		.amdhsa_float_denorm_mode_32 3
		.amdhsa_float_denorm_mode_16_64 3
		.amdhsa_dx10_clamp 1
		.amdhsa_ieee_mode 1
		.amdhsa_fp16_overflow 0
		.amdhsa_workgroup_processor_mode 1
		.amdhsa_memory_ordered 1
		.amdhsa_forward_progress 0
		.amdhsa_shared_vgpr_count 0
		.amdhsa_exception_fp_ieee_invalid_op 0
		.amdhsa_exception_fp_denorm_src 0
		.amdhsa_exception_fp_ieee_div_zero 0
		.amdhsa_exception_fp_ieee_overflow 0
		.amdhsa_exception_fp_ieee_underflow 0
		.amdhsa_exception_fp_ieee_inexact 0
		.amdhsa_exception_int_div_zero 0
	.end_amdhsa_kernel
	.section	.text._Z6kernelI14inclusive_scanILN6hipcub18BlockScanAlgorithmE0EEdLj64ELj11ELj100EEvPKT0_PS4_S4_,"axG",@progbits,_Z6kernelI14inclusive_scanILN6hipcub18BlockScanAlgorithmE0EEdLj64ELj11ELj100EEvPKT0_PS4_S4_,comdat
.Lfunc_end70:
	.size	_Z6kernelI14inclusive_scanILN6hipcub18BlockScanAlgorithmE0EEdLj64ELj11ELj100EEvPKT0_PS4_S4_, .Lfunc_end70-_Z6kernelI14inclusive_scanILN6hipcub18BlockScanAlgorithmE0EEdLj64ELj11ELj100EEvPKT0_PS4_S4_
                                        ; -- End function
	.section	.AMDGPU.csdata,"",@progbits
; Kernel info:
; codeLenInByte = 1656
; NumSgprs: 18
; NumVgprs: 74
; ScratchSize: 0
; MemoryBound: 0
; FloatMode: 240
; IeeeMode: 1
; LDSByteSize: 16 bytes/workgroup (compile time only)
; SGPRBlocks: 2
; VGPRBlocks: 9
; NumSGPRsForWavesPerEU: 18
; NumVGPRsForWavesPerEU: 74
; Occupancy: 16
; WaveLimiterHint : 0
; COMPUTE_PGM_RSRC2:SCRATCH_EN: 0
; COMPUTE_PGM_RSRC2:USER_SGPR: 15
; COMPUTE_PGM_RSRC2:TRAP_HANDLER: 0
; COMPUTE_PGM_RSRC2:TGID_X_EN: 1
; COMPUTE_PGM_RSRC2:TGID_Y_EN: 0
; COMPUTE_PGM_RSRC2:TGID_Z_EN: 0
; COMPUTE_PGM_RSRC2:TIDIG_COMP_CNT: 0
	.section	.text._Z6kernelI14inclusive_scanILN6hipcub18BlockScanAlgorithmE0EEdLj64ELj16ELj100EEvPKT0_PS4_S4_,"axG",@progbits,_Z6kernelI14inclusive_scanILN6hipcub18BlockScanAlgorithmE0EEdLj64ELj16ELj100EEvPKT0_PS4_S4_,comdat
	.protected	_Z6kernelI14inclusive_scanILN6hipcub18BlockScanAlgorithmE0EEdLj64ELj16ELj100EEvPKT0_PS4_S4_ ; -- Begin function _Z6kernelI14inclusive_scanILN6hipcub18BlockScanAlgorithmE0EEdLj64ELj16ELj100EEvPKT0_PS4_S4_
	.globl	_Z6kernelI14inclusive_scanILN6hipcub18BlockScanAlgorithmE0EEdLj64ELj16ELj100EEvPKT0_PS4_S4_
	.p2align	8
	.type	_Z6kernelI14inclusive_scanILN6hipcub18BlockScanAlgorithmE0EEdLj64ELj16ELj100EEvPKT0_PS4_S4_,@function
_Z6kernelI14inclusive_scanILN6hipcub18BlockScanAlgorithmE0EEdLj64ELj16ELj100EEvPKT0_PS4_S4_: ; @_Z6kernelI14inclusive_scanILN6hipcub18BlockScanAlgorithmE0EEdLj64ELj16ELj100EEvPKT0_PS4_S4_
; %bb.0:
	s_clause 0x1
	s_load_b32 s2, s[0:1], 0x24
	s_load_b128 s[8:11], s[0:1], 0x0
	v_mbcnt_lo_u32_b32 v33, -1, 0
	v_mov_b32_e32 v2, 0
	v_or_b32_e32 v36, 31, v0
	v_cmp_lt_u32_e64 s6, 31, v0
	v_cmp_ne_u32_e64 s7, 0, v0
	v_and_b32_e32 v35, 16, v33
	v_and_b32_e32 v34, 15, v33
	v_add_nc_u32_e32 v37, -1, v33
	v_cmp_eq_u32_e64 s4, v36, v0
	v_and_b32_e32 v36, 1, v33
	v_cmp_ne_u32_e64 s3, 0, v35
	v_cmp_lt_u32_e64 s1, 3, v34
	v_cmp_gt_i32_e64 s5, 0, v37
	s_movk_i32 s12, 0x64
	s_delay_alu instid0(VALU_DEP_1)
	v_cndmask_b32_e64 v35, v37, v33, s5
	s_waitcnt lgkmcnt(0)
	s_and_b32 s0, s2, 0xffff
	v_cmp_lt_u32_e64 s2, 7, v34
	s_mul_i32 s15, s15, s0
	v_cmp_lt_u32_e64 s0, 1, v34
	v_add_lshl_u32 v1, s15, v0, 4
	v_cmp_gt_u32_e64 s5, 2, v0
	v_lshlrev_b32_e32 v72, 2, v35
	s_delay_alu instid0(VALU_DEP_3) | instskip(NEXT) | instid1(VALU_DEP_1)
	v_lshlrev_b64 v[61:62], 3, v[1:2]
	v_add_co_u32 v29, vcc_lo, s8, v61
	s_delay_alu instid0(VALU_DEP_2)
	v_add_co_ci_u32_e32 v30, vcc_lo, s9, v62, vcc_lo
	v_cmp_ne_u32_e32 vcc_lo, 0, v34
	v_lshrrev_b32_e32 v34, 2, v0
	v_lshlrev_b32_e32 v0, 3, v0
	s_clause 0x7
	global_load_b128 v[5:8], v[29:30], off offset:48
	global_load_b128 v[9:12], v[29:30], off offset:32
	;; [unrolled: 1-line block ×3, first 2 shown]
	global_load_b128 v[1:4], v[29:30], off
	global_load_b128 v[17:20], v[29:30], off offset:112
	global_load_b128 v[21:24], v[29:30], off offset:96
	;; [unrolled: 1-line block ×4, first 2 shown]
	v_cmp_eq_u32_e64 s8, 1, v36
	v_cmp_eq_u32_e64 s9, 0, v33
	v_and_b32_e32 v71, 8, v34
	s_delay_alu instid0(VALU_DEP_1)
	v_add_nc_u32_e32 v73, -8, v71
.LBB71_1:                               ; =>This Inner Loop Header: Depth=1
	s_waitcnt vmcnt(4)
	s_delay_alu instid0(VALU_DEP_1) | instskip(NEXT) | instid1(VALU_DEP_1)
	v_add_f64 v[63:64], v[3:4], v[1:2]
	v_add_f64 v[57:58], v[13:14], v[63:64]
	s_delay_alu instid0(VALU_DEP_1) | instskip(NEXT) | instid1(VALU_DEP_1)
	v_add_f64 v[59:60], v[15:16], v[57:58]
	v_add_f64 v[53:54], v[9:10], v[59:60]
	;; [unrolled: 3-line block ×3, first 2 shown]
	s_delay_alu instid0(VALU_DEP_1) | instskip(SKIP_1) | instid1(VALU_DEP_1)
	v_add_f64 v[51:52], v[7:8], v[49:50]
	s_waitcnt vmcnt(0)
	v_add_f64 v[45:46], v[29:30], v[51:52]
	s_delay_alu instid0(VALU_DEP_1) | instskip(NEXT) | instid1(VALU_DEP_1)
	v_add_f64 v[47:48], v[31:32], v[45:46]
	v_add_f64 v[41:42], v[25:26], v[47:48]
	s_delay_alu instid0(VALU_DEP_1) | instskip(NEXT) | instid1(VALU_DEP_1)
	v_add_f64 v[43:44], v[27:28], v[41:42]
	;; [unrolled: 3-line block ×4, first 2 shown]
	v_mov_b32_dpp v69, v35 row_shr:1 row_mask:0xf bank_mask:0xf
	s_delay_alu instid0(VALU_DEP_2)
	v_mov_b32_dpp v70, v36 row_shr:1 row_mask:0xf bank_mask:0xf
	s_waitcnt lgkmcnt(0)
	v_dual_mov_b32 v66, v36 :: v_dual_mov_b32 v65, v35
	v_dual_mov_b32 v68, v36 :: v_dual_mov_b32 v67, v35
	s_and_saveexec_b32 s13, vcc_lo
; %bb.2:                                ;   in Loop: Header=BB71_1 Depth=1
	v_add_f64 v[65:66], v[35:36], v[69:70]
	s_delay_alu instid0(VALU_DEP_1)
	v_dual_mov_b32 v68, v66 :: v_dual_mov_b32 v67, v65
; %bb.3:                                ;   in Loop: Header=BB71_1 Depth=1
	s_or_b32 exec_lo, exec_lo, s13
	s_delay_alu instid0(VALU_DEP_1) | instskip(NEXT) | instid1(VALU_DEP_2)
	v_mov_b32_dpp v69, v67 row_shr:2 row_mask:0xf bank_mask:0xf
	v_mov_b32_dpp v70, v68 row_shr:2 row_mask:0xf bank_mask:0xf
	s_and_saveexec_b32 s13, s0
; %bb.4:                                ;   in Loop: Header=BB71_1 Depth=1
	s_delay_alu instid0(VALU_DEP_1) | instskip(NEXT) | instid1(VALU_DEP_1)
	v_add_f64 v[67:68], v[65:66], v[69:70]
	v_dual_mov_b32 v65, v67 :: v_dual_mov_b32 v66, v68
; %bb.5:                                ;   in Loop: Header=BB71_1 Depth=1
	s_or_b32 exec_lo, exec_lo, s13
	v_mov_b32_dpp v69, v67 row_shr:4 row_mask:0xf bank_mask:0xf
	v_mov_b32_dpp v70, v68 row_shr:4 row_mask:0xf bank_mask:0xf
	s_and_saveexec_b32 s13, s1
; %bb.6:                                ;   in Loop: Header=BB71_1 Depth=1
	s_delay_alu instid0(VALU_DEP_1) | instskip(NEXT) | instid1(VALU_DEP_1)
	v_add_f64 v[67:68], v[65:66], v[69:70]
	v_dual_mov_b32 v65, v67 :: v_dual_mov_b32 v66, v68
; %bb.7:                                ;   in Loop: Header=BB71_1 Depth=1
	s_or_b32 exec_lo, exec_lo, s13
	;; [unrolled: 9-line block ×3, first 2 shown]
	ds_swizzle_b32 v67, v67 offset:swizzle(BROADCAST,32,15)
	ds_swizzle_b32 v68, v68 offset:swizzle(BROADCAST,32,15)
	s_and_saveexec_b32 s13, s3
	s_cbranch_execz .LBB71_11
; %bb.10:                               ;   in Loop: Header=BB71_1 Depth=1
	s_waitcnt lgkmcnt(0)
	v_add_f64 v[65:66], v[65:66], v[67:68]
.LBB71_11:                              ;   in Loop: Header=BB71_1 Depth=1
	s_or_b32 exec_lo, exec_lo, s13
	s_and_saveexec_b32 s13, s4
	s_cbranch_execz .LBB71_13
; %bb.12:                               ;   in Loop: Header=BB71_1 Depth=1
	ds_store_b64 v71, v[65:66]
.LBB71_13:                              ;   in Loop: Header=BB71_1 Depth=1
	s_or_b32 exec_lo, exec_lo, s13
	s_waitcnt lgkmcnt(0)
	s_barrier
	buffer_gl0_inv
	s_and_saveexec_b32 s13, s5
	s_cbranch_execz .LBB71_17
; %bb.14:                               ;   in Loop: Header=BB71_1 Depth=1
	ds_load_b64 v[67:68], v0
	s_waitcnt lgkmcnt(0)
	v_mov_b32_dpp v69, v67 row_shr:1 row_mask:0xf bank_mask:0xf
	v_mov_b32_dpp v70, v68 row_shr:1 row_mask:0xf bank_mask:0xf
	s_and_saveexec_b32 s14, s8
; %bb.15:                               ;   in Loop: Header=BB71_1 Depth=1
	s_delay_alu instid0(VALU_DEP_1)
	v_add_f64 v[67:68], v[67:68], v[69:70]
; %bb.16:                               ;   in Loop: Header=BB71_1 Depth=1
	s_or_b32 exec_lo, exec_lo, s14
	ds_store_b64 v0, v[67:68]
.LBB71_17:                              ;   in Loop: Header=BB71_1 Depth=1
	s_or_b32 exec_lo, exec_lo, s13
	s_waitcnt lgkmcnt(0)
	s_barrier
	buffer_gl0_inv
                                        ; implicit-def: $vgpr67_vgpr68
	s_and_saveexec_b32 s13, s6
	s_cbranch_execz .LBB71_19
; %bb.18:                               ;   in Loop: Header=BB71_1 Depth=1
	ds_load_b64 v[67:68], v73
	s_waitcnt lgkmcnt(0)
	v_add_f64 v[65:66], v[65:66], v[67:68]
.LBB71_19:                              ;   in Loop: Header=BB71_1 Depth=1
	s_or_b32 exec_lo, exec_lo, s13
	ds_bpermute_b32 v65, v72, v65
	ds_bpermute_b32 v66, v72, v66
	s_and_saveexec_b32 s13, s7
	s_cbranch_execz .LBB71_21
; %bb.20:                               ;   in Loop: Header=BB71_1 Depth=1
	s_waitcnt lgkmcnt(0)
	v_cndmask_b32_e64 v34, v66, v68, s9
	v_cndmask_b32_e64 v33, v65, v67, s9
	s_delay_alu instid0(VALU_DEP_1) | instskip(NEXT) | instid1(VALU_DEP_1)
	v_add_f64 v[1:2], v[1:2], v[33:34]
	v_add_f64 v[63:64], v[3:4], v[1:2]
	s_delay_alu instid0(VALU_DEP_1) | instskip(NEXT) | instid1(VALU_DEP_1)
	v_add_f64 v[57:58], v[13:14], v[63:64]
	v_add_f64 v[59:60], v[15:16], v[57:58]
	;; [unrolled: 3-line block ×8, first 2 shown]
.LBB71_21:                              ;   in Loop: Header=BB71_1 Depth=1
	s_or_b32 exec_lo, exec_lo, s13
	s_add_i32 s12, s12, -1
	s_delay_alu instid0(SALU_CYCLE_1)
	s_cmp_lg_u32 s12, 0
	s_cbranch_scc0 .LBB71_23
; %bb.22:                               ;   in Loop: Header=BB71_1 Depth=1
	s_delay_alu instid0(VALU_DEP_1)
	v_dual_mov_b32 v19, v35 :: v_dual_mov_b32 v20, v36
	v_dual_mov_b32 v17, v33 :: v_dual_mov_b32 v18, v34
	;; [unrolled: 1-line block ×15, first 2 shown]
	s_branch .LBB71_1
.LBB71_23:
	v_add_co_u32 v5, vcc_lo, s10, v61
	v_add_co_ci_u32_e32 v6, vcc_lo, s11, v62, vcc_lo
	v_dual_mov_b32 v3, v63 :: v_dual_mov_b32 v4, v64
	s_clause 0x7
	global_store_b128 v[5:6], v[1:4], off
	global_store_b128 v[5:6], v[57:60], off offset:16
	global_store_b128 v[5:6], v[53:56], off offset:32
	;; [unrolled: 1-line block ×7, first 2 shown]
	s_nop 0
	s_sendmsg sendmsg(MSG_DEALLOC_VGPRS)
	s_endpgm
	.section	.rodata,"a",@progbits
	.p2align	6, 0x0
	.amdhsa_kernel _Z6kernelI14inclusive_scanILN6hipcub18BlockScanAlgorithmE0EEdLj64ELj16ELj100EEvPKT0_PS4_S4_
		.amdhsa_group_segment_fixed_size 16
		.amdhsa_private_segment_fixed_size 0
		.amdhsa_kernarg_size 280
		.amdhsa_user_sgpr_count 15
		.amdhsa_user_sgpr_dispatch_ptr 0
		.amdhsa_user_sgpr_queue_ptr 0
		.amdhsa_user_sgpr_kernarg_segment_ptr 1
		.amdhsa_user_sgpr_dispatch_id 0
		.amdhsa_user_sgpr_private_segment_size 0
		.amdhsa_wavefront_size32 1
		.amdhsa_uses_dynamic_stack 0
		.amdhsa_enable_private_segment 0
		.amdhsa_system_sgpr_workgroup_id_x 1
		.amdhsa_system_sgpr_workgroup_id_y 0
		.amdhsa_system_sgpr_workgroup_id_z 0
		.amdhsa_system_sgpr_workgroup_info 0
		.amdhsa_system_vgpr_workitem_id 0
		.amdhsa_next_free_vgpr 74
		.amdhsa_next_free_sgpr 16
		.amdhsa_reserve_vcc 1
		.amdhsa_float_round_mode_32 0
		.amdhsa_float_round_mode_16_64 0
		.amdhsa_float_denorm_mode_32 3
		.amdhsa_float_denorm_mode_16_64 3
		.amdhsa_dx10_clamp 1
		.amdhsa_ieee_mode 1
		.amdhsa_fp16_overflow 0
		.amdhsa_workgroup_processor_mode 1
		.amdhsa_memory_ordered 1
		.amdhsa_forward_progress 0
		.amdhsa_shared_vgpr_count 0
		.amdhsa_exception_fp_ieee_invalid_op 0
		.amdhsa_exception_fp_denorm_src 0
		.amdhsa_exception_fp_ieee_div_zero 0
		.amdhsa_exception_fp_ieee_overflow 0
		.amdhsa_exception_fp_ieee_underflow 0
		.amdhsa_exception_fp_ieee_inexact 0
		.amdhsa_exception_int_div_zero 0
	.end_amdhsa_kernel
	.section	.text._Z6kernelI14inclusive_scanILN6hipcub18BlockScanAlgorithmE0EEdLj64ELj16ELj100EEvPKT0_PS4_S4_,"axG",@progbits,_Z6kernelI14inclusive_scanILN6hipcub18BlockScanAlgorithmE0EEdLj64ELj16ELj100EEvPKT0_PS4_S4_,comdat
.Lfunc_end71:
	.size	_Z6kernelI14inclusive_scanILN6hipcub18BlockScanAlgorithmE0EEdLj64ELj16ELj100EEvPKT0_PS4_S4_, .Lfunc_end71-_Z6kernelI14inclusive_scanILN6hipcub18BlockScanAlgorithmE0EEdLj64ELj16ELj100EEvPKT0_PS4_S4_
                                        ; -- End function
	.section	.AMDGPU.csdata,"",@progbits
; Kernel info:
; codeLenInByte = 1312
; NumSgprs: 18
; NumVgprs: 74
; ScratchSize: 0
; MemoryBound: 0
; FloatMode: 240
; IeeeMode: 1
; LDSByteSize: 16 bytes/workgroup (compile time only)
; SGPRBlocks: 2
; VGPRBlocks: 9
; NumSGPRsForWavesPerEU: 18
; NumVGPRsForWavesPerEU: 74
; Occupancy: 16
; WaveLimiterHint : 0
; COMPUTE_PGM_RSRC2:SCRATCH_EN: 0
; COMPUTE_PGM_RSRC2:USER_SGPR: 15
; COMPUTE_PGM_RSRC2:TRAP_HANDLER: 0
; COMPUTE_PGM_RSRC2:TGID_X_EN: 1
; COMPUTE_PGM_RSRC2:TGID_Y_EN: 0
; COMPUTE_PGM_RSRC2:TGID_Z_EN: 0
; COMPUTE_PGM_RSRC2:TIDIG_COMP_CNT: 0
	.section	.text._Z6kernelI14inclusive_scanILN6hipcub18BlockScanAlgorithmE0EEhLj64ELj1ELj100EEvPKT0_PS4_S4_,"axG",@progbits,_Z6kernelI14inclusive_scanILN6hipcub18BlockScanAlgorithmE0EEhLj64ELj1ELj100EEvPKT0_PS4_S4_,comdat
	.protected	_Z6kernelI14inclusive_scanILN6hipcub18BlockScanAlgorithmE0EEhLj64ELj1ELj100EEvPKT0_PS4_S4_ ; -- Begin function _Z6kernelI14inclusive_scanILN6hipcub18BlockScanAlgorithmE0EEhLj64ELj1ELj100EEvPKT0_PS4_S4_
	.globl	_Z6kernelI14inclusive_scanILN6hipcub18BlockScanAlgorithmE0EEhLj64ELj1ELj100EEvPKT0_PS4_S4_
	.p2align	8
	.type	_Z6kernelI14inclusive_scanILN6hipcub18BlockScanAlgorithmE0EEhLj64ELj1ELj100EEvPKT0_PS4_S4_,@function
_Z6kernelI14inclusive_scanILN6hipcub18BlockScanAlgorithmE0EEhLj64ELj1ELj100EEvPKT0_PS4_S4_: ; @_Z6kernelI14inclusive_scanILN6hipcub18BlockScanAlgorithmE0EEhLj64ELj1ELj100EEvPKT0_PS4_S4_
; %bb.0:
	s_clause 0x1
	s_load_b32 s2, s[0:1], 0x24
	s_load_b128 s[8:11], s[0:1], 0x0
	v_mbcnt_lo_u32_b32 v3, -1, 0
	v_or_b32_e32 v6, 31, v0
	v_cmp_gt_u32_e64 s5, 2, v0
	v_cmp_lt_u32_e64 s6, 31, v0
	s_delay_alu instid0(VALU_DEP_4) | instskip(SKIP_2) | instid1(VALU_DEP_3)
	v_and_b32_e32 v4, 15, v3
	v_and_b32_e32 v5, 16, v3
	v_cmp_eq_u32_e64 s4, v6, v0
	v_cmp_eq_u32_e32 vcc_lo, 0, v4
	v_cmp_lt_u32_e64 s1, 3, v4
	s_delay_alu instid0(VALU_DEP_4)
	v_cmp_eq_u32_e64 s3, 0, v5
	s_waitcnt lgkmcnt(0)
	s_and_b32 s0, s2, 0xffff
	v_cmp_lt_u32_e64 s2, 7, v4
	v_mad_u64_u32 v[1:2], null, s15, s0, v[0:1]
	v_cmp_lt_u32_e64 s0, 1, v4
	v_and_b32_e32 v4, 1, v3
	v_lshrrev_b32_e32 v3, 5, v0
	s_delay_alu instid0(VALU_DEP_2)
	v_cmp_eq_u32_e64 s7, 0, v4
	global_load_u8 v2, v1, s[8:9]
	v_add_nc_u32_e32 v4, -1, v3
	s_movk_i32 s8, 0x64
	s_branch .LBB72_2
.LBB72_1:                               ;   in Loop: Header=BB72_2 Depth=1
	s_or_b32 exec_lo, exec_lo, s9
	s_add_i32 s8, s8, -1
	s_delay_alu instid0(SALU_CYCLE_1)
	s_cmp_lg_u32 s8, 0
	s_cbranch_scc0 .LBB72_8
.LBB72_2:                               ; =>This Inner Loop Header: Depth=1
	s_waitcnt vmcnt(0)
	v_and_b32_e32 v5, 0xff, v2
	s_delay_alu instid0(VALU_DEP_1) | instskip(NEXT) | instid1(VALU_DEP_1)
	v_mov_b32_dpp v5, v5 row_shr:1 row_mask:0xf bank_mask:0xf
	v_cndmask_b32_e64 v5, v5, 0, vcc_lo
	s_delay_alu instid0(VALU_DEP_1) | instskip(NEXT) | instid1(VALU_DEP_1)
	v_add_nc_u16 v2, v5, v2
	v_and_b32_e32 v5, 0xff, v2
	s_delay_alu instid0(VALU_DEP_1) | instskip(NEXT) | instid1(VALU_DEP_1)
	v_mov_b32_dpp v5, v5 row_shr:2 row_mask:0xf bank_mask:0xf
	v_cndmask_b32_e64 v5, 0, v5, s0
	s_delay_alu instid0(VALU_DEP_1) | instskip(NEXT) | instid1(VALU_DEP_1)
	v_add_nc_u16 v2, v2, v5
	v_and_b32_e32 v5, 0xff, v2
	s_delay_alu instid0(VALU_DEP_1) | instskip(NEXT) | instid1(VALU_DEP_1)
	v_mov_b32_dpp v5, v5 row_shr:4 row_mask:0xf bank_mask:0xf
	v_cndmask_b32_e64 v5, 0, v5, s1
	;; [unrolled: 6-line block ×3, first 2 shown]
	s_delay_alu instid0(VALU_DEP_1) | instskip(NEXT) | instid1(VALU_DEP_1)
	v_add_nc_u16 v2, v2, v5
	v_and_b32_e32 v5, 0xff, v2
	ds_swizzle_b32 v5, v5 offset:swizzle(BROADCAST,32,15)
	s_waitcnt lgkmcnt(0)
	v_cndmask_b32_e64 v5, v5, 0, s3
	s_delay_alu instid0(VALU_DEP_1)
	v_add_nc_u16 v2, v2, v5
	s_and_saveexec_b32 s9, s4
	s_cbranch_execz .LBB72_4
; %bb.3:                                ;   in Loop: Header=BB72_2 Depth=1
	ds_store_b8 v3, v2
.LBB72_4:                               ;   in Loop: Header=BB72_2 Depth=1
	s_or_b32 exec_lo, exec_lo, s9
	s_waitcnt lgkmcnt(0)
	s_barrier
	buffer_gl0_inv
	s_and_saveexec_b32 s9, s5
	s_cbranch_execz .LBB72_6
; %bb.5:                                ;   in Loop: Header=BB72_2 Depth=1
	ds_load_u8 v5, v0
	s_waitcnt lgkmcnt(0)
	v_and_b32_e32 v6, 0xff, v5
	s_delay_alu instid0(VALU_DEP_1) | instskip(NEXT) | instid1(VALU_DEP_1)
	v_mov_b32_dpp v6, v6 row_shr:1 row_mask:0xf bank_mask:0xf
	v_cndmask_b32_e64 v6, v6, 0, s7
	s_delay_alu instid0(VALU_DEP_1)
	v_add_nc_u16 v5, v6, v5
	ds_store_b8 v0, v5
.LBB72_6:                               ;   in Loop: Header=BB72_2 Depth=1
	s_or_b32 exec_lo, exec_lo, s9
	s_waitcnt lgkmcnt(0)
	s_barrier
	buffer_gl0_inv
	s_and_saveexec_b32 s9, s6
	s_cbranch_execz .LBB72_1
; %bb.7:                                ;   in Loop: Header=BB72_2 Depth=1
	ds_load_u8 v5, v4
	s_waitcnt lgkmcnt(0)
	v_add_nc_u16 v2, v5, v2
	s_branch .LBB72_1
.LBB72_8:
	v_add_co_u32 v0, s0, s10, v1
	s_delay_alu instid0(VALU_DEP_1)
	v_add_co_ci_u32_e64 v1, null, s11, 0, s0
	global_store_b8 v[0:1], v2, off
	s_nop 0
	s_sendmsg sendmsg(MSG_DEALLOC_VGPRS)
	s_endpgm
	.section	.rodata,"a",@progbits
	.p2align	6, 0x0
	.amdhsa_kernel _Z6kernelI14inclusive_scanILN6hipcub18BlockScanAlgorithmE0EEhLj64ELj1ELj100EEvPKT0_PS4_S4_
		.amdhsa_group_segment_fixed_size 2
		.amdhsa_private_segment_fixed_size 0
		.amdhsa_kernarg_size 280
		.amdhsa_user_sgpr_count 15
		.amdhsa_user_sgpr_dispatch_ptr 0
		.amdhsa_user_sgpr_queue_ptr 0
		.amdhsa_user_sgpr_kernarg_segment_ptr 1
		.amdhsa_user_sgpr_dispatch_id 0
		.amdhsa_user_sgpr_private_segment_size 0
		.amdhsa_wavefront_size32 1
		.amdhsa_uses_dynamic_stack 0
		.amdhsa_enable_private_segment 0
		.amdhsa_system_sgpr_workgroup_id_x 1
		.amdhsa_system_sgpr_workgroup_id_y 0
		.amdhsa_system_sgpr_workgroup_id_z 0
		.amdhsa_system_sgpr_workgroup_info 0
		.amdhsa_system_vgpr_workitem_id 0
		.amdhsa_next_free_vgpr 7
		.amdhsa_next_free_sgpr 16
		.amdhsa_reserve_vcc 1
		.amdhsa_float_round_mode_32 0
		.amdhsa_float_round_mode_16_64 0
		.amdhsa_float_denorm_mode_32 3
		.amdhsa_float_denorm_mode_16_64 3
		.amdhsa_dx10_clamp 1
		.amdhsa_ieee_mode 1
		.amdhsa_fp16_overflow 0
		.amdhsa_workgroup_processor_mode 1
		.amdhsa_memory_ordered 1
		.amdhsa_forward_progress 0
		.amdhsa_shared_vgpr_count 0
		.amdhsa_exception_fp_ieee_invalid_op 0
		.amdhsa_exception_fp_denorm_src 0
		.amdhsa_exception_fp_ieee_div_zero 0
		.amdhsa_exception_fp_ieee_overflow 0
		.amdhsa_exception_fp_ieee_underflow 0
		.amdhsa_exception_fp_ieee_inexact 0
		.amdhsa_exception_int_div_zero 0
	.end_amdhsa_kernel
	.section	.text._Z6kernelI14inclusive_scanILN6hipcub18BlockScanAlgorithmE0EEhLj64ELj1ELj100EEvPKT0_PS4_S4_,"axG",@progbits,_Z6kernelI14inclusive_scanILN6hipcub18BlockScanAlgorithmE0EEhLj64ELj1ELj100EEvPKT0_PS4_S4_,comdat
.Lfunc_end72:
	.size	_Z6kernelI14inclusive_scanILN6hipcub18BlockScanAlgorithmE0EEhLj64ELj1ELj100EEvPKT0_PS4_S4_, .Lfunc_end72-_Z6kernelI14inclusive_scanILN6hipcub18BlockScanAlgorithmE0EEhLj64ELj1ELj100EEvPKT0_PS4_S4_
                                        ; -- End function
	.section	.AMDGPU.csdata,"",@progbits
; Kernel info:
; codeLenInByte = 588
; NumSgprs: 18
; NumVgprs: 7
; ScratchSize: 0
; MemoryBound: 0
; FloatMode: 240
; IeeeMode: 1
; LDSByteSize: 2 bytes/workgroup (compile time only)
; SGPRBlocks: 2
; VGPRBlocks: 0
; NumSGPRsForWavesPerEU: 18
; NumVGPRsForWavesPerEU: 7
; Occupancy: 16
; WaveLimiterHint : 0
; COMPUTE_PGM_RSRC2:SCRATCH_EN: 0
; COMPUTE_PGM_RSRC2:USER_SGPR: 15
; COMPUTE_PGM_RSRC2:TRAP_HANDLER: 0
; COMPUTE_PGM_RSRC2:TGID_X_EN: 1
; COMPUTE_PGM_RSRC2:TGID_Y_EN: 0
; COMPUTE_PGM_RSRC2:TGID_Z_EN: 0
; COMPUTE_PGM_RSRC2:TIDIG_COMP_CNT: 0
	.section	.text._Z6kernelI14inclusive_scanILN6hipcub18BlockScanAlgorithmE0EEhLj64ELj3ELj100EEvPKT0_PS4_S4_,"axG",@progbits,_Z6kernelI14inclusive_scanILN6hipcub18BlockScanAlgorithmE0EEhLj64ELj3ELj100EEvPKT0_PS4_S4_,comdat
	.protected	_Z6kernelI14inclusive_scanILN6hipcub18BlockScanAlgorithmE0EEhLj64ELj3ELj100EEvPKT0_PS4_S4_ ; -- Begin function _Z6kernelI14inclusive_scanILN6hipcub18BlockScanAlgorithmE0EEhLj64ELj3ELj100EEvPKT0_PS4_S4_
	.globl	_Z6kernelI14inclusive_scanILN6hipcub18BlockScanAlgorithmE0EEhLj64ELj3ELj100EEvPKT0_PS4_S4_
	.p2align	8
	.type	_Z6kernelI14inclusive_scanILN6hipcub18BlockScanAlgorithmE0EEhLj64ELj3ELj100EEvPKT0_PS4_S4_,@function
_Z6kernelI14inclusive_scanILN6hipcub18BlockScanAlgorithmE0EEhLj64ELj3ELj100EEvPKT0_PS4_S4_: ; @_Z6kernelI14inclusive_scanILN6hipcub18BlockScanAlgorithmE0EEhLj64ELj3ELj100EEvPKT0_PS4_S4_
; %bb.0:
	s_clause 0x1
	s_load_b32 s2, s[0:1], 0x24
	s_load_b128 s[8:11], s[0:1], 0x0
	v_mbcnt_lo_u32_b32 v8, -1, 0
	v_lshrrev_b32_e32 v4, 5, v0
	v_or_b32_e32 v11, 31, v0
	v_cmp_gt_u32_e32 vcc_lo, 2, v0
	v_cmp_eq_u32_e64 s1, 0, v0
	v_add_nc_u32_e32 v12, -1, v8
	v_and_b32_e32 v9, 15, v8
	v_and_b32_e32 v10, 16, v8
	;; [unrolled: 1-line block ×3, first 2 shown]
	s_movk_i32 s12, 0x64
	v_cmp_gt_i32_e64 s7, 0, v12
	v_cmp_eq_u32_e64 s3, 0, v9
	v_cmp_lt_u32_e64 s4, 1, v9
	v_cmp_lt_u32_e64 s5, 3, v9
	;; [unrolled: 1-line block ×3, first 2 shown]
	s_waitcnt lgkmcnt(0)
	s_and_b32 s0, s2, 0xffff
	v_cmp_eq_u32_e64 s2, 0, v8
	v_mad_u64_u32 v[1:2], null, s15, s0, v[0:1]
	v_cmp_lt_u32_e64 s0, 31, v0
	s_delay_alu instid0(VALU_DEP_2) | instskip(NEXT) | instid1(VALU_DEP_1)
	v_lshl_add_u32 v3, v1, 1, v1
	v_add_nc_u32_e32 v2, 1, v3
	v_add_nc_u32_e32 v1, 2, v3
	s_clause 0x2
	global_load_u8 v5, v2, s[8:9]
	global_load_u8 v6, v3, s[8:9]
	;; [unrolled: 1-line block ×3, first 2 shown]
	v_cmp_eq_u32_e64 s8, v11, v0
	v_cmp_eq_u32_e64 s9, 0, v13
	s_waitcnt vmcnt(2)
	v_lshlrev_b16 v5, 8, v5
	s_waitcnt vmcnt(1)
	s_delay_alu instid0(VALU_DEP_1) | instskip(SKIP_2) | instid1(VALU_DEP_3)
	v_or_b32_e32 v5, v6, v5
	v_cndmask_b32_e64 v6, v12, v8, s7
	v_cmp_eq_u32_e64 s7, 0, v10
	v_and_b32_e32 v8, 0xffff, v5
	s_delay_alu instid0(VALU_DEP_3) | instskip(SKIP_2) | instid1(VALU_DEP_3)
	v_lshlrev_b32_e32 v5, 2, v6
	v_add_nc_u32_e32 v6, -1, v4
	s_waitcnt vmcnt(0)
	v_lshl_or_b32 v7, v7, 16, v8
	s_branch .LBB73_2
.LBB73_1:                               ;   in Loop: Header=BB73_2 Depth=1
	s_or_b32 exec_lo, exec_lo, s13
	s_delay_alu instid0(VALU_DEP_1) | instskip(SKIP_1) | instid1(SALU_CYCLE_1)
	v_and_b32_e32 v10, 0xff, v10
	s_add_i32 s12, s12, -1
	s_cmp_lg_u32 s12, 0
	ds_bpermute_b32 v10, v5, v10
	s_waitcnt lgkmcnt(0)
	v_cndmask_b32_e64 v10, v10, v11, s2
	s_delay_alu instid0(VALU_DEP_1) | instskip(NEXT) | instid1(VALU_DEP_1)
	v_cndmask_b32_e64 v10, v10, 0, s1
	v_add_nc_u16 v10, v10, v7
	s_delay_alu instid0(VALU_DEP_1) | instskip(SKIP_1) | instid1(VALU_DEP_2)
	v_add_nc_u16 v9, v10, v9
	v_and_b32_e32 v7, 0xff, v10
	v_lshlrev_b16 v11, 8, v9
	v_add_nc_u16 v8, v9, v8
	s_delay_alu instid0(VALU_DEP_2) | instskip(NEXT) | instid1(VALU_DEP_2)
	v_or_b32_e32 v7, v7, v11
	v_and_b32_e32 v11, 0xff, v8
	s_delay_alu instid0(VALU_DEP_2) | instskip(NEXT) | instid1(VALU_DEP_2)
	v_and_b32_e32 v7, 0xffff, v7
	v_lshlrev_b32_e32 v11, 16, v11
	s_delay_alu instid0(VALU_DEP_1)
	v_or_b32_e32 v7, v7, v11
	s_cbranch_scc0 .LBB73_8
.LBB73_2:                               ; =>This Inner Loop Header: Depth=1
	s_delay_alu instid0(VALU_DEP_1) | instskip(SKIP_1) | instid1(VALU_DEP_2)
	v_lshrrev_b32_e32 v9, 8, v7
	v_lshrrev_b32_e32 v8, 16, v7
	v_add_nc_u16 v10, v9, v7
	s_delay_alu instid0(VALU_DEP_1) | instskip(NEXT) | instid1(VALU_DEP_1)
	v_add_nc_u16 v10, v10, v8
	v_and_b32_e32 v11, 0xff, v10
	s_delay_alu instid0(VALU_DEP_1) | instskip(NEXT) | instid1(VALU_DEP_1)
	v_mov_b32_dpp v11, v11 row_shr:1 row_mask:0xf bank_mask:0xf
	v_cndmask_b32_e64 v11, v11, 0, s3
	s_delay_alu instid0(VALU_DEP_1) | instskip(NEXT) | instid1(VALU_DEP_1)
	v_add_nc_u16 v10, v11, v10
	v_and_b32_e32 v11, 0xff, v10
	s_delay_alu instid0(VALU_DEP_1) | instskip(NEXT) | instid1(VALU_DEP_1)
	v_mov_b32_dpp v11, v11 row_shr:2 row_mask:0xf bank_mask:0xf
	v_cndmask_b32_e64 v11, 0, v11, s4
	;; [unrolled: 6-line block ×4, first 2 shown]
	s_delay_alu instid0(VALU_DEP_1) | instskip(NEXT) | instid1(VALU_DEP_1)
	v_add_nc_u16 v10, v10, v11
	v_and_b32_e32 v11, 0xff, v10
	ds_swizzle_b32 v11, v11 offset:swizzle(BROADCAST,32,15)
	s_waitcnt lgkmcnt(0)
	v_cndmask_b32_e64 v11, v11, 0, s7
	s_delay_alu instid0(VALU_DEP_1)
	v_add_nc_u16 v10, v10, v11
	s_and_saveexec_b32 s13, s8
	s_cbranch_execz .LBB73_4
; %bb.3:                                ;   in Loop: Header=BB73_2 Depth=1
	ds_store_b8 v4, v10
.LBB73_4:                               ;   in Loop: Header=BB73_2 Depth=1
	s_or_b32 exec_lo, exec_lo, s13
	s_waitcnt lgkmcnt(0)
	s_barrier
	buffer_gl0_inv
	s_and_saveexec_b32 s13, vcc_lo
	s_cbranch_execz .LBB73_6
; %bb.5:                                ;   in Loop: Header=BB73_2 Depth=1
	ds_load_u8 v11, v0
	s_waitcnt lgkmcnt(0)
	v_and_b32_e32 v12, 0xff, v11
	s_delay_alu instid0(VALU_DEP_1) | instskip(NEXT) | instid1(VALU_DEP_1)
	v_mov_b32_dpp v12, v12 row_shr:1 row_mask:0xf bank_mask:0xf
	v_cndmask_b32_e64 v12, v12, 0, s9
	s_delay_alu instid0(VALU_DEP_1)
	v_add_nc_u16 v11, v12, v11
	ds_store_b8 v0, v11
.LBB73_6:                               ;   in Loop: Header=BB73_2 Depth=1
	s_or_b32 exec_lo, exec_lo, s13
	s_waitcnt lgkmcnt(0)
	s_barrier
	buffer_gl0_inv
                                        ; implicit-def: $vgpr11
	s_and_saveexec_b32 s13, s0
	s_cbranch_execz .LBB73_1
; %bb.7:                                ;   in Loop: Header=BB73_2 Depth=1
	ds_load_u8 v11, v6
	s_waitcnt lgkmcnt(0)
	v_add_nc_u16 v10, v11, v10
	s_branch .LBB73_1
.LBB73_8:
	v_add_co_u32 v3, s0, s10, v3
	s_delay_alu instid0(VALU_DEP_1) | instskip(SKIP_1) | instid1(VALU_DEP_1)
	v_add_co_ci_u32_e64 v4, null, s11, 0, s0
	v_add_co_u32 v5, s0, s10, v2
	v_add_co_ci_u32_e64 v6, null, s11, 0, s0
	v_add_co_u32 v0, s0, s10, v1
	s_delay_alu instid0(VALU_DEP_1)
	v_add_co_ci_u32_e64 v1, null, s11, 0, s0
	s_clause 0x2
	global_store_b8 v[3:4], v10, off
	global_store_b8 v[5:6], v9, off
	;; [unrolled: 1-line block ×3, first 2 shown]
	s_nop 0
	s_sendmsg sendmsg(MSG_DEALLOC_VGPRS)
	s_endpgm
	.section	.rodata,"a",@progbits
	.p2align	6, 0x0
	.amdhsa_kernel _Z6kernelI14inclusive_scanILN6hipcub18BlockScanAlgorithmE0EEhLj64ELj3ELj100EEvPKT0_PS4_S4_
		.amdhsa_group_segment_fixed_size 2
		.amdhsa_private_segment_fixed_size 0
		.amdhsa_kernarg_size 280
		.amdhsa_user_sgpr_count 15
		.amdhsa_user_sgpr_dispatch_ptr 0
		.amdhsa_user_sgpr_queue_ptr 0
		.amdhsa_user_sgpr_kernarg_segment_ptr 1
		.amdhsa_user_sgpr_dispatch_id 0
		.amdhsa_user_sgpr_private_segment_size 0
		.amdhsa_wavefront_size32 1
		.amdhsa_uses_dynamic_stack 0
		.amdhsa_enable_private_segment 0
		.amdhsa_system_sgpr_workgroup_id_x 1
		.amdhsa_system_sgpr_workgroup_id_y 0
		.amdhsa_system_sgpr_workgroup_id_z 0
		.amdhsa_system_sgpr_workgroup_info 0
		.amdhsa_system_vgpr_workitem_id 0
		.amdhsa_next_free_vgpr 14
		.amdhsa_next_free_sgpr 16
		.amdhsa_reserve_vcc 1
		.amdhsa_float_round_mode_32 0
		.amdhsa_float_round_mode_16_64 0
		.amdhsa_float_denorm_mode_32 3
		.amdhsa_float_denorm_mode_16_64 3
		.amdhsa_dx10_clamp 1
		.amdhsa_ieee_mode 1
		.amdhsa_fp16_overflow 0
		.amdhsa_workgroup_processor_mode 1
		.amdhsa_memory_ordered 1
		.amdhsa_forward_progress 0
		.amdhsa_shared_vgpr_count 0
		.amdhsa_exception_fp_ieee_invalid_op 0
		.amdhsa_exception_fp_denorm_src 0
		.amdhsa_exception_fp_ieee_div_zero 0
		.amdhsa_exception_fp_ieee_overflow 0
		.amdhsa_exception_fp_ieee_underflow 0
		.amdhsa_exception_fp_ieee_inexact 0
		.amdhsa_exception_int_div_zero 0
	.end_amdhsa_kernel
	.section	.text._Z6kernelI14inclusive_scanILN6hipcub18BlockScanAlgorithmE0EEhLj64ELj3ELj100EEvPKT0_PS4_S4_,"axG",@progbits,_Z6kernelI14inclusive_scanILN6hipcub18BlockScanAlgorithmE0EEhLj64ELj3ELj100EEvPKT0_PS4_S4_,comdat
.Lfunc_end73:
	.size	_Z6kernelI14inclusive_scanILN6hipcub18BlockScanAlgorithmE0EEhLj64ELj3ELj100EEvPKT0_PS4_S4_, .Lfunc_end73-_Z6kernelI14inclusive_scanILN6hipcub18BlockScanAlgorithmE0EEhLj64ELj3ELj100EEvPKT0_PS4_S4_
                                        ; -- End function
	.section	.AMDGPU.csdata,"",@progbits
; Kernel info:
; codeLenInByte = 912
; NumSgprs: 18
; NumVgprs: 14
; ScratchSize: 0
; MemoryBound: 0
; FloatMode: 240
; IeeeMode: 1
; LDSByteSize: 2 bytes/workgroup (compile time only)
; SGPRBlocks: 2
; VGPRBlocks: 1
; NumSGPRsForWavesPerEU: 18
; NumVGPRsForWavesPerEU: 14
; Occupancy: 16
; WaveLimiterHint : 0
; COMPUTE_PGM_RSRC2:SCRATCH_EN: 0
; COMPUTE_PGM_RSRC2:USER_SGPR: 15
; COMPUTE_PGM_RSRC2:TRAP_HANDLER: 0
; COMPUTE_PGM_RSRC2:TGID_X_EN: 1
; COMPUTE_PGM_RSRC2:TGID_Y_EN: 0
; COMPUTE_PGM_RSRC2:TGID_Z_EN: 0
; COMPUTE_PGM_RSRC2:TIDIG_COMP_CNT: 0
	.section	.text._Z6kernelI14inclusive_scanILN6hipcub18BlockScanAlgorithmE0EEhLj64ELj4ELj100EEvPKT0_PS4_S4_,"axG",@progbits,_Z6kernelI14inclusive_scanILN6hipcub18BlockScanAlgorithmE0EEhLj64ELj4ELj100EEvPKT0_PS4_S4_,comdat
	.protected	_Z6kernelI14inclusive_scanILN6hipcub18BlockScanAlgorithmE0EEhLj64ELj4ELj100EEvPKT0_PS4_S4_ ; -- Begin function _Z6kernelI14inclusive_scanILN6hipcub18BlockScanAlgorithmE0EEhLj64ELj4ELj100EEvPKT0_PS4_S4_
	.globl	_Z6kernelI14inclusive_scanILN6hipcub18BlockScanAlgorithmE0EEhLj64ELj4ELj100EEvPKT0_PS4_S4_
	.p2align	8
	.type	_Z6kernelI14inclusive_scanILN6hipcub18BlockScanAlgorithmE0EEhLj64ELj4ELj100EEvPKT0_PS4_S4_,@function
_Z6kernelI14inclusive_scanILN6hipcub18BlockScanAlgorithmE0EEhLj64ELj4ELj100EEvPKT0_PS4_S4_: ; @_Z6kernelI14inclusive_scanILN6hipcub18BlockScanAlgorithmE0EEhLj64ELj4ELj100EEvPKT0_PS4_S4_
; %bb.0:
	s_clause 0x1
	s_load_b32 s2, s[0:1], 0x24
	s_load_b128 s[8:11], s[0:1], 0x0
	v_mbcnt_lo_u32_b32 v5, -1, 0
	v_or_b32_e32 v7, 31, v0
	v_cmp_gt_u32_e64 s5, 2, v0
	v_cmp_lt_u32_e64 s6, 31, v0
	v_cmp_eq_u32_e64 s7, 0, v0
	v_add_nc_u32_e32 v6, -1, v5
	v_and_b32_e32 v3, 15, v5
	v_and_b32_e32 v4, 16, v5
	s_movk_i32 s12, 0x64
	s_delay_alu instid0(VALU_DEP_3) | instskip(NEXT) | instid1(VALU_DEP_3)
	v_cmp_gt_i32_e64 s4, 0, v6
	v_cmp_eq_u32_e32 vcc_lo, 0, v3
	v_cmp_lt_u32_e64 s1, 3, v3
	v_cmp_eq_u32_e64 s3, 0, v4
	s_delay_alu instid0(VALU_DEP_4)
	v_cndmask_b32_e64 v4, v6, v5, s4
	v_and_b32_e32 v6, 1, v5
	v_cmp_eq_u32_e64 s4, v7, v0
	s_waitcnt lgkmcnt(0)
	s_and_b32 s0, s2, 0xffff
	v_cmp_lt_u32_e64 s2, 7, v3
	s_mul_i32 s15, s15, s0
	v_cmp_lt_u32_e64 s0, 1, v3
	v_add_lshl_u32 v1, s15, v0, 2
	v_lshrrev_b32_e32 v3, 5, v0
	v_lshlrev_b32_e32 v4, 2, v4
	global_load_b32 v2, v1, s[8:9]
	v_cmp_eq_u32_e64 s8, 0, v5
	v_cmp_eq_u32_e64 s9, 0, v6
	v_add_nc_u32_e32 v5, -1, v3
	s_branch .LBB74_2
.LBB74_1:                               ;   in Loop: Header=BB74_2 Depth=1
	s_or_b32 exec_lo, exec_lo, s13
	s_delay_alu instid0(VALU_DEP_1) | instskip(SKIP_1) | instid1(SALU_CYCLE_1)
	v_and_b32_e32 v9, 0xff, v9
	s_add_i32 s12, s12, -1
	s_cmp_lg_u32 s12, 0
	ds_bpermute_b32 v9, v4, v9
	s_waitcnt lgkmcnt(0)
	v_cndmask_b32_e64 v9, v9, v10, s8
	s_delay_alu instid0(VALU_DEP_1) | instskip(NEXT) | instid1(VALU_DEP_1)
	v_cndmask_b32_e64 v9, v9, 0, s7
	v_add_nc_u16 v2, v9, v2
	s_delay_alu instid0(VALU_DEP_1) | instskip(SKIP_1) | instid1(VALU_DEP_2)
	v_add_nc_u16 v7, v2, v7
	v_and_b32_e32 v2, 0xff, v2
	v_add_nc_u16 v6, v7, v6
	v_lshlrev_b16 v7, 8, v7
	s_delay_alu instid0(VALU_DEP_2) | instskip(SKIP_1) | instid1(VALU_DEP_3)
	v_add_nc_u16 v8, v6, v8
	v_and_b32_e32 v6, 0xff, v6
	v_or_b32_e32 v2, v2, v7
	s_delay_alu instid0(VALU_DEP_3) | instskip(NEXT) | instid1(VALU_DEP_2)
	v_lshlrev_b16 v8, 8, v8
	v_and_b32_e32 v2, 0xffff, v2
	s_delay_alu instid0(VALU_DEP_2) | instskip(NEXT) | instid1(VALU_DEP_1)
	v_or_b32_e32 v6, v6, v8
	v_lshlrev_b32_e32 v6, 16, v6
	s_delay_alu instid0(VALU_DEP_1)
	v_or_b32_e32 v2, v2, v6
	s_cbranch_scc0 .LBB74_8
.LBB74_2:                               ; =>This Inner Loop Header: Depth=1
	s_waitcnt vmcnt(0)
	s_delay_alu instid0(VALU_DEP_1) | instskip(SKIP_1) | instid1(VALU_DEP_2)
	v_lshrrev_b32_e32 v7, 8, v2
	v_lshrrev_b32_e32 v6, 16, v2
	v_add_nc_u16 v8, v7, v2
	s_delay_alu instid0(VALU_DEP_1) | instskip(SKIP_1) | instid1(VALU_DEP_1)
	v_add_nc_u16 v9, v8, v6
	v_lshrrev_b32_e32 v8, 24, v2
	v_add_nc_u16 v9, v9, v8
	s_delay_alu instid0(VALU_DEP_1) | instskip(NEXT) | instid1(VALU_DEP_1)
	v_and_b32_e32 v10, 0xff, v9
	v_mov_b32_dpp v10, v10 row_shr:1 row_mask:0xf bank_mask:0xf
	s_delay_alu instid0(VALU_DEP_1) | instskip(NEXT) | instid1(VALU_DEP_1)
	v_cndmask_b32_e64 v10, v10, 0, vcc_lo
	v_add_nc_u16 v9, v9, v10
	s_delay_alu instid0(VALU_DEP_1) | instskip(NEXT) | instid1(VALU_DEP_1)
	v_and_b32_e32 v10, 0xff, v9
	v_mov_b32_dpp v10, v10 row_shr:2 row_mask:0xf bank_mask:0xf
	s_delay_alu instid0(VALU_DEP_1) | instskip(NEXT) | instid1(VALU_DEP_1)
	v_cndmask_b32_e64 v10, 0, v10, s0
	v_add_nc_u16 v9, v9, v10
	s_delay_alu instid0(VALU_DEP_1) | instskip(NEXT) | instid1(VALU_DEP_1)
	v_and_b32_e32 v10, 0xff, v9
	v_mov_b32_dpp v10, v10 row_shr:4 row_mask:0xf bank_mask:0xf
	s_delay_alu instid0(VALU_DEP_1) | instskip(NEXT) | instid1(VALU_DEP_1)
	v_cndmask_b32_e64 v10, 0, v10, s1
	;; [unrolled: 6-line block ×3, first 2 shown]
	v_add_nc_u16 v9, v9, v10
	s_delay_alu instid0(VALU_DEP_1) | instskip(SKIP_3) | instid1(VALU_DEP_1)
	v_and_b32_e32 v10, 0xff, v9
	ds_swizzle_b32 v10, v10 offset:swizzle(BROADCAST,32,15)
	s_waitcnt lgkmcnt(0)
	v_cndmask_b32_e64 v10, v10, 0, s3
	v_add_nc_u16 v9, v9, v10
	s_and_saveexec_b32 s13, s4
	s_cbranch_execz .LBB74_4
; %bb.3:                                ;   in Loop: Header=BB74_2 Depth=1
	ds_store_b8 v3, v9
.LBB74_4:                               ;   in Loop: Header=BB74_2 Depth=1
	s_or_b32 exec_lo, exec_lo, s13
	s_waitcnt lgkmcnt(0)
	s_barrier
	buffer_gl0_inv
	s_and_saveexec_b32 s13, s5
	s_cbranch_execz .LBB74_6
; %bb.5:                                ;   in Loop: Header=BB74_2 Depth=1
	ds_load_u8 v10, v0
	s_waitcnt lgkmcnt(0)
	v_and_b32_e32 v11, 0xff, v10
	s_delay_alu instid0(VALU_DEP_1) | instskip(NEXT) | instid1(VALU_DEP_1)
	v_mov_b32_dpp v11, v11 row_shr:1 row_mask:0xf bank_mask:0xf
	v_cndmask_b32_e64 v11, v11, 0, s9
	s_delay_alu instid0(VALU_DEP_1)
	v_add_nc_u16 v10, v11, v10
	ds_store_b8 v0, v10
.LBB74_6:                               ;   in Loop: Header=BB74_2 Depth=1
	s_or_b32 exec_lo, exec_lo, s13
	s_waitcnt lgkmcnt(0)
	s_barrier
	buffer_gl0_inv
                                        ; implicit-def: $vgpr10
	s_and_saveexec_b32 s13, s6
	s_cbranch_execz .LBB74_1
; %bb.7:                                ;   in Loop: Header=BB74_2 Depth=1
	ds_load_u8 v10, v5
	s_waitcnt lgkmcnt(0)
	v_add_nc_u16 v9, v10, v9
	s_branch .LBB74_1
.LBB74_8:
	v_add_co_u32 v0, s0, s10, v1
	s_delay_alu instid0(VALU_DEP_1)
	v_add_co_ci_u32_e64 v1, null, s11, 0, s0
	global_store_b32 v[0:1], v2, off
	s_nop 0
	s_sendmsg sendmsg(MSG_DEALLOC_VGPRS)
	s_endpgm
	.section	.rodata,"a",@progbits
	.p2align	6, 0x0
	.amdhsa_kernel _Z6kernelI14inclusive_scanILN6hipcub18BlockScanAlgorithmE0EEhLj64ELj4ELj100EEvPKT0_PS4_S4_
		.amdhsa_group_segment_fixed_size 2
		.amdhsa_private_segment_fixed_size 0
		.amdhsa_kernarg_size 280
		.amdhsa_user_sgpr_count 15
		.amdhsa_user_sgpr_dispatch_ptr 0
		.amdhsa_user_sgpr_queue_ptr 0
		.amdhsa_user_sgpr_kernarg_segment_ptr 1
		.amdhsa_user_sgpr_dispatch_id 0
		.amdhsa_user_sgpr_private_segment_size 0
		.amdhsa_wavefront_size32 1
		.amdhsa_uses_dynamic_stack 0
		.amdhsa_enable_private_segment 0
		.amdhsa_system_sgpr_workgroup_id_x 1
		.amdhsa_system_sgpr_workgroup_id_y 0
		.amdhsa_system_sgpr_workgroup_id_z 0
		.amdhsa_system_sgpr_workgroup_info 0
		.amdhsa_system_vgpr_workitem_id 0
		.amdhsa_next_free_vgpr 12
		.amdhsa_next_free_sgpr 16
		.amdhsa_reserve_vcc 1
		.amdhsa_float_round_mode_32 0
		.amdhsa_float_round_mode_16_64 0
		.amdhsa_float_denorm_mode_32 3
		.amdhsa_float_denorm_mode_16_64 3
		.amdhsa_dx10_clamp 1
		.amdhsa_ieee_mode 1
		.amdhsa_fp16_overflow 0
		.amdhsa_workgroup_processor_mode 1
		.amdhsa_memory_ordered 1
		.amdhsa_forward_progress 0
		.amdhsa_shared_vgpr_count 0
		.amdhsa_exception_fp_ieee_invalid_op 0
		.amdhsa_exception_fp_denorm_src 0
		.amdhsa_exception_fp_ieee_div_zero 0
		.amdhsa_exception_fp_ieee_overflow 0
		.amdhsa_exception_fp_ieee_underflow 0
		.amdhsa_exception_fp_ieee_inexact 0
		.amdhsa_exception_int_div_zero 0
	.end_amdhsa_kernel
	.section	.text._Z6kernelI14inclusive_scanILN6hipcub18BlockScanAlgorithmE0EEhLj64ELj4ELj100EEvPKT0_PS4_S4_,"axG",@progbits,_Z6kernelI14inclusive_scanILN6hipcub18BlockScanAlgorithmE0EEhLj64ELj4ELj100EEvPKT0_PS4_S4_,comdat
.Lfunc_end74:
	.size	_Z6kernelI14inclusive_scanILN6hipcub18BlockScanAlgorithmE0EEhLj64ELj4ELj100EEvPKT0_PS4_S4_, .Lfunc_end74-_Z6kernelI14inclusive_scanILN6hipcub18BlockScanAlgorithmE0EEhLj64ELj4ELj100EEvPKT0_PS4_S4_
                                        ; -- End function
	.section	.AMDGPU.csdata,"",@progbits
; Kernel info:
; codeLenInByte = 820
; NumSgprs: 18
; NumVgprs: 12
; ScratchSize: 0
; MemoryBound: 0
; FloatMode: 240
; IeeeMode: 1
; LDSByteSize: 2 bytes/workgroup (compile time only)
; SGPRBlocks: 2
; VGPRBlocks: 1
; NumSGPRsForWavesPerEU: 18
; NumVGPRsForWavesPerEU: 12
; Occupancy: 16
; WaveLimiterHint : 0
; COMPUTE_PGM_RSRC2:SCRATCH_EN: 0
; COMPUTE_PGM_RSRC2:USER_SGPR: 15
; COMPUTE_PGM_RSRC2:TRAP_HANDLER: 0
; COMPUTE_PGM_RSRC2:TGID_X_EN: 1
; COMPUTE_PGM_RSRC2:TGID_Y_EN: 0
; COMPUTE_PGM_RSRC2:TGID_Z_EN: 0
; COMPUTE_PGM_RSRC2:TIDIG_COMP_CNT: 0
	.section	.text._Z6kernelI14inclusive_scanILN6hipcub18BlockScanAlgorithmE0EEhLj64ELj8ELj100EEvPKT0_PS4_S4_,"axG",@progbits,_Z6kernelI14inclusive_scanILN6hipcub18BlockScanAlgorithmE0EEhLj64ELj8ELj100EEvPKT0_PS4_S4_,comdat
	.protected	_Z6kernelI14inclusive_scanILN6hipcub18BlockScanAlgorithmE0EEhLj64ELj8ELj100EEvPKT0_PS4_S4_ ; -- Begin function _Z6kernelI14inclusive_scanILN6hipcub18BlockScanAlgorithmE0EEhLj64ELj8ELj100EEvPKT0_PS4_S4_
	.globl	_Z6kernelI14inclusive_scanILN6hipcub18BlockScanAlgorithmE0EEhLj64ELj8ELj100EEvPKT0_PS4_S4_
	.p2align	8
	.type	_Z6kernelI14inclusive_scanILN6hipcub18BlockScanAlgorithmE0EEhLj64ELj8ELj100EEvPKT0_PS4_S4_,@function
_Z6kernelI14inclusive_scanILN6hipcub18BlockScanAlgorithmE0EEhLj64ELj8ELj100EEvPKT0_PS4_S4_: ; @_Z6kernelI14inclusive_scanILN6hipcub18BlockScanAlgorithmE0EEhLj64ELj8ELj100EEvPKT0_PS4_S4_
; %bb.0:
	s_clause 0x1
	s_load_b32 s2, s[0:1], 0x24
	s_load_b128 s[8:11], s[0:1], 0x0
	v_mbcnt_lo_u32_b32 v6, -1, 0
	v_or_b32_e32 v8, 31, v0
	v_cmp_gt_u32_e64 s5, 2, v0
	v_cmp_lt_u32_e64 s6, 31, v0
	v_cmp_eq_u32_e64 s7, 0, v0
	v_add_nc_u32_e32 v7, -1, v6
	v_and_b32_e32 v4, 15, v6
	v_and_b32_e32 v5, 16, v6
	s_movk_i32 s12, 0x64
	s_delay_alu instid0(VALU_DEP_3) | instskip(NEXT) | instid1(VALU_DEP_3)
	v_cmp_gt_i32_e64 s4, 0, v7
	v_cmp_eq_u32_e32 vcc_lo, 0, v4
	v_cmp_lt_u32_e64 s1, 3, v4
	v_cmp_eq_u32_e64 s3, 0, v5
	s_delay_alu instid0(VALU_DEP_4)
	v_cndmask_b32_e64 v5, v7, v6, s4
	v_and_b32_e32 v7, 1, v6
	v_cmp_eq_u32_e64 s4, v8, v0
	s_waitcnt lgkmcnt(0)
	s_and_b32 s0, s2, 0xffff
	v_cmp_lt_u32_e64 s2, 7, v4
	s_mul_i32 s15, s15, s0
	v_cmp_lt_u32_e64 s0, 1, v4
	v_add_lshl_u32 v3, s15, v0, 3
	v_lshrrev_b32_e32 v4, 5, v0
	v_lshlrev_b32_e32 v5, 2, v5
	global_load_b64 v[1:2], v3, s[8:9]
	v_cmp_eq_u32_e64 s8, 0, v6
	v_cmp_eq_u32_e64 s9, 0, v7
	v_add_nc_u32_e32 v6, -1, v4
	s_branch .LBB75_2
.LBB75_1:                               ;   in Loop: Header=BB75_2 Depth=1
	s_or_b32 exec_lo, exec_lo, s13
	s_delay_alu instid0(VALU_DEP_1) | instskip(SKIP_1) | instid1(SALU_CYCLE_1)
	v_and_b32_e32 v13, 0xff, v13
	s_add_i32 s12, s12, -1
	s_cmp_lg_u32 s12, 0
	ds_bpermute_b32 v13, v5, v13
	s_waitcnt lgkmcnt(0)
	v_cndmask_b32_e64 v13, v13, v14, s8
	s_delay_alu instid0(VALU_DEP_1) | instskip(NEXT) | instid1(VALU_DEP_1)
	v_cndmask_b32_e64 v13, v13, 0, s7
	v_add_nc_u16 v1, v13, v1
	s_delay_alu instid0(VALU_DEP_1) | instskip(SKIP_1) | instid1(VALU_DEP_2)
	v_add_nc_u16 v7, v1, v7
	v_and_b32_e32 v1, 0xff, v1
	v_add_nc_u16 v8, v7, v8
	v_lshlrev_b16 v7, 8, v7
	s_delay_alu instid0(VALU_DEP_2) | instskip(SKIP_1) | instid1(VALU_DEP_3)
	v_add_nc_u16 v10, v8, v10
	v_and_b32_e32 v8, 0xff, v8
	v_or_b32_e32 v1, v1, v7
	s_delay_alu instid0(VALU_DEP_3) | instskip(SKIP_1) | instid1(VALU_DEP_3)
	v_add_nc_u16 v2, v10, v2
	v_lshlrev_b16 v10, 8, v10
	v_and_b32_e32 v7, 0xffff, v1
	s_delay_alu instid0(VALU_DEP_3) | instskip(SKIP_1) | instid1(VALU_DEP_4)
	v_add_nc_u16 v11, v2, v11
	v_and_b32_e32 v2, 0xff, v2
	v_or_b32_e32 v8, v8, v10
	s_delay_alu instid0(VALU_DEP_3) | instskip(SKIP_1) | instid1(VALU_DEP_3)
	v_add_nc_u16 v12, v11, v12
	v_lshlrev_b16 v11, 8, v11
	v_lshlrev_b32_e32 v8, 16, v8
	s_delay_alu instid0(VALU_DEP_3) | instskip(SKIP_1) | instid1(VALU_DEP_4)
	v_add_nc_u16 v9, v12, v9
	v_and_b32_e32 v12, 0xff, v12
	v_or_b32_e32 v2, v2, v11
	s_delay_alu instid0(VALU_DEP_4) | instskip(NEXT) | instid1(VALU_DEP_4)
	v_or_b32_e32 v1, v7, v8
	v_lshlrev_b16 v9, 8, v9
	s_delay_alu instid0(VALU_DEP_1) | instskip(NEXT) | instid1(VALU_DEP_4)
	v_or_b32_e32 v10, v12, v9
	v_and_b32_e32 v9, 0xffff, v2
	s_delay_alu instid0(VALU_DEP_2) | instskip(NEXT) | instid1(VALU_DEP_1)
	v_lshlrev_b32_e32 v10, 16, v10
	v_or_b32_e32 v2, v9, v10
	s_cbranch_scc0 .LBB75_8
.LBB75_2:                               ; =>This Inner Loop Header: Depth=1
	s_waitcnt vmcnt(0)
	v_lshrrev_b32_e32 v7, 8, v1
	v_lshrrev_b32_e32 v8, 16, v1
	;; [unrolled: 1-line block ×5, first 2 shown]
	v_add_nc_u16 v9, v7, v1
	s_delay_alu instid0(VALU_DEP_1) | instskip(NEXT) | instid1(VALU_DEP_1)
	v_add_nc_u16 v9, v9, v8
	v_add_nc_u16 v9, v9, v10
	s_delay_alu instid0(VALU_DEP_1) | instskip(NEXT) | instid1(VALU_DEP_1)
	v_add_nc_u16 v9, v9, v2
	v_add_nc_u16 v9, v9, v11
	s_delay_alu instid0(VALU_DEP_1) | instskip(SKIP_1) | instid1(VALU_DEP_1)
	v_add_nc_u16 v13, v9, v12
	v_lshrrev_b32_e32 v9, 24, v2
	v_add_nc_u16 v13, v13, v9
	s_delay_alu instid0(VALU_DEP_1) | instskip(NEXT) | instid1(VALU_DEP_1)
	v_and_b32_e32 v14, 0xff, v13
	v_mov_b32_dpp v14, v14 row_shr:1 row_mask:0xf bank_mask:0xf
	s_delay_alu instid0(VALU_DEP_1) | instskip(NEXT) | instid1(VALU_DEP_1)
	v_cndmask_b32_e64 v14, v14, 0, vcc_lo
	v_add_nc_u16 v13, v13, v14
	s_delay_alu instid0(VALU_DEP_1) | instskip(NEXT) | instid1(VALU_DEP_1)
	v_and_b32_e32 v14, 0xff, v13
	v_mov_b32_dpp v14, v14 row_shr:2 row_mask:0xf bank_mask:0xf
	s_delay_alu instid0(VALU_DEP_1) | instskip(NEXT) | instid1(VALU_DEP_1)
	v_cndmask_b32_e64 v14, 0, v14, s0
	v_add_nc_u16 v13, v13, v14
	s_delay_alu instid0(VALU_DEP_1) | instskip(NEXT) | instid1(VALU_DEP_1)
	v_and_b32_e32 v14, 0xff, v13
	v_mov_b32_dpp v14, v14 row_shr:4 row_mask:0xf bank_mask:0xf
	s_delay_alu instid0(VALU_DEP_1) | instskip(NEXT) | instid1(VALU_DEP_1)
	v_cndmask_b32_e64 v14, 0, v14, s1
	;; [unrolled: 6-line block ×3, first 2 shown]
	v_add_nc_u16 v13, v13, v14
	s_delay_alu instid0(VALU_DEP_1) | instskip(SKIP_3) | instid1(VALU_DEP_1)
	v_and_b32_e32 v14, 0xff, v13
	ds_swizzle_b32 v14, v14 offset:swizzle(BROADCAST,32,15)
	s_waitcnt lgkmcnt(0)
	v_cndmask_b32_e64 v14, v14, 0, s3
	v_add_nc_u16 v13, v13, v14
	s_and_saveexec_b32 s13, s4
	s_cbranch_execz .LBB75_4
; %bb.3:                                ;   in Loop: Header=BB75_2 Depth=1
	ds_store_b8 v4, v13
.LBB75_4:                               ;   in Loop: Header=BB75_2 Depth=1
	s_or_b32 exec_lo, exec_lo, s13
	s_waitcnt lgkmcnt(0)
	s_barrier
	buffer_gl0_inv
	s_and_saveexec_b32 s13, s5
	s_cbranch_execz .LBB75_6
; %bb.5:                                ;   in Loop: Header=BB75_2 Depth=1
	ds_load_u8 v14, v0
	s_waitcnt lgkmcnt(0)
	v_and_b32_e32 v15, 0xff, v14
	s_delay_alu instid0(VALU_DEP_1) | instskip(NEXT) | instid1(VALU_DEP_1)
	v_mov_b32_dpp v15, v15 row_shr:1 row_mask:0xf bank_mask:0xf
	v_cndmask_b32_e64 v15, v15, 0, s9
	s_delay_alu instid0(VALU_DEP_1)
	v_add_nc_u16 v14, v15, v14
	ds_store_b8 v0, v14
.LBB75_6:                               ;   in Loop: Header=BB75_2 Depth=1
	s_or_b32 exec_lo, exec_lo, s13
	s_waitcnt lgkmcnt(0)
	s_barrier
	buffer_gl0_inv
                                        ; implicit-def: $vgpr14
	s_and_saveexec_b32 s13, s6
	s_cbranch_execz .LBB75_1
; %bb.7:                                ;   in Loop: Header=BB75_2 Depth=1
	ds_load_u8 v14, v6
	s_waitcnt lgkmcnt(0)
	v_add_nc_u16 v13, v14, v13
	s_branch .LBB75_1
.LBB75_8:
	v_add_co_u32 v0, s0, s10, v3
	s_delay_alu instid0(VALU_DEP_1)
	v_add_co_ci_u32_e64 v1, null, s11, 0, s0
	v_or_b32_e32 v3, v9, v10
	v_or_b32_e32 v2, v7, v8
	global_store_b64 v[0:1], v[2:3], off
	s_nop 0
	s_sendmsg sendmsg(MSG_DEALLOC_VGPRS)
	s_endpgm
	.section	.rodata,"a",@progbits
	.p2align	6, 0x0
	.amdhsa_kernel _Z6kernelI14inclusive_scanILN6hipcub18BlockScanAlgorithmE0EEhLj64ELj8ELj100EEvPKT0_PS4_S4_
		.amdhsa_group_segment_fixed_size 2
		.amdhsa_private_segment_fixed_size 0
		.amdhsa_kernarg_size 280
		.amdhsa_user_sgpr_count 15
		.amdhsa_user_sgpr_dispatch_ptr 0
		.amdhsa_user_sgpr_queue_ptr 0
		.amdhsa_user_sgpr_kernarg_segment_ptr 1
		.amdhsa_user_sgpr_dispatch_id 0
		.amdhsa_user_sgpr_private_segment_size 0
		.amdhsa_wavefront_size32 1
		.amdhsa_uses_dynamic_stack 0
		.amdhsa_enable_private_segment 0
		.amdhsa_system_sgpr_workgroup_id_x 1
		.amdhsa_system_sgpr_workgroup_id_y 0
		.amdhsa_system_sgpr_workgroup_id_z 0
		.amdhsa_system_sgpr_workgroup_info 0
		.amdhsa_system_vgpr_workitem_id 0
		.amdhsa_next_free_vgpr 16
		.amdhsa_next_free_sgpr 16
		.amdhsa_reserve_vcc 1
		.amdhsa_float_round_mode_32 0
		.amdhsa_float_round_mode_16_64 0
		.amdhsa_float_denorm_mode_32 3
		.amdhsa_float_denorm_mode_16_64 3
		.amdhsa_dx10_clamp 1
		.amdhsa_ieee_mode 1
		.amdhsa_fp16_overflow 0
		.amdhsa_workgroup_processor_mode 1
		.amdhsa_memory_ordered 1
		.amdhsa_forward_progress 0
		.amdhsa_shared_vgpr_count 0
		.amdhsa_exception_fp_ieee_invalid_op 0
		.amdhsa_exception_fp_denorm_src 0
		.amdhsa_exception_fp_ieee_div_zero 0
		.amdhsa_exception_fp_ieee_overflow 0
		.amdhsa_exception_fp_ieee_underflow 0
		.amdhsa_exception_fp_ieee_inexact 0
		.amdhsa_exception_int_div_zero 0
	.end_amdhsa_kernel
	.section	.text._Z6kernelI14inclusive_scanILN6hipcub18BlockScanAlgorithmE0EEhLj64ELj8ELj100EEvPKT0_PS4_S4_,"axG",@progbits,_Z6kernelI14inclusive_scanILN6hipcub18BlockScanAlgorithmE0EEhLj64ELj8ELj100EEvPKT0_PS4_S4_,comdat
.Lfunc_end75:
	.size	_Z6kernelI14inclusive_scanILN6hipcub18BlockScanAlgorithmE0EEhLj64ELj8ELj100EEvPKT0_PS4_S4_, .Lfunc_end75-_Z6kernelI14inclusive_scanILN6hipcub18BlockScanAlgorithmE0EEhLj64ELj8ELj100EEvPKT0_PS4_S4_
                                        ; -- End function
	.section	.AMDGPU.csdata,"",@progbits
; Kernel info:
; codeLenInByte = 980
; NumSgprs: 18
; NumVgprs: 16
; ScratchSize: 0
; MemoryBound: 0
; FloatMode: 240
; IeeeMode: 1
; LDSByteSize: 2 bytes/workgroup (compile time only)
; SGPRBlocks: 2
; VGPRBlocks: 1
; NumSGPRsForWavesPerEU: 18
; NumVGPRsForWavesPerEU: 16
; Occupancy: 16
; WaveLimiterHint : 0
; COMPUTE_PGM_RSRC2:SCRATCH_EN: 0
; COMPUTE_PGM_RSRC2:USER_SGPR: 15
; COMPUTE_PGM_RSRC2:TRAP_HANDLER: 0
; COMPUTE_PGM_RSRC2:TGID_X_EN: 1
; COMPUTE_PGM_RSRC2:TGID_Y_EN: 0
; COMPUTE_PGM_RSRC2:TGID_Z_EN: 0
; COMPUTE_PGM_RSRC2:TIDIG_COMP_CNT: 0
	.section	.text._Z6kernelI14inclusive_scanILN6hipcub18BlockScanAlgorithmE0EEhLj64ELj11ELj100EEvPKT0_PS4_S4_,"axG",@progbits,_Z6kernelI14inclusive_scanILN6hipcub18BlockScanAlgorithmE0EEhLj64ELj11ELj100EEvPKT0_PS4_S4_,comdat
	.protected	_Z6kernelI14inclusive_scanILN6hipcub18BlockScanAlgorithmE0EEhLj64ELj11ELj100EEvPKT0_PS4_S4_ ; -- Begin function _Z6kernelI14inclusive_scanILN6hipcub18BlockScanAlgorithmE0EEhLj64ELj11ELj100EEvPKT0_PS4_S4_
	.globl	_Z6kernelI14inclusive_scanILN6hipcub18BlockScanAlgorithmE0EEhLj64ELj11ELj100EEvPKT0_PS4_S4_
	.p2align	8
	.type	_Z6kernelI14inclusive_scanILN6hipcub18BlockScanAlgorithmE0EEhLj64ELj11ELj100EEvPKT0_PS4_S4_,@function
_Z6kernelI14inclusive_scanILN6hipcub18BlockScanAlgorithmE0EEhLj64ELj11ELj100EEvPKT0_PS4_S4_: ; @_Z6kernelI14inclusive_scanILN6hipcub18BlockScanAlgorithmE0EEhLj64ELj11ELj100EEvPKT0_PS4_S4_
; %bb.0:
	s_clause 0x1
	s_load_b32 s2, s[0:1], 0x24
	s_load_b128 s[8:11], s[0:1], 0x0
	v_mbcnt_lo_u32_b32 v24, -1, 0
	v_lshrrev_b32_e32 v15, 5, v0
	v_or_b32_e32 v27, 31, v0
	v_cmp_gt_u32_e32 vcc_lo, 2, v0
	v_cmp_lt_u32_e64 s0, 31, v0
	v_add_nc_u32_e32 v28, -1, v24
	v_and_b32_e32 v25, 15, v24
	v_and_b32_e32 v26, 16, v24
	;; [unrolled: 1-line block ×3, first 2 shown]
	v_cmp_eq_u32_e64 s1, 0, v0
	s_movk_i32 s12, 0x64
	v_cmp_eq_u32_e64 s3, 0, v25
	v_cmp_lt_u32_e64 s4, 1, v25
	v_cmp_lt_u32_e64 s5, 3, v25
	;; [unrolled: 1-line block ×3, first 2 shown]
	v_cmp_eq_u32_e64 s7, 0, v26
	s_waitcnt lgkmcnt(0)
	s_and_b32 s2, s2, 0xffff
	s_delay_alu instid0(SALU_CYCLE_1) | instskip(SKIP_1) | instid1(VALU_DEP_2)
	v_mad_u64_u32 v[1:2], null, s15, s2, v[0:1]
	v_cmp_eq_u32_e64 s2, 0, v24
	v_mul_lo_u32 v14, v1, 11
	s_delay_alu instid0(VALU_DEP_1)
	v_add_nc_u32_e32 v13, 1, v14
	v_add_nc_u32_e32 v11, 3, v14
	;; [unrolled: 1-line block ×7, first 2 shown]
	s_clause 0x7
	global_load_u8 v16, v13, s[8:9]
	global_load_u8 v17, v11, s[8:9]
	;; [unrolled: 1-line block ×8, first 2 shown]
	v_add_nc_u32_e32 v8, 8, v14
	v_add_nc_u32_e32 v6, 9, v14
	;; [unrolled: 1-line block ×3, first 2 shown]
	s_clause 0x2
	global_load_u8 v2, v8, s[8:9]
	global_load_u8 v3, v6, s[8:9]
	;; [unrolled: 1-line block ×3, first 2 shown]
	v_cmp_gt_i32_e64 s9, 0, v28
	v_cmp_eq_u32_e64 s8, v27, v0
	s_waitcnt vmcnt(10)
	v_lshlrev_b16 v16, 8, v16
	s_waitcnt vmcnt(9)
	v_lshlrev_b16 v17, 8, v17
	;; [unrolled: 2-line block ×4, first 2 shown]
	s_waitcnt vmcnt(6)
	v_or_b32_e32 v16, v20, v16
	s_waitcnt vmcnt(5)
	v_or_b32_e32 v17, v21, v17
	;; [unrolled: 2-line block ×4, first 2 shown]
	v_cndmask_b32_e64 v20, v28, v24, s9
	v_and_b32_e32 v21, 0xffff, v16
	v_lshlrev_b32_e32 v22, 16, v17
	v_and_b32_e32 v18, 0xffff, v18
	v_lshlrev_b32_e32 v23, 16, v19
	v_cmp_eq_u32_e64 s9, 0, v29
	v_add_nc_u32_e32 v16, -1, v15
	v_lshlrev_b32_e32 v17, 2, v20
	v_or_b32_e32 v19, v21, v22
	v_or_b32_e32 v18, v18, v23
	s_branch .LBB76_2
.LBB76_1:                               ;   in Loop: Header=BB76_2 Depth=1
	s_or_b32 exec_lo, exec_lo, s13
	s_delay_alu instid0(VALU_DEP_1) | instskip(SKIP_1) | instid1(SALU_CYCLE_1)
	v_and_b32_e32 v20, 0xff, v20
	s_add_i32 s12, s12, -1
	s_cmp_lg_u32 s12, 0
	ds_bpermute_b32 v20, v17, v20
	s_waitcnt lgkmcnt(0)
	v_cndmask_b32_e64 v20, v20, v24, s2
	s_delay_alu instid0(VALU_DEP_1) | instskip(NEXT) | instid1(VALU_DEP_1)
	v_cndmask_b32_e64 v20, v20, 0, s1
	v_add_nc_u16 v20, v20, v19
	s_delay_alu instid0(VALU_DEP_1) | instskip(NEXT) | instid1(VALU_DEP_1)
	v_add_nc_u16 v21, v20, v21
	v_add_nc_u16 v22, v21, v22
	v_lshlrev_b16 v19, 8, v21
	s_delay_alu instid0(VALU_DEP_2) | instskip(SKIP_1) | instid1(VALU_DEP_2)
	v_add_nc_u16 v23, v22, v23
	v_and_b32_e32 v28, 0xff, v22
	v_add_nc_u16 v24, v23, v18
	v_and_b32_e32 v18, 0xff, v20
	v_lshlrev_b16 v29, 8, v23
	s_delay_alu instid0(VALU_DEP_3) | instskip(SKIP_1) | instid1(VALU_DEP_4)
	v_add_nc_u16 v25, v24, v25
	v_and_b32_e32 v30, 0xff, v24
	v_or_b32_e32 v18, v18, v19
	s_delay_alu instid0(VALU_DEP_4) | instskip(NEXT) | instid1(VALU_DEP_4)
	v_or_b32_e32 v19, v28, v29
	v_add_nc_u16 v26, v25, v26
	v_lshlrev_b16 v31, 8, v25
	s_delay_alu instid0(VALU_DEP_4) | instskip(NEXT) | instid1(VALU_DEP_4)
	v_and_b32_e32 v18, 0xffff, v18
	v_lshlrev_b32_e32 v19, 16, v19
	s_delay_alu instid0(VALU_DEP_4) | instskip(SKIP_2) | instid1(VALU_DEP_4)
	v_add_nc_u16 v27, v26, v27
	v_and_b32_e32 v32, 0xff, v26
	v_or_b32_e32 v28, v30, v31
	v_or_b32_e32 v19, v18, v19
	s_delay_alu instid0(VALU_DEP_4) | instskip(SKIP_1) | instid1(VALU_DEP_4)
	v_lshlrev_b16 v33, 8, v27
	v_add_nc_u16 v2, v27, v2
	v_and_b32_e32 v28, 0xffff, v28
	s_delay_alu instid0(VALU_DEP_3) | instskip(NEXT) | instid1(VALU_DEP_3)
	v_or_b32_e32 v29, v32, v33
	v_add_nc_u16 v3, v2, v3
	s_delay_alu instid0(VALU_DEP_2) | instskip(NEXT) | instid1(VALU_DEP_2)
	v_lshlrev_b32_e32 v29, 16, v29
	v_add_nc_u16 v1, v3, v1
	s_delay_alu instid0(VALU_DEP_2)
	v_or_b32_e32 v18, v28, v29
	s_cbranch_scc0 .LBB76_8
.LBB76_2:                               ; =>This Inner Loop Header: Depth=1
	s_delay_alu instid0(VALU_DEP_2)
	v_lshrrev_b32_e32 v21, 8, v19
	v_lshrrev_b32_e32 v22, 16, v19
	;; [unrolled: 1-line block ×5, first 2 shown]
	v_add_nc_u16 v20, v21, v19
	v_lshrrev_b32_e32 v27, 24, v18
	s_delay_alu instid0(VALU_DEP_2) | instskip(NEXT) | instid1(VALU_DEP_1)
	v_add_nc_u16 v20, v20, v22
	v_add_nc_u16 v20, v20, v23
	s_delay_alu instid0(VALU_DEP_1) | instskip(NEXT) | instid1(VALU_DEP_1)
	v_add_nc_u16 v20, v20, v18
	v_add_nc_u16 v20, v20, v25
	s_delay_alu instid0(VALU_DEP_1) | instskip(NEXT) | instid1(VALU_DEP_1)
	v_add_nc_u16 v20, v20, v26
	v_add_nc_u16 v20, v20, v27
	s_waitcnt vmcnt(2)
	s_delay_alu instid0(VALU_DEP_1) | instskip(SKIP_1) | instid1(VALU_DEP_1)
	v_add_nc_u16 v20, v20, v2
	s_waitcnt vmcnt(1)
	v_add_nc_u16 v20, v20, v3
	s_waitcnt vmcnt(0)
	s_delay_alu instid0(VALU_DEP_1) | instskip(NEXT) | instid1(VALU_DEP_1)
	v_add_nc_u16 v20, v20, v1
	v_and_b32_e32 v24, 0xff, v20
	s_delay_alu instid0(VALU_DEP_1) | instskip(NEXT) | instid1(VALU_DEP_1)
	v_mov_b32_dpp v24, v24 row_shr:1 row_mask:0xf bank_mask:0xf
	v_cndmask_b32_e64 v24, v24, 0, s3
	s_delay_alu instid0(VALU_DEP_1) | instskip(NEXT) | instid1(VALU_DEP_1)
	v_add_nc_u16 v20, v20, v24
	v_and_b32_e32 v24, 0xff, v20
	s_delay_alu instid0(VALU_DEP_1) | instskip(NEXT) | instid1(VALU_DEP_1)
	v_mov_b32_dpp v24, v24 row_shr:2 row_mask:0xf bank_mask:0xf
	v_cndmask_b32_e64 v24, 0, v24, s4
	;; [unrolled: 6-line block ×4, first 2 shown]
	s_delay_alu instid0(VALU_DEP_1) | instskip(NEXT) | instid1(VALU_DEP_1)
	v_add_nc_u16 v20, v20, v24
	v_and_b32_e32 v24, 0xff, v20
	ds_swizzle_b32 v24, v24 offset:swizzle(BROADCAST,32,15)
	s_waitcnt lgkmcnt(0)
	v_cndmask_b32_e64 v24, v24, 0, s7
	s_delay_alu instid0(VALU_DEP_1)
	v_add_nc_u16 v20, v20, v24
	s_and_saveexec_b32 s13, s8
	s_cbranch_execz .LBB76_4
; %bb.3:                                ;   in Loop: Header=BB76_2 Depth=1
	ds_store_b8 v15, v20
.LBB76_4:                               ;   in Loop: Header=BB76_2 Depth=1
	s_or_b32 exec_lo, exec_lo, s13
	s_waitcnt lgkmcnt(0)
	s_barrier
	buffer_gl0_inv
	s_and_saveexec_b32 s13, vcc_lo
	s_cbranch_execz .LBB76_6
; %bb.5:                                ;   in Loop: Header=BB76_2 Depth=1
	ds_load_u8 v24, v0
	s_waitcnt lgkmcnt(0)
	v_and_b32_e32 v28, 0xff, v24
	s_delay_alu instid0(VALU_DEP_1) | instskip(NEXT) | instid1(VALU_DEP_1)
	v_mov_b32_dpp v28, v28 row_shr:1 row_mask:0xf bank_mask:0xf
	v_cndmask_b32_e64 v28, v28, 0, s9
	s_delay_alu instid0(VALU_DEP_1)
	v_add_nc_u16 v24, v28, v24
	ds_store_b8 v0, v24
.LBB76_6:                               ;   in Loop: Header=BB76_2 Depth=1
	s_or_b32 exec_lo, exec_lo, s13
	s_waitcnt lgkmcnt(0)
	s_barrier
	buffer_gl0_inv
                                        ; implicit-def: $vgpr24
	s_and_saveexec_b32 s13, s0
	s_cbranch_execz .LBB76_1
; %bb.7:                                ;   in Loop: Header=BB76_2 Depth=1
	ds_load_u8 v24, v16
	s_waitcnt lgkmcnt(0)
	v_add_nc_u16 v20, v24, v20
	s_branch .LBB76_1
.LBB76_8:
	v_add_co_u32 v14, s0, s10, v14
	s_delay_alu instid0(VALU_DEP_1) | instskip(SKIP_1) | instid1(VALU_DEP_1)
	v_add_co_ci_u32_e64 v15, null, s11, 0, s0
	v_add_co_u32 v16, s0, s10, v13
	v_add_co_ci_u32_e64 v17, null, s11, 0, s0
	v_add_co_u32 v12, s0, s10, v12
	s_delay_alu instid0(VALU_DEP_1) | instskip(SKIP_1) | instid1(VALU_DEP_1)
	v_add_co_ci_u32_e64 v13, null, s11, 0, s0
	v_add_co_u32 v18, s0, s10, v11
	v_add_co_ci_u32_e64 v19, null, s11, 0, s0
	;; [unrolled: 5-line block ×5, first 2 shown]
	v_add_co_u32 v4, s0, s10, v5
	s_delay_alu instid0(VALU_DEP_1)
	v_add_co_ci_u32_e64 v5, null, s11, 0, s0
	s_clause 0xa
	global_store_b8 v[14:15], v20, off
	global_store_b8 v[16:17], v21, off
	;; [unrolled: 1-line block ×11, first 2 shown]
	s_nop 0
	s_sendmsg sendmsg(MSG_DEALLOC_VGPRS)
	s_endpgm
	.section	.rodata,"a",@progbits
	.p2align	6, 0x0
	.amdhsa_kernel _Z6kernelI14inclusive_scanILN6hipcub18BlockScanAlgorithmE0EEhLj64ELj11ELj100EEvPKT0_PS4_S4_
		.amdhsa_group_segment_fixed_size 2
		.amdhsa_private_segment_fixed_size 0
		.amdhsa_kernarg_size 280
		.amdhsa_user_sgpr_count 15
		.amdhsa_user_sgpr_dispatch_ptr 0
		.amdhsa_user_sgpr_queue_ptr 0
		.amdhsa_user_sgpr_kernarg_segment_ptr 1
		.amdhsa_user_sgpr_dispatch_id 0
		.amdhsa_user_sgpr_private_segment_size 0
		.amdhsa_wavefront_size32 1
		.amdhsa_uses_dynamic_stack 0
		.amdhsa_enable_private_segment 0
		.amdhsa_system_sgpr_workgroup_id_x 1
		.amdhsa_system_sgpr_workgroup_id_y 0
		.amdhsa_system_sgpr_workgroup_id_z 0
		.amdhsa_system_sgpr_workgroup_info 0
		.amdhsa_system_vgpr_workitem_id 0
		.amdhsa_next_free_vgpr 36
		.amdhsa_next_free_sgpr 16
		.amdhsa_reserve_vcc 1
		.amdhsa_float_round_mode_32 0
		.amdhsa_float_round_mode_16_64 0
		.amdhsa_float_denorm_mode_32 3
		.amdhsa_float_denorm_mode_16_64 3
		.amdhsa_dx10_clamp 1
		.amdhsa_ieee_mode 1
		.amdhsa_fp16_overflow 0
		.amdhsa_workgroup_processor_mode 1
		.amdhsa_memory_ordered 1
		.amdhsa_forward_progress 0
		.amdhsa_shared_vgpr_count 0
		.amdhsa_exception_fp_ieee_invalid_op 0
		.amdhsa_exception_fp_denorm_src 0
		.amdhsa_exception_fp_ieee_div_zero 0
		.amdhsa_exception_fp_ieee_overflow 0
		.amdhsa_exception_fp_ieee_underflow 0
		.amdhsa_exception_fp_ieee_inexact 0
		.amdhsa_exception_int_div_zero 0
	.end_amdhsa_kernel
	.section	.text._Z6kernelI14inclusive_scanILN6hipcub18BlockScanAlgorithmE0EEhLj64ELj11ELj100EEvPKT0_PS4_S4_,"axG",@progbits,_Z6kernelI14inclusive_scanILN6hipcub18BlockScanAlgorithmE0EEhLj64ELj11ELj100EEvPKT0_PS4_S4_,comdat
.Lfunc_end76:
	.size	_Z6kernelI14inclusive_scanILN6hipcub18BlockScanAlgorithmE0EEhLj64ELj11ELj100EEvPKT0_PS4_S4_, .Lfunc_end76-_Z6kernelI14inclusive_scanILN6hipcub18BlockScanAlgorithmE0EEhLj64ELj11ELj100EEvPKT0_PS4_S4_
                                        ; -- End function
	.section	.AMDGPU.csdata,"",@progbits
; Kernel info:
; codeLenInByte = 1552
; NumSgprs: 18
; NumVgprs: 36
; ScratchSize: 0
; MemoryBound: 0
; FloatMode: 240
; IeeeMode: 1
; LDSByteSize: 2 bytes/workgroup (compile time only)
; SGPRBlocks: 2
; VGPRBlocks: 4
; NumSGPRsForWavesPerEU: 18
; NumVGPRsForWavesPerEU: 36
; Occupancy: 16
; WaveLimiterHint : 0
; COMPUTE_PGM_RSRC2:SCRATCH_EN: 0
; COMPUTE_PGM_RSRC2:USER_SGPR: 15
; COMPUTE_PGM_RSRC2:TRAP_HANDLER: 0
; COMPUTE_PGM_RSRC2:TGID_X_EN: 1
; COMPUTE_PGM_RSRC2:TGID_Y_EN: 0
; COMPUTE_PGM_RSRC2:TGID_Z_EN: 0
; COMPUTE_PGM_RSRC2:TIDIG_COMP_CNT: 0
	.section	.text._Z6kernelI14inclusive_scanILN6hipcub18BlockScanAlgorithmE0EEhLj64ELj16ELj100EEvPKT0_PS4_S4_,"axG",@progbits,_Z6kernelI14inclusive_scanILN6hipcub18BlockScanAlgorithmE0EEhLj64ELj16ELj100EEvPKT0_PS4_S4_,comdat
	.protected	_Z6kernelI14inclusive_scanILN6hipcub18BlockScanAlgorithmE0EEhLj64ELj16ELj100EEvPKT0_PS4_S4_ ; -- Begin function _Z6kernelI14inclusive_scanILN6hipcub18BlockScanAlgorithmE0EEhLj64ELj16ELj100EEvPKT0_PS4_S4_
	.globl	_Z6kernelI14inclusive_scanILN6hipcub18BlockScanAlgorithmE0EEhLj64ELj16ELj100EEvPKT0_PS4_S4_
	.p2align	8
	.type	_Z6kernelI14inclusive_scanILN6hipcub18BlockScanAlgorithmE0EEhLj64ELj16ELj100EEvPKT0_PS4_S4_,@function
_Z6kernelI14inclusive_scanILN6hipcub18BlockScanAlgorithmE0EEhLj64ELj16ELj100EEvPKT0_PS4_S4_: ; @_Z6kernelI14inclusive_scanILN6hipcub18BlockScanAlgorithmE0EEhLj64ELj16ELj100EEvPKT0_PS4_S4_
; %bb.0:
	s_clause 0x1
	s_load_b32 s2, s[0:1], 0x24
	s_load_b128 s[8:11], s[0:1], 0x0
	v_mbcnt_lo_u32_b32 v8, -1, 0
	v_or_b32_e32 v10, 31, v0
	v_cmp_gt_u32_e64 s5, 2, v0
	v_cmp_lt_u32_e64 s6, 31, v0
	v_cmp_eq_u32_e64 s7, 0, v0
	v_add_nc_u32_e32 v9, -1, v8
	v_and_b32_e32 v6, 15, v8
	v_and_b32_e32 v7, 16, v8
	s_movk_i32 s12, 0x64
	s_delay_alu instid0(VALU_DEP_3) | instskip(NEXT) | instid1(VALU_DEP_3)
	v_cmp_gt_i32_e64 s4, 0, v9
	v_cmp_eq_u32_e32 vcc_lo, 0, v6
	v_cmp_lt_u32_e64 s1, 3, v6
	v_cmp_eq_u32_e64 s3, 0, v7
	s_delay_alu instid0(VALU_DEP_4)
	v_cndmask_b32_e64 v7, v9, v8, s4
	v_and_b32_e32 v9, 1, v8
	v_cmp_eq_u32_e64 s4, v10, v0
	s_waitcnt lgkmcnt(0)
	s_and_b32 s0, s2, 0xffff
	v_cmp_lt_u32_e64 s2, 7, v6
	s_mul_i32 s15, s15, s0
	v_cmp_lt_u32_e64 s0, 1, v6
	v_add_lshl_u32 v5, s15, v0, 4
	v_lshrrev_b32_e32 v6, 5, v0
	v_lshlrev_b32_e32 v7, 2, v7
	global_load_b128 v[1:4], v5, s[8:9]
	v_cmp_eq_u32_e64 s8, 0, v8
	v_cmp_eq_u32_e64 s9, 0, v9
	v_add_nc_u32_e32 v8, -1, v6
	s_branch .LBB77_2
.LBB77_1:                               ;   in Loop: Header=BB77_2 Depth=1
	s_or_b32 exec_lo, exec_lo, s13
	s_delay_alu instid0(VALU_DEP_1) | instskip(SKIP_1) | instid1(SALU_CYCLE_1)
	v_and_b32_e32 v21, 0xff, v21
	s_add_i32 s12, s12, -1
	s_cmp_lg_u32 s12, 0
	ds_bpermute_b32 v21, v7, v21
	s_waitcnt lgkmcnt(0)
	v_cndmask_b32_e64 v21, v21, v22, s8
	s_delay_alu instid0(VALU_DEP_1) | instskip(NEXT) | instid1(VALU_DEP_1)
	v_cndmask_b32_e64 v21, v21, 0, s7
	v_add_nc_u16 v1, v21, v1
	s_delay_alu instid0(VALU_DEP_1) | instskip(SKIP_1) | instid1(VALU_DEP_2)
	v_add_nc_u16 v12, v1, v12
	v_and_b32_e32 v1, 0xff, v1
	v_add_nc_u16 v13, v12, v13
	v_lshlrev_b16 v12, 8, v12
	s_delay_alu instid0(VALU_DEP_2) | instskip(SKIP_1) | instid1(VALU_DEP_3)
	v_add_nc_u16 v14, v13, v14
	v_and_b32_e32 v13, 0xff, v13
	v_or_b32_e32 v1, v1, v12
	s_delay_alu instid0(VALU_DEP_3) | instskip(SKIP_1) | instid1(VALU_DEP_2)
	v_add_nc_u16 v2, v14, v2
	v_lshlrev_b16 v14, 8, v14
	v_add_nc_u16 v15, v2, v15
	v_and_b32_e32 v2, 0xff, v2
	s_delay_alu instid0(VALU_DEP_3) | instskip(NEXT) | instid1(VALU_DEP_3)
	v_or_b32_e32 v12, v13, v14
	v_add_nc_u16 v16, v15, v16
	v_lshlrev_b16 v15, 8, v15
	s_delay_alu instid0(VALU_DEP_3) | instskip(NEXT) | instid1(VALU_DEP_3)
	v_lshlrev_b32_e32 v12, 16, v12
	v_add_nc_u16 v18, v16, v18
	s_delay_alu instid0(VALU_DEP_3) | instskip(NEXT) | instid1(VALU_DEP_2)
	v_or_b32_e32 v2, v2, v15
	v_add_nc_u16 v3, v18, v3
	s_delay_alu instid0(VALU_DEP_2) | instskip(NEXT) | instid1(VALU_DEP_2)
	v_and_b32_e32 v13, 0xffff, v2
	v_add_nc_u16 v19, v3, v19
	v_and_b32_e32 v3, 0xff, v3
	s_delay_alu instid0(VALU_DEP_2) | instskip(SKIP_1) | instid1(VALU_DEP_2)
	v_add_nc_u16 v20, v19, v20
	v_lshlrev_b16 v15, 8, v19
	v_add_nc_u16 v17, v20, v17
	s_delay_alu instid0(VALU_DEP_2) | instskip(NEXT) | instid1(VALU_DEP_2)
	v_or_b32_e32 v3, v3, v15
	v_add_nc_u16 v4, v17, v4
	v_lshlrev_b16 v17, 8, v17
	s_delay_alu instid0(VALU_DEP_2)
	v_add_nc_u16 v14, v4, v11
	v_and_b32_e32 v11, 0xffff, v1
	v_and_b32_e32 v1, 0xff, v16
	;; [unrolled: 1-line block ×4, first 2 shown]
	v_add_nc_u16 v2, v14, v10
	v_lshlrev_b16 v10, 8, v18
	v_lshlrev_b16 v14, 8, v14
	v_or_b32_e32 v15, v16, v17
	s_delay_alu instid0(VALU_DEP_4)
	v_add_nc_u16 v9, v2, v9
	v_and_b32_e32 v2, 0xff, v2
	v_or_b32_e32 v1, v1, v10
	v_or_b32_e32 v4, v4, v14
	v_and_b32_e32 v10, 0xffff, v3
	v_lshlrev_b16 v9, 8, v9
	v_lshlrev_b32_e32 v14, 16, v15
	s_delay_alu instid0(VALU_DEP_4) | instskip(NEXT) | instid1(VALU_DEP_3)
	v_and_b32_e32 v15, 0xffff, v4
	v_or_b32_e32 v2, v2, v9
	v_lshlrev_b32_e32 v9, 16, v1
	v_or_b32_e32 v1, v11, v12
	v_or_b32_e32 v3, v10, v14
	s_delay_alu instid0(VALU_DEP_4) | instskip(NEXT) | instid1(VALU_DEP_4)
	v_lshlrev_b32_e32 v16, 16, v2
	v_or_b32_e32 v2, v13, v9
	s_delay_alu instid0(VALU_DEP_2)
	v_or_b32_e32 v4, v15, v16
	s_cbranch_scc0 .LBB77_8
.LBB77_2:                               ; =>This Inner Loop Header: Depth=1
	s_waitcnt vmcnt(0)
	v_lshrrev_b32_e32 v12, 8, v1
	v_lshrrev_b32_e32 v13, 16, v1
	v_lshrrev_b32_e32 v14, 24, v1
	v_lshrrev_b32_e32 v15, 8, v2
	v_lshrrev_b32_e32 v16, 16, v2
	v_add_nc_u16 v9, v12, v1
	v_lshrrev_b32_e32 v18, 24, v2
	v_lshrrev_b32_e32 v19, 8, v3
	;; [unrolled: 1-line block ×4, first 2 shown]
	v_add_nc_u16 v9, v9, v13
	v_lshrrev_b32_e32 v11, 8, v4
	v_lshrrev_b32_e32 v10, 16, v4
	s_delay_alu instid0(VALU_DEP_3) | instskip(NEXT) | instid1(VALU_DEP_1)
	v_add_nc_u16 v9, v9, v14
	v_add_nc_u16 v9, v9, v2
	s_delay_alu instid0(VALU_DEP_1) | instskip(NEXT) | instid1(VALU_DEP_1)
	v_add_nc_u16 v9, v9, v15
	v_add_nc_u16 v9, v9, v16
	s_delay_alu instid0(VALU_DEP_1) | instskip(NEXT) | instid1(VALU_DEP_1)
	;; [unrolled: 3-line block ×5, first 2 shown]
	v_add_nc_u16 v9, v9, v11
	v_add_nc_u16 v21, v9, v10
	v_lshrrev_b32_e32 v9, 24, v4
	s_delay_alu instid0(VALU_DEP_1) | instskip(NEXT) | instid1(VALU_DEP_1)
	v_add_nc_u16 v21, v21, v9
	v_and_b32_e32 v22, 0xff, v21
	s_delay_alu instid0(VALU_DEP_1) | instskip(NEXT) | instid1(VALU_DEP_1)
	v_mov_b32_dpp v22, v22 row_shr:1 row_mask:0xf bank_mask:0xf
	v_cndmask_b32_e64 v22, v22, 0, vcc_lo
	s_delay_alu instid0(VALU_DEP_1) | instskip(NEXT) | instid1(VALU_DEP_1)
	v_add_nc_u16 v21, v21, v22
	v_and_b32_e32 v22, 0xff, v21
	s_delay_alu instid0(VALU_DEP_1) | instskip(NEXT) | instid1(VALU_DEP_1)
	v_mov_b32_dpp v22, v22 row_shr:2 row_mask:0xf bank_mask:0xf
	v_cndmask_b32_e64 v22, 0, v22, s0
	s_delay_alu instid0(VALU_DEP_1) | instskip(NEXT) | instid1(VALU_DEP_1)
	v_add_nc_u16 v21, v21, v22
	v_and_b32_e32 v22, 0xff, v21
	s_delay_alu instid0(VALU_DEP_1) | instskip(NEXT) | instid1(VALU_DEP_1)
	v_mov_b32_dpp v22, v22 row_shr:4 row_mask:0xf bank_mask:0xf
	v_cndmask_b32_e64 v22, 0, v22, s1
	;; [unrolled: 6-line block ×3, first 2 shown]
	s_delay_alu instid0(VALU_DEP_1) | instskip(NEXT) | instid1(VALU_DEP_1)
	v_add_nc_u16 v21, v21, v22
	v_and_b32_e32 v22, 0xff, v21
	ds_swizzle_b32 v22, v22 offset:swizzle(BROADCAST,32,15)
	s_waitcnt lgkmcnt(0)
	v_cndmask_b32_e64 v22, v22, 0, s3
	s_delay_alu instid0(VALU_DEP_1)
	v_add_nc_u16 v21, v21, v22
	s_and_saveexec_b32 s13, s4
	s_cbranch_execz .LBB77_4
; %bb.3:                                ;   in Loop: Header=BB77_2 Depth=1
	ds_store_b8 v6, v21
.LBB77_4:                               ;   in Loop: Header=BB77_2 Depth=1
	s_or_b32 exec_lo, exec_lo, s13
	s_waitcnt lgkmcnt(0)
	s_barrier
	buffer_gl0_inv
	s_and_saveexec_b32 s13, s5
	s_cbranch_execz .LBB77_6
; %bb.5:                                ;   in Loop: Header=BB77_2 Depth=1
	ds_load_u8 v22, v0
	s_waitcnt lgkmcnt(0)
	v_and_b32_e32 v23, 0xff, v22
	s_delay_alu instid0(VALU_DEP_1) | instskip(NEXT) | instid1(VALU_DEP_1)
	v_mov_b32_dpp v23, v23 row_shr:1 row_mask:0xf bank_mask:0xf
	v_cndmask_b32_e64 v23, v23, 0, s9
	s_delay_alu instid0(VALU_DEP_1)
	v_add_nc_u16 v22, v23, v22
	ds_store_b8 v0, v22
.LBB77_6:                               ;   in Loop: Header=BB77_2 Depth=1
	s_or_b32 exec_lo, exec_lo, s13
	s_waitcnt lgkmcnt(0)
	s_barrier
	buffer_gl0_inv
                                        ; implicit-def: $vgpr22
	s_and_saveexec_b32 s13, s6
	s_cbranch_execz .LBB77_1
; %bb.7:                                ;   in Loop: Header=BB77_2 Depth=1
	ds_load_u8 v22, v8
	s_waitcnt lgkmcnt(0)
	v_add_nc_u16 v21, v22, v21
	s_branch .LBB77_1
.LBB77_8:
	v_add_co_u32 v4, s0, s10, v5
	s_delay_alu instid0(VALU_DEP_1)
	v_add_co_ci_u32_e64 v5, null, s11, 0, s0
	v_or_b32_e32 v3, v15, v16
	v_or_b32_e32 v2, v10, v14
	;; [unrolled: 1-line block ×4, first 2 shown]
	global_store_b128 v[4:5], v[0:3], off
	s_nop 0
	s_sendmsg sendmsg(MSG_DEALLOC_VGPRS)
	s_endpgm
	.section	.rodata,"a",@progbits
	.p2align	6, 0x0
	.amdhsa_kernel _Z6kernelI14inclusive_scanILN6hipcub18BlockScanAlgorithmE0EEhLj64ELj16ELj100EEvPKT0_PS4_S4_
		.amdhsa_group_segment_fixed_size 2
		.amdhsa_private_segment_fixed_size 0
		.amdhsa_kernarg_size 280
		.amdhsa_user_sgpr_count 15
		.amdhsa_user_sgpr_dispatch_ptr 0
		.amdhsa_user_sgpr_queue_ptr 0
		.amdhsa_user_sgpr_kernarg_segment_ptr 1
		.amdhsa_user_sgpr_dispatch_id 0
		.amdhsa_user_sgpr_private_segment_size 0
		.amdhsa_wavefront_size32 1
		.amdhsa_uses_dynamic_stack 0
		.amdhsa_enable_private_segment 0
		.amdhsa_system_sgpr_workgroup_id_x 1
		.amdhsa_system_sgpr_workgroup_id_y 0
		.amdhsa_system_sgpr_workgroup_id_z 0
		.amdhsa_system_sgpr_workgroup_info 0
		.amdhsa_system_vgpr_workitem_id 0
		.amdhsa_next_free_vgpr 24
		.amdhsa_next_free_sgpr 16
		.amdhsa_reserve_vcc 1
		.amdhsa_float_round_mode_32 0
		.amdhsa_float_round_mode_16_64 0
		.amdhsa_float_denorm_mode_32 3
		.amdhsa_float_denorm_mode_16_64 3
		.amdhsa_dx10_clamp 1
		.amdhsa_ieee_mode 1
		.amdhsa_fp16_overflow 0
		.amdhsa_workgroup_processor_mode 1
		.amdhsa_memory_ordered 1
		.amdhsa_forward_progress 0
		.amdhsa_shared_vgpr_count 0
		.amdhsa_exception_fp_ieee_invalid_op 0
		.amdhsa_exception_fp_denorm_src 0
		.amdhsa_exception_fp_ieee_div_zero 0
		.amdhsa_exception_fp_ieee_overflow 0
		.amdhsa_exception_fp_ieee_underflow 0
		.amdhsa_exception_fp_ieee_inexact 0
		.amdhsa_exception_int_div_zero 0
	.end_amdhsa_kernel
	.section	.text._Z6kernelI14inclusive_scanILN6hipcub18BlockScanAlgorithmE0EEhLj64ELj16ELj100EEvPKT0_PS4_S4_,"axG",@progbits,_Z6kernelI14inclusive_scanILN6hipcub18BlockScanAlgorithmE0EEhLj64ELj16ELj100EEvPKT0_PS4_S4_,comdat
.Lfunc_end77:
	.size	_Z6kernelI14inclusive_scanILN6hipcub18BlockScanAlgorithmE0EEhLj64ELj16ELj100EEvPKT0_PS4_S4_, .Lfunc_end77-_Z6kernelI14inclusive_scanILN6hipcub18BlockScanAlgorithmE0EEhLj64ELj16ELj100EEvPKT0_PS4_S4_
                                        ; -- End function
	.section	.AMDGPU.csdata,"",@progbits
; Kernel info:
; codeLenInByte = 1288
; NumSgprs: 18
; NumVgprs: 24
; ScratchSize: 0
; MemoryBound: 0
; FloatMode: 240
; IeeeMode: 1
; LDSByteSize: 2 bytes/workgroup (compile time only)
; SGPRBlocks: 2
; VGPRBlocks: 2
; NumSGPRsForWavesPerEU: 18
; NumVGPRsForWavesPerEU: 24
; Occupancy: 16
; WaveLimiterHint : 0
; COMPUTE_PGM_RSRC2:SCRATCH_EN: 0
; COMPUTE_PGM_RSRC2:USER_SGPR: 15
; COMPUTE_PGM_RSRC2:TRAP_HANDLER: 0
; COMPUTE_PGM_RSRC2:TGID_X_EN: 1
; COMPUTE_PGM_RSRC2:TGID_Y_EN: 0
; COMPUTE_PGM_RSRC2:TGID_Z_EN: 0
; COMPUTE_PGM_RSRC2:TIDIG_COMP_CNT: 0
	.section	.text._Z6kernelI14inclusive_scanILN6hipcub18BlockScanAlgorithmE0EEiLj256ELj1ELj100EEvPKT0_PS4_S4_,"axG",@progbits,_Z6kernelI14inclusive_scanILN6hipcub18BlockScanAlgorithmE0EEiLj256ELj1ELj100EEvPKT0_PS4_S4_,comdat
	.protected	_Z6kernelI14inclusive_scanILN6hipcub18BlockScanAlgorithmE0EEiLj256ELj1ELj100EEvPKT0_PS4_S4_ ; -- Begin function _Z6kernelI14inclusive_scanILN6hipcub18BlockScanAlgorithmE0EEiLj256ELj1ELj100EEvPKT0_PS4_S4_
	.globl	_Z6kernelI14inclusive_scanILN6hipcub18BlockScanAlgorithmE0EEiLj256ELj1ELj100EEvPKT0_PS4_S4_
	.p2align	8
	.type	_Z6kernelI14inclusive_scanILN6hipcub18BlockScanAlgorithmE0EEiLj256ELj1ELj100EEvPKT0_PS4_S4_,@function
_Z6kernelI14inclusive_scanILN6hipcub18BlockScanAlgorithmE0EEiLj256ELj1ELj100EEvPKT0_PS4_S4_: ; @_Z6kernelI14inclusive_scanILN6hipcub18BlockScanAlgorithmE0EEiLj256ELj1ELj100EEvPKT0_PS4_S4_
; %bb.0:
	s_clause 0x1
	s_load_b32 s2, s[0:1], 0x24
	s_load_b128 s[8:11], s[0:1], 0x0
	v_or_b32_e32 v7, 31, v0
	v_cmp_gt_u32_e64 s5, 8, v0
	v_cmp_lt_u32_e64 s6, 31, v0
	s_movk_i32 s12, 0x64
	s_delay_alu instid0(VALU_DEP_3) | instskip(SKIP_2) | instid1(SALU_CYCLE_1)
	v_cmp_eq_u32_e64 s4, v7, v0
	s_waitcnt lgkmcnt(0)
	s_and_b32 s0, s2, 0xffff
	v_mad_u64_u32 v[1:2], null, s15, s0, v[0:1]
	v_mov_b32_e32 v2, 0
	s_delay_alu instid0(VALU_DEP_1) | instskip(NEXT) | instid1(VALU_DEP_1)
	v_lshlrev_b64 v[1:2], 2, v[1:2]
	v_add_co_u32 v3, vcc_lo, s8, v1
	s_delay_alu instid0(VALU_DEP_2) | instskip(SKIP_2) | instid1(VALU_DEP_1)
	v_add_co_ci_u32_e32 v4, vcc_lo, s9, v2, vcc_lo
	global_load_b32 v3, v[3:4], off
	v_mbcnt_lo_u32_b32 v4, -1, 0
	v_and_b32_e32 v5, 15, v4
	v_and_b32_e32 v6, 16, v4
	s_delay_alu instid0(VALU_DEP_2)
	v_cmp_eq_u32_e32 vcc_lo, 0, v5
	v_cmp_lt_u32_e64 s0, 1, v5
	v_cmp_lt_u32_e64 s1, 3, v5
	;; [unrolled: 1-line block ×3, first 2 shown]
	v_lshrrev_b32_e32 v5, 3, v0
	v_cmp_eq_u32_e64 s3, 0, v6
	v_and_b32_e32 v6, 7, v4
	v_lshlrev_b32_e32 v0, 2, v0
	s_delay_alu instid0(VALU_DEP_4) | instskip(NEXT) | instid1(VALU_DEP_3)
	v_and_b32_e32 v4, 28, v5
	v_cmp_eq_u32_e64 s7, 0, v6
	v_cmp_lt_u32_e64 s8, 1, v6
	v_cmp_lt_u32_e64 s9, 3, v6
	s_delay_alu instid0(VALU_DEP_4)
	v_add_nc_u32_e32 v5, -4, v4
	s_branch .LBB78_2
.LBB78_1:                               ;   in Loop: Header=BB78_2 Depth=1
	s_or_b32 exec_lo, exec_lo, s13
	s_add_i32 s12, s12, -1
	s_delay_alu instid0(SALU_CYCLE_1)
	s_cmp_lg_u32 s12, 0
	s_cbranch_scc0 .LBB78_8
.LBB78_2:                               ; =>This Inner Loop Header: Depth=1
	s_waitcnt vmcnt(0)
	v_mov_b32_dpp v6, v3 row_shr:1 row_mask:0xf bank_mask:0xf
	s_delay_alu instid0(VALU_DEP_1) | instskip(NEXT) | instid1(VALU_DEP_1)
	v_cndmask_b32_e64 v6, v6, 0, vcc_lo
	v_add_nc_u32_e32 v3, v6, v3
	s_delay_alu instid0(VALU_DEP_1) | instskip(NEXT) | instid1(VALU_DEP_1)
	v_mov_b32_dpp v6, v3 row_shr:2 row_mask:0xf bank_mask:0xf
	v_cndmask_b32_e64 v6, 0, v6, s0
	s_delay_alu instid0(VALU_DEP_1) | instskip(NEXT) | instid1(VALU_DEP_1)
	v_add_nc_u32_e32 v3, v3, v6
	v_mov_b32_dpp v6, v3 row_shr:4 row_mask:0xf bank_mask:0xf
	s_delay_alu instid0(VALU_DEP_1) | instskip(NEXT) | instid1(VALU_DEP_1)
	v_cndmask_b32_e64 v6, 0, v6, s1
	v_add_nc_u32_e32 v3, v3, v6
	s_delay_alu instid0(VALU_DEP_1) | instskip(NEXT) | instid1(VALU_DEP_1)
	v_mov_b32_dpp v6, v3 row_shr:8 row_mask:0xf bank_mask:0xf
	v_cndmask_b32_e64 v6, 0, v6, s2
	s_delay_alu instid0(VALU_DEP_1) | instskip(SKIP_3) | instid1(VALU_DEP_1)
	v_add_nc_u32_e32 v3, v3, v6
	ds_swizzle_b32 v6, v3 offset:swizzle(BROADCAST,32,15)
	s_waitcnt lgkmcnt(0)
	v_cndmask_b32_e64 v6, v6, 0, s3
	v_add_nc_u32_e32 v3, v3, v6
	s_and_saveexec_b32 s13, s4
	s_cbranch_execz .LBB78_4
; %bb.3:                                ;   in Loop: Header=BB78_2 Depth=1
	ds_store_b32 v4, v3
.LBB78_4:                               ;   in Loop: Header=BB78_2 Depth=1
	s_or_b32 exec_lo, exec_lo, s13
	s_waitcnt lgkmcnt(0)
	s_barrier
	buffer_gl0_inv
	s_and_saveexec_b32 s13, s5
	s_cbranch_execz .LBB78_6
; %bb.5:                                ;   in Loop: Header=BB78_2 Depth=1
	ds_load_b32 v6, v0
	s_waitcnt lgkmcnt(0)
	v_mov_b32_dpp v7, v6 row_shr:1 row_mask:0xf bank_mask:0xf
	s_delay_alu instid0(VALU_DEP_1) | instskip(NEXT) | instid1(VALU_DEP_1)
	v_cndmask_b32_e64 v7, v7, 0, s7
	v_add_nc_u32_e32 v6, v7, v6
	s_delay_alu instid0(VALU_DEP_1) | instskip(NEXT) | instid1(VALU_DEP_1)
	v_mov_b32_dpp v7, v6 row_shr:2 row_mask:0xf bank_mask:0xf
	v_cndmask_b32_e64 v7, 0, v7, s8
	s_delay_alu instid0(VALU_DEP_1) | instskip(NEXT) | instid1(VALU_DEP_1)
	v_add_nc_u32_e32 v6, v6, v7
	v_mov_b32_dpp v7, v6 row_shr:4 row_mask:0xf bank_mask:0xf
	s_delay_alu instid0(VALU_DEP_1) | instskip(NEXT) | instid1(VALU_DEP_1)
	v_cndmask_b32_e64 v7, 0, v7, s9
	v_add_nc_u32_e32 v6, v6, v7
	ds_store_b32 v0, v6
.LBB78_6:                               ;   in Loop: Header=BB78_2 Depth=1
	s_or_b32 exec_lo, exec_lo, s13
	s_waitcnt lgkmcnt(0)
	s_barrier
	buffer_gl0_inv
	s_and_saveexec_b32 s13, s6
	s_cbranch_execz .LBB78_1
; %bb.7:                                ;   in Loop: Header=BB78_2 Depth=1
	ds_load_b32 v6, v5
	s_waitcnt lgkmcnt(0)
	v_add_nc_u32_e32 v3, v6, v3
	s_branch .LBB78_1
.LBB78_8:
	v_add_co_u32 v0, vcc_lo, s10, v1
	v_add_co_ci_u32_e32 v1, vcc_lo, s11, v2, vcc_lo
	global_store_b32 v[0:1], v3, off
	s_nop 0
	s_sendmsg sendmsg(MSG_DEALLOC_VGPRS)
	s_endpgm
	.section	.rodata,"a",@progbits
	.p2align	6, 0x0
	.amdhsa_kernel _Z6kernelI14inclusive_scanILN6hipcub18BlockScanAlgorithmE0EEiLj256ELj1ELj100EEvPKT0_PS4_S4_
		.amdhsa_group_segment_fixed_size 32
		.amdhsa_private_segment_fixed_size 0
		.amdhsa_kernarg_size 280
		.amdhsa_user_sgpr_count 15
		.amdhsa_user_sgpr_dispatch_ptr 0
		.amdhsa_user_sgpr_queue_ptr 0
		.amdhsa_user_sgpr_kernarg_segment_ptr 1
		.amdhsa_user_sgpr_dispatch_id 0
		.amdhsa_user_sgpr_private_segment_size 0
		.amdhsa_wavefront_size32 1
		.amdhsa_uses_dynamic_stack 0
		.amdhsa_enable_private_segment 0
		.amdhsa_system_sgpr_workgroup_id_x 1
		.amdhsa_system_sgpr_workgroup_id_y 0
		.amdhsa_system_sgpr_workgroup_id_z 0
		.amdhsa_system_sgpr_workgroup_info 0
		.amdhsa_system_vgpr_workitem_id 0
		.amdhsa_next_free_vgpr 8
		.amdhsa_next_free_sgpr 16
		.amdhsa_reserve_vcc 1
		.amdhsa_float_round_mode_32 0
		.amdhsa_float_round_mode_16_64 0
		.amdhsa_float_denorm_mode_32 3
		.amdhsa_float_denorm_mode_16_64 3
		.amdhsa_dx10_clamp 1
		.amdhsa_ieee_mode 1
		.amdhsa_fp16_overflow 0
		.amdhsa_workgroup_processor_mode 1
		.amdhsa_memory_ordered 1
		.amdhsa_forward_progress 0
		.amdhsa_shared_vgpr_count 0
		.amdhsa_exception_fp_ieee_invalid_op 0
		.amdhsa_exception_fp_denorm_src 0
		.amdhsa_exception_fp_ieee_div_zero 0
		.amdhsa_exception_fp_ieee_overflow 0
		.amdhsa_exception_fp_ieee_underflow 0
		.amdhsa_exception_fp_ieee_inexact 0
		.amdhsa_exception_int_div_zero 0
	.end_amdhsa_kernel
	.section	.text._Z6kernelI14inclusive_scanILN6hipcub18BlockScanAlgorithmE0EEiLj256ELj1ELj100EEvPKT0_PS4_S4_,"axG",@progbits,_Z6kernelI14inclusive_scanILN6hipcub18BlockScanAlgorithmE0EEiLj256ELj1ELj100EEvPKT0_PS4_S4_,comdat
.Lfunc_end78:
	.size	_Z6kernelI14inclusive_scanILN6hipcub18BlockScanAlgorithmE0EEiLj256ELj1ELj100EEvPKT0_PS4_S4_, .Lfunc_end78-_Z6kernelI14inclusive_scanILN6hipcub18BlockScanAlgorithmE0EEiLj256ELj1ELj100EEvPKT0_PS4_S4_
                                        ; -- End function
	.section	.AMDGPU.csdata,"",@progbits
; Kernel info:
; codeLenInByte = 600
; NumSgprs: 18
; NumVgprs: 8
; ScratchSize: 0
; MemoryBound: 0
; FloatMode: 240
; IeeeMode: 1
; LDSByteSize: 32 bytes/workgroup (compile time only)
; SGPRBlocks: 2
; VGPRBlocks: 0
; NumSGPRsForWavesPerEU: 18
; NumVGPRsForWavesPerEU: 8
; Occupancy: 16
; WaveLimiterHint : 0
; COMPUTE_PGM_RSRC2:SCRATCH_EN: 0
; COMPUTE_PGM_RSRC2:USER_SGPR: 15
; COMPUTE_PGM_RSRC2:TRAP_HANDLER: 0
; COMPUTE_PGM_RSRC2:TGID_X_EN: 1
; COMPUTE_PGM_RSRC2:TGID_Y_EN: 0
; COMPUTE_PGM_RSRC2:TGID_Z_EN: 0
; COMPUTE_PGM_RSRC2:TIDIG_COMP_CNT: 0
	.section	.text._Z6kernelI14inclusive_scanILN6hipcub18BlockScanAlgorithmE0EEiLj256ELj3ELj100EEvPKT0_PS4_S4_,"axG",@progbits,_Z6kernelI14inclusive_scanILN6hipcub18BlockScanAlgorithmE0EEiLj256ELj3ELj100EEvPKT0_PS4_S4_,comdat
	.protected	_Z6kernelI14inclusive_scanILN6hipcub18BlockScanAlgorithmE0EEiLj256ELj3ELj100EEvPKT0_PS4_S4_ ; -- Begin function _Z6kernelI14inclusive_scanILN6hipcub18BlockScanAlgorithmE0EEiLj256ELj3ELj100EEvPKT0_PS4_S4_
	.globl	_Z6kernelI14inclusive_scanILN6hipcub18BlockScanAlgorithmE0EEiLj256ELj3ELj100EEvPKT0_PS4_S4_
	.p2align	8
	.type	_Z6kernelI14inclusive_scanILN6hipcub18BlockScanAlgorithmE0EEiLj256ELj3ELj100EEvPKT0_PS4_S4_,@function
_Z6kernelI14inclusive_scanILN6hipcub18BlockScanAlgorithmE0EEiLj256ELj3ELj100EEvPKT0_PS4_S4_: ; @_Z6kernelI14inclusive_scanILN6hipcub18BlockScanAlgorithmE0EEiLj256ELj3ELj100EEvPKT0_PS4_S4_
; %bb.0:
	s_load_b32 s2, s[0:1], 0x24
	v_or_b32_e32 v14, 31, v0
	v_cmp_gt_u32_e64 s5, 8, v0
	v_cmp_lt_u32_e64 s6, 31, v0
	v_cmp_eq_u32_e64 s7, 0, v0
	s_waitcnt lgkmcnt(0)
	s_and_b32 s2, s2, 0xffff
	s_delay_alu instid0(SALU_CYCLE_1) | instskip(SKIP_1) | instid1(VALU_DEP_1)
	v_mad_u64_u32 v[1:2], null, s15, s2, v[0:1]
	s_load_b128 s[12:15], s[0:1], 0x0
	v_lshl_add_u32 v3, v1, 1, v1
	s_delay_alu instid0(VALU_DEP_1) | instskip(NEXT) | instid1(VALU_DEP_1)
	v_dual_mov_b32 v4, 0 :: v_dual_add_nc_u32 v5, 1, v3
	v_mov_b32_e32 v6, v4
	v_lshlrev_b64 v[1:2], 2, v[3:4]
	v_add_nc_u32_e32 v3, 2, v3
	s_delay_alu instid0(VALU_DEP_3) | instskip(NEXT) | instid1(VALU_DEP_2)
	v_lshlrev_b64 v[5:6], 2, v[5:6]
	v_lshlrev_b64 v[3:4], 2, v[3:4]
	s_waitcnt lgkmcnt(0)
	s_delay_alu instid0(VALU_DEP_4) | instskip(SKIP_1) | instid1(VALU_DEP_4)
	v_add_co_u32 v7, vcc_lo, s12, v1
	v_add_co_ci_u32_e32 v8, vcc_lo, s13, v2, vcc_lo
	v_add_co_u32 v9, vcc_lo, s12, v5
	v_add_co_ci_u32_e32 v10, vcc_lo, s13, v6, vcc_lo
	;; [unrolled: 2-line block ×3, first 2 shown]
	s_clause 0x2
	global_load_b32 v7, v[7:8], off
	global_load_b32 v8, v[9:10], off
	;; [unrolled: 1-line block ×3, first 2 shown]
	v_mbcnt_lo_u32_b32 v11, -1, 0
	s_movk_i32 s12, 0x64
	s_delay_alu instid0(VALU_DEP_1) | instskip(SKIP_3) | instid1(VALU_DEP_4)
	v_and_b32_e32 v12, 16, v11
	v_add_nc_u32_e32 v13, -1, v11
	v_and_b32_e32 v10, 15, v11
	v_cmp_eq_u32_e64 s8, 0, v11
	v_cmp_eq_u32_e64 s3, 0, v12
	s_delay_alu instid0(VALU_DEP_4)
	v_cmp_gt_i32_e64 s4, 0, v13
	v_lshrrev_b32_e32 v12, 3, v0
	v_cmp_eq_u32_e32 vcc_lo, 0, v10
	v_cmp_lt_u32_e64 s0, 1, v10
	v_cmp_lt_u32_e64 s1, 3, v10
	;; [unrolled: 1-line block ×3, first 2 shown]
	v_cndmask_b32_e64 v10, v13, v11, s4
	v_and_b32_e32 v13, 7, v11
	v_and_b32_e32 v11, 28, v12
	v_cmp_eq_u32_e64 s4, v14, v0
	v_lshlrev_b32_e32 v0, 2, v0
	v_lshlrev_b32_e32 v10, 2, v10
	v_cmp_eq_u32_e64 s9, 0, v13
	v_cmp_lt_u32_e64 s10, 1, v13
	v_cmp_lt_u32_e64 s11, 3, v13
	v_add_nc_u32_e32 v12, -4, v11
	s_branch .LBB79_2
.LBB79_1:                               ;   in Loop: Header=BB79_2 Depth=1
	s_or_b32 exec_lo, exec_lo, s13
	ds_bpermute_b32 v13, v10, v13
	s_add_i32 s12, s12, -1
	s_delay_alu instid0(SALU_CYCLE_1) | instskip(SKIP_2) | instid1(VALU_DEP_1)
	s_cmp_lg_u32 s12, 0
	s_waitcnt lgkmcnt(0)
	v_cndmask_b32_e64 v13, v13, v14, s8
	v_cndmask_b32_e64 v13, v13, 0, s7
	s_delay_alu instid0(VALU_DEP_1) | instskip(NEXT) | instid1(VALU_DEP_1)
	v_add_nc_u32_e32 v7, v13, v7
	v_add_nc_u32_e32 v8, v7, v8
	s_delay_alu instid0(VALU_DEP_1)
	v_add_nc_u32_e32 v9, v8, v9
	s_cbranch_scc0 .LBB79_8
.LBB79_2:                               ; =>This Inner Loop Header: Depth=1
	s_waitcnt vmcnt(0)
	s_delay_alu instid0(VALU_DEP_1) | instskip(NEXT) | instid1(VALU_DEP_1)
	v_add3_u32 v13, v8, v7, v9
	v_mov_b32_dpp v14, v13 row_shr:1 row_mask:0xf bank_mask:0xf
	s_delay_alu instid0(VALU_DEP_1) | instskip(NEXT) | instid1(VALU_DEP_1)
	v_cndmask_b32_e64 v14, v14, 0, vcc_lo
	v_add_nc_u32_e32 v13, v13, v14
	s_delay_alu instid0(VALU_DEP_1) | instskip(NEXT) | instid1(VALU_DEP_1)
	v_mov_b32_dpp v14, v13 row_shr:2 row_mask:0xf bank_mask:0xf
	v_cndmask_b32_e64 v14, 0, v14, s0
	s_delay_alu instid0(VALU_DEP_1) | instskip(NEXT) | instid1(VALU_DEP_1)
	v_add_nc_u32_e32 v13, v13, v14
	v_mov_b32_dpp v14, v13 row_shr:4 row_mask:0xf bank_mask:0xf
	s_delay_alu instid0(VALU_DEP_1) | instskip(NEXT) | instid1(VALU_DEP_1)
	v_cndmask_b32_e64 v14, 0, v14, s1
	v_add_nc_u32_e32 v13, v13, v14
	s_delay_alu instid0(VALU_DEP_1) | instskip(NEXT) | instid1(VALU_DEP_1)
	v_mov_b32_dpp v14, v13 row_shr:8 row_mask:0xf bank_mask:0xf
	v_cndmask_b32_e64 v14, 0, v14, s2
	s_delay_alu instid0(VALU_DEP_1) | instskip(SKIP_3) | instid1(VALU_DEP_1)
	v_add_nc_u32_e32 v13, v13, v14
	ds_swizzle_b32 v14, v13 offset:swizzle(BROADCAST,32,15)
	s_waitcnt lgkmcnt(0)
	v_cndmask_b32_e64 v14, v14, 0, s3
	v_add_nc_u32_e32 v13, v13, v14
	s_and_saveexec_b32 s13, s4
	s_cbranch_execz .LBB79_4
; %bb.3:                                ;   in Loop: Header=BB79_2 Depth=1
	ds_store_b32 v11, v13
.LBB79_4:                               ;   in Loop: Header=BB79_2 Depth=1
	s_or_b32 exec_lo, exec_lo, s13
	s_waitcnt lgkmcnt(0)
	s_barrier
	buffer_gl0_inv
	s_and_saveexec_b32 s13, s5
	s_cbranch_execz .LBB79_6
; %bb.5:                                ;   in Loop: Header=BB79_2 Depth=1
	ds_load_b32 v14, v0
	s_waitcnt lgkmcnt(0)
	v_mov_b32_dpp v15, v14 row_shr:1 row_mask:0xf bank_mask:0xf
	s_delay_alu instid0(VALU_DEP_1) | instskip(NEXT) | instid1(VALU_DEP_1)
	v_cndmask_b32_e64 v15, v15, 0, s9
	v_add_nc_u32_e32 v14, v15, v14
	s_delay_alu instid0(VALU_DEP_1) | instskip(NEXT) | instid1(VALU_DEP_1)
	v_mov_b32_dpp v15, v14 row_shr:2 row_mask:0xf bank_mask:0xf
	v_cndmask_b32_e64 v15, 0, v15, s10
	s_delay_alu instid0(VALU_DEP_1) | instskip(NEXT) | instid1(VALU_DEP_1)
	v_add_nc_u32_e32 v14, v14, v15
	v_mov_b32_dpp v15, v14 row_shr:4 row_mask:0xf bank_mask:0xf
	s_delay_alu instid0(VALU_DEP_1) | instskip(NEXT) | instid1(VALU_DEP_1)
	v_cndmask_b32_e64 v15, 0, v15, s11
	v_add_nc_u32_e32 v14, v14, v15
	ds_store_b32 v0, v14
.LBB79_6:                               ;   in Loop: Header=BB79_2 Depth=1
	s_or_b32 exec_lo, exec_lo, s13
	s_waitcnt lgkmcnt(0)
	s_barrier
	buffer_gl0_inv
                                        ; implicit-def: $vgpr14
	s_and_saveexec_b32 s13, s6
	s_cbranch_execz .LBB79_1
; %bb.7:                                ;   in Loop: Header=BB79_2 Depth=1
	ds_load_b32 v14, v12
	s_waitcnt lgkmcnt(0)
	v_add_nc_u32_e32 v13, v14, v13
	s_branch .LBB79_1
.LBB79_8:
	v_add_co_u32 v0, vcc_lo, s14, v1
	v_add_co_ci_u32_e32 v1, vcc_lo, s15, v2, vcc_lo
	v_add_co_u32 v5, vcc_lo, s14, v5
	v_add_co_ci_u32_e32 v6, vcc_lo, s15, v6, vcc_lo
	;; [unrolled: 2-line block ×3, first 2 shown]
	s_clause 0x2
	global_store_b32 v[0:1], v7, off
	global_store_b32 v[5:6], v8, off
	;; [unrolled: 1-line block ×3, first 2 shown]
	s_nop 0
	s_sendmsg sendmsg(MSG_DEALLOC_VGPRS)
	s_endpgm
	.section	.rodata,"a",@progbits
	.p2align	6, 0x0
	.amdhsa_kernel _Z6kernelI14inclusive_scanILN6hipcub18BlockScanAlgorithmE0EEiLj256ELj3ELj100EEvPKT0_PS4_S4_
		.amdhsa_group_segment_fixed_size 32
		.amdhsa_private_segment_fixed_size 0
		.amdhsa_kernarg_size 280
		.amdhsa_user_sgpr_count 15
		.amdhsa_user_sgpr_dispatch_ptr 0
		.amdhsa_user_sgpr_queue_ptr 0
		.amdhsa_user_sgpr_kernarg_segment_ptr 1
		.amdhsa_user_sgpr_dispatch_id 0
		.amdhsa_user_sgpr_private_segment_size 0
		.amdhsa_wavefront_size32 1
		.amdhsa_uses_dynamic_stack 0
		.amdhsa_enable_private_segment 0
		.amdhsa_system_sgpr_workgroup_id_x 1
		.amdhsa_system_sgpr_workgroup_id_y 0
		.amdhsa_system_sgpr_workgroup_id_z 0
		.amdhsa_system_sgpr_workgroup_info 0
		.amdhsa_system_vgpr_workitem_id 0
		.amdhsa_next_free_vgpr 16
		.amdhsa_next_free_sgpr 16
		.amdhsa_reserve_vcc 1
		.amdhsa_float_round_mode_32 0
		.amdhsa_float_round_mode_16_64 0
		.amdhsa_float_denorm_mode_32 3
		.amdhsa_float_denorm_mode_16_64 3
		.amdhsa_dx10_clamp 1
		.amdhsa_ieee_mode 1
		.amdhsa_fp16_overflow 0
		.amdhsa_workgroup_processor_mode 1
		.amdhsa_memory_ordered 1
		.amdhsa_forward_progress 0
		.amdhsa_shared_vgpr_count 0
		.amdhsa_exception_fp_ieee_invalid_op 0
		.amdhsa_exception_fp_denorm_src 0
		.amdhsa_exception_fp_ieee_div_zero 0
		.amdhsa_exception_fp_ieee_overflow 0
		.amdhsa_exception_fp_ieee_underflow 0
		.amdhsa_exception_fp_ieee_inexact 0
		.amdhsa_exception_int_div_zero 0
	.end_amdhsa_kernel
	.section	.text._Z6kernelI14inclusive_scanILN6hipcub18BlockScanAlgorithmE0EEiLj256ELj3ELj100EEvPKT0_PS4_S4_,"axG",@progbits,_Z6kernelI14inclusive_scanILN6hipcub18BlockScanAlgorithmE0EEiLj256ELj3ELj100EEvPKT0_PS4_S4_,comdat
.Lfunc_end79:
	.size	_Z6kernelI14inclusive_scanILN6hipcub18BlockScanAlgorithmE0EEiLj256ELj3ELj100EEvPKT0_PS4_S4_, .Lfunc_end79-_Z6kernelI14inclusive_scanILN6hipcub18BlockScanAlgorithmE0EEiLj256ELj3ELj100EEvPKT0_PS4_S4_
                                        ; -- End function
	.section	.AMDGPU.csdata,"",@progbits
; Kernel info:
; codeLenInByte = 824
; NumSgprs: 18
; NumVgprs: 16
; ScratchSize: 0
; MemoryBound: 0
; FloatMode: 240
; IeeeMode: 1
; LDSByteSize: 32 bytes/workgroup (compile time only)
; SGPRBlocks: 2
; VGPRBlocks: 1
; NumSGPRsForWavesPerEU: 18
; NumVGPRsForWavesPerEU: 16
; Occupancy: 16
; WaveLimiterHint : 0
; COMPUTE_PGM_RSRC2:SCRATCH_EN: 0
; COMPUTE_PGM_RSRC2:USER_SGPR: 15
; COMPUTE_PGM_RSRC2:TRAP_HANDLER: 0
; COMPUTE_PGM_RSRC2:TGID_X_EN: 1
; COMPUTE_PGM_RSRC2:TGID_Y_EN: 0
; COMPUTE_PGM_RSRC2:TGID_Z_EN: 0
; COMPUTE_PGM_RSRC2:TIDIG_COMP_CNT: 0
	.section	.text._Z6kernelI14inclusive_scanILN6hipcub18BlockScanAlgorithmE0EEiLj256ELj4ELj100EEvPKT0_PS4_S4_,"axG",@progbits,_Z6kernelI14inclusive_scanILN6hipcub18BlockScanAlgorithmE0EEiLj256ELj4ELj100EEvPKT0_PS4_S4_,comdat
	.protected	_Z6kernelI14inclusive_scanILN6hipcub18BlockScanAlgorithmE0EEiLj256ELj4ELj100EEvPKT0_PS4_S4_ ; -- Begin function _Z6kernelI14inclusive_scanILN6hipcub18BlockScanAlgorithmE0EEiLj256ELj4ELj100EEvPKT0_PS4_S4_
	.globl	_Z6kernelI14inclusive_scanILN6hipcub18BlockScanAlgorithmE0EEiLj256ELj4ELj100EEvPKT0_PS4_S4_
	.p2align	8
	.type	_Z6kernelI14inclusive_scanILN6hipcub18BlockScanAlgorithmE0EEiLj256ELj4ELj100EEvPKT0_PS4_S4_,@function
_Z6kernelI14inclusive_scanILN6hipcub18BlockScanAlgorithmE0EEiLj256ELj4ELj100EEvPKT0_PS4_S4_: ; @_Z6kernelI14inclusive_scanILN6hipcub18BlockScanAlgorithmE0EEiLj256ELj4ELj100EEvPKT0_PS4_S4_
; %bb.0:
	s_clause 0x1
	s_load_b32 s2, s[0:1], 0x24
	s_load_b128 s[16:19], s[0:1], 0x0
	v_mbcnt_lo_u32_b32 v8, -1, 0
	v_mov_b32_e32 v2, 0
	v_or_b32_e32 v11, 31, v0
	v_cmp_gt_u32_e64 s5, 8, v0
	v_cmp_lt_u32_e64 s6, 31, v0
	v_and_b32_e32 v7, 15, v8
	v_and_b32_e32 v9, 16, v8
	v_add_nc_u32_e32 v10, -1, v8
	v_cmp_eq_u32_e64 s8, 0, v8
	v_cmp_eq_u32_e64 s7, 0, v0
	v_cmp_lt_u32_e64 s1, 3, v7
	v_cmp_eq_u32_e64 s3, 0, v9
	v_cmp_gt_i32_e64 s4, 0, v10
	v_lshrrev_b32_e32 v9, 3, v0
	s_movk_i32 s12, 0x64
	s_waitcnt lgkmcnt(0)
	s_and_b32 s0, s2, 0xffff
	v_cmp_lt_u32_e64 s2, 7, v7
	s_mul_i32 s15, s15, s0
	v_cmp_lt_u32_e64 s0, 1, v7
	v_add_lshl_u32 v1, s15, v0, 2
	s_delay_alu instid0(VALU_DEP_1) | instskip(NEXT) | instid1(VALU_DEP_1)
	v_lshlrev_b64 v[5:6], 2, v[1:2]
	v_add_co_u32 v1, vcc_lo, s16, v5
	s_delay_alu instid0(VALU_DEP_2)
	v_add_co_ci_u32_e32 v2, vcc_lo, s17, v6, vcc_lo
	v_cmp_eq_u32_e32 vcc_lo, 0, v7
	v_cndmask_b32_e64 v7, v10, v8, s4
	v_and_b32_e32 v10, 7, v8
	global_load_b128 v[1:4], v[1:2], off
	v_and_b32_e32 v8, 28, v9
	v_cmp_eq_u32_e64 s4, v11, v0
	v_lshlrev_b32_e32 v7, 2, v7
	v_lshlrev_b32_e32 v0, 2, v0
	v_cmp_eq_u32_e64 s9, 0, v10
	v_cmp_lt_u32_e64 s10, 1, v10
	v_cmp_lt_u32_e64 s11, 3, v10
	v_add_nc_u32_e32 v9, -4, v8
	s_branch .LBB80_2
.LBB80_1:                               ;   in Loop: Header=BB80_2 Depth=1
	s_or_b32 exec_lo, exec_lo, s13
	ds_bpermute_b32 v10, v7, v10
	s_add_i32 s12, s12, -1
	s_delay_alu instid0(SALU_CYCLE_1) | instskip(SKIP_2) | instid1(VALU_DEP_1)
	s_cmp_lg_u32 s12, 0
	s_waitcnt lgkmcnt(0)
	v_cndmask_b32_e64 v10, v10, v11, s8
	v_cndmask_b32_e64 v10, v10, 0, s7
	s_delay_alu instid0(VALU_DEP_1) | instskip(NEXT) | instid1(VALU_DEP_1)
	v_add_nc_u32_e32 v1, v10, v1
	v_add_nc_u32_e32 v2, v1, v2
	s_delay_alu instid0(VALU_DEP_1) | instskip(NEXT) | instid1(VALU_DEP_1)
	v_add_nc_u32_e32 v3, v2, v3
	v_add_nc_u32_e32 v4, v3, v4
	s_cbranch_scc0 .LBB80_8
.LBB80_2:                               ; =>This Inner Loop Header: Depth=1
	s_waitcnt vmcnt(0)
	v_add_nc_u32_e32 v10, v2, v1
	s_delay_alu instid0(VALU_DEP_1) | instskip(NEXT) | instid1(VALU_DEP_1)
	v_add3_u32 v10, v10, v3, v4
	v_mov_b32_dpp v11, v10 row_shr:1 row_mask:0xf bank_mask:0xf
	s_delay_alu instid0(VALU_DEP_1) | instskip(NEXT) | instid1(VALU_DEP_1)
	v_cndmask_b32_e64 v11, v11, 0, vcc_lo
	v_add_nc_u32_e32 v10, v10, v11
	s_delay_alu instid0(VALU_DEP_1) | instskip(NEXT) | instid1(VALU_DEP_1)
	v_mov_b32_dpp v11, v10 row_shr:2 row_mask:0xf bank_mask:0xf
	v_cndmask_b32_e64 v11, 0, v11, s0
	s_delay_alu instid0(VALU_DEP_1) | instskip(NEXT) | instid1(VALU_DEP_1)
	v_add_nc_u32_e32 v10, v10, v11
	v_mov_b32_dpp v11, v10 row_shr:4 row_mask:0xf bank_mask:0xf
	s_delay_alu instid0(VALU_DEP_1) | instskip(NEXT) | instid1(VALU_DEP_1)
	v_cndmask_b32_e64 v11, 0, v11, s1
	v_add_nc_u32_e32 v10, v10, v11
	s_delay_alu instid0(VALU_DEP_1) | instskip(NEXT) | instid1(VALU_DEP_1)
	v_mov_b32_dpp v11, v10 row_shr:8 row_mask:0xf bank_mask:0xf
	v_cndmask_b32_e64 v11, 0, v11, s2
	s_delay_alu instid0(VALU_DEP_1) | instskip(SKIP_3) | instid1(VALU_DEP_1)
	v_add_nc_u32_e32 v10, v10, v11
	ds_swizzle_b32 v11, v10 offset:swizzle(BROADCAST,32,15)
	s_waitcnt lgkmcnt(0)
	v_cndmask_b32_e64 v11, v11, 0, s3
	v_add_nc_u32_e32 v10, v10, v11
	s_and_saveexec_b32 s13, s4
	s_cbranch_execz .LBB80_4
; %bb.3:                                ;   in Loop: Header=BB80_2 Depth=1
	ds_store_b32 v8, v10
.LBB80_4:                               ;   in Loop: Header=BB80_2 Depth=1
	s_or_b32 exec_lo, exec_lo, s13
	s_waitcnt lgkmcnt(0)
	s_barrier
	buffer_gl0_inv
	s_and_saveexec_b32 s13, s5
	s_cbranch_execz .LBB80_6
; %bb.5:                                ;   in Loop: Header=BB80_2 Depth=1
	ds_load_b32 v11, v0
	s_waitcnt lgkmcnt(0)
	v_mov_b32_dpp v12, v11 row_shr:1 row_mask:0xf bank_mask:0xf
	s_delay_alu instid0(VALU_DEP_1) | instskip(NEXT) | instid1(VALU_DEP_1)
	v_cndmask_b32_e64 v12, v12, 0, s9
	v_add_nc_u32_e32 v11, v12, v11
	s_delay_alu instid0(VALU_DEP_1) | instskip(NEXT) | instid1(VALU_DEP_1)
	v_mov_b32_dpp v12, v11 row_shr:2 row_mask:0xf bank_mask:0xf
	v_cndmask_b32_e64 v12, 0, v12, s10
	s_delay_alu instid0(VALU_DEP_1) | instskip(NEXT) | instid1(VALU_DEP_1)
	v_add_nc_u32_e32 v11, v11, v12
	v_mov_b32_dpp v12, v11 row_shr:4 row_mask:0xf bank_mask:0xf
	s_delay_alu instid0(VALU_DEP_1) | instskip(NEXT) | instid1(VALU_DEP_1)
	v_cndmask_b32_e64 v12, 0, v12, s11
	v_add_nc_u32_e32 v11, v11, v12
	ds_store_b32 v0, v11
.LBB80_6:                               ;   in Loop: Header=BB80_2 Depth=1
	s_or_b32 exec_lo, exec_lo, s13
	s_waitcnt lgkmcnt(0)
	s_barrier
	buffer_gl0_inv
                                        ; implicit-def: $vgpr11
	s_and_saveexec_b32 s13, s6
	s_cbranch_execz .LBB80_1
; %bb.7:                                ;   in Loop: Header=BB80_2 Depth=1
	ds_load_b32 v11, v9
	s_waitcnt lgkmcnt(0)
	v_add_nc_u32_e32 v10, v11, v10
	s_branch .LBB80_1
.LBB80_8:
	v_add_co_u32 v5, vcc_lo, s18, v5
	v_add_co_ci_u32_e32 v6, vcc_lo, s19, v6, vcc_lo
	global_store_b128 v[5:6], v[1:4], off
	s_nop 0
	s_sendmsg sendmsg(MSG_DEALLOC_VGPRS)
	s_endpgm
	.section	.rodata,"a",@progbits
	.p2align	6, 0x0
	.amdhsa_kernel _Z6kernelI14inclusive_scanILN6hipcub18BlockScanAlgorithmE0EEiLj256ELj4ELj100EEvPKT0_PS4_S4_
		.amdhsa_group_segment_fixed_size 32
		.amdhsa_private_segment_fixed_size 0
		.amdhsa_kernarg_size 280
		.amdhsa_user_sgpr_count 15
		.amdhsa_user_sgpr_dispatch_ptr 0
		.amdhsa_user_sgpr_queue_ptr 0
		.amdhsa_user_sgpr_kernarg_segment_ptr 1
		.amdhsa_user_sgpr_dispatch_id 0
		.amdhsa_user_sgpr_private_segment_size 0
		.amdhsa_wavefront_size32 1
		.amdhsa_uses_dynamic_stack 0
		.amdhsa_enable_private_segment 0
		.amdhsa_system_sgpr_workgroup_id_x 1
		.amdhsa_system_sgpr_workgroup_id_y 0
		.amdhsa_system_sgpr_workgroup_id_z 0
		.amdhsa_system_sgpr_workgroup_info 0
		.amdhsa_system_vgpr_workitem_id 0
		.amdhsa_next_free_vgpr 13
		.amdhsa_next_free_sgpr 20
		.amdhsa_reserve_vcc 1
		.amdhsa_float_round_mode_32 0
		.amdhsa_float_round_mode_16_64 0
		.amdhsa_float_denorm_mode_32 3
		.amdhsa_float_denorm_mode_16_64 3
		.amdhsa_dx10_clamp 1
		.amdhsa_ieee_mode 1
		.amdhsa_fp16_overflow 0
		.amdhsa_workgroup_processor_mode 1
		.amdhsa_memory_ordered 1
		.amdhsa_forward_progress 0
		.amdhsa_shared_vgpr_count 0
		.amdhsa_exception_fp_ieee_invalid_op 0
		.amdhsa_exception_fp_denorm_src 0
		.amdhsa_exception_fp_ieee_div_zero 0
		.amdhsa_exception_fp_ieee_overflow 0
		.amdhsa_exception_fp_ieee_underflow 0
		.amdhsa_exception_fp_ieee_inexact 0
		.amdhsa_exception_int_div_zero 0
	.end_amdhsa_kernel
	.section	.text._Z6kernelI14inclusive_scanILN6hipcub18BlockScanAlgorithmE0EEiLj256ELj4ELj100EEvPKT0_PS4_S4_,"axG",@progbits,_Z6kernelI14inclusive_scanILN6hipcub18BlockScanAlgorithmE0EEiLj256ELj4ELj100EEvPKT0_PS4_S4_,comdat
.Lfunc_end80:
	.size	_Z6kernelI14inclusive_scanILN6hipcub18BlockScanAlgorithmE0EEiLj256ELj4ELj100EEvPKT0_PS4_S4_, .Lfunc_end80-_Z6kernelI14inclusive_scanILN6hipcub18BlockScanAlgorithmE0EEiLj256ELj4ELj100EEvPKT0_PS4_S4_
                                        ; -- End function
	.section	.AMDGPU.csdata,"",@progbits
; Kernel info:
; codeLenInByte = 696
; NumSgprs: 22
; NumVgprs: 13
; ScratchSize: 0
; MemoryBound: 0
; FloatMode: 240
; IeeeMode: 1
; LDSByteSize: 32 bytes/workgroup (compile time only)
; SGPRBlocks: 2
; VGPRBlocks: 1
; NumSGPRsForWavesPerEU: 22
; NumVGPRsForWavesPerEU: 13
; Occupancy: 16
; WaveLimiterHint : 0
; COMPUTE_PGM_RSRC2:SCRATCH_EN: 0
; COMPUTE_PGM_RSRC2:USER_SGPR: 15
; COMPUTE_PGM_RSRC2:TRAP_HANDLER: 0
; COMPUTE_PGM_RSRC2:TGID_X_EN: 1
; COMPUTE_PGM_RSRC2:TGID_Y_EN: 0
; COMPUTE_PGM_RSRC2:TGID_Z_EN: 0
; COMPUTE_PGM_RSRC2:TIDIG_COMP_CNT: 0
	.section	.text._Z6kernelI14inclusive_scanILN6hipcub18BlockScanAlgorithmE0EEiLj256ELj8ELj100EEvPKT0_PS4_S4_,"axG",@progbits,_Z6kernelI14inclusive_scanILN6hipcub18BlockScanAlgorithmE0EEiLj256ELj8ELj100EEvPKT0_PS4_S4_,comdat
	.protected	_Z6kernelI14inclusive_scanILN6hipcub18BlockScanAlgorithmE0EEiLj256ELj8ELj100EEvPKT0_PS4_S4_ ; -- Begin function _Z6kernelI14inclusive_scanILN6hipcub18BlockScanAlgorithmE0EEiLj256ELj8ELj100EEvPKT0_PS4_S4_
	.globl	_Z6kernelI14inclusive_scanILN6hipcub18BlockScanAlgorithmE0EEiLj256ELj8ELj100EEvPKT0_PS4_S4_
	.p2align	8
	.type	_Z6kernelI14inclusive_scanILN6hipcub18BlockScanAlgorithmE0EEiLj256ELj8ELj100EEvPKT0_PS4_S4_,@function
_Z6kernelI14inclusive_scanILN6hipcub18BlockScanAlgorithmE0EEiLj256ELj8ELj100EEvPKT0_PS4_S4_: ; @_Z6kernelI14inclusive_scanILN6hipcub18BlockScanAlgorithmE0EEiLj256ELj8ELj100EEvPKT0_PS4_S4_
; %bb.0:
	s_clause 0x1
	s_load_b32 s2, s[0:1], 0x24
	s_load_b128 s[16:19], s[0:1], 0x0
	v_mbcnt_lo_u32_b32 v12, -1, 0
	v_mov_b32_e32 v2, 0
	v_or_b32_e32 v15, 31, v0
	v_cmp_gt_u32_e64 s5, 8, v0
	v_cmp_lt_u32_e64 s6, 31, v0
	v_and_b32_e32 v11, 15, v12
	v_and_b32_e32 v13, 16, v12
	v_add_nc_u32_e32 v14, -1, v12
	v_cmp_eq_u32_e64 s8, 0, v12
	v_cmp_eq_u32_e64 s7, 0, v0
	v_cmp_lt_u32_e64 s1, 3, v11
	v_cmp_eq_u32_e64 s3, 0, v13
	v_cmp_gt_i32_e64 s4, 0, v14
	v_lshrrev_b32_e32 v13, 3, v0
	s_movk_i32 s12, 0x64
	s_waitcnt lgkmcnt(0)
	s_and_b32 s0, s2, 0xffff
	v_cmp_lt_u32_e64 s2, 7, v11
	s_mul_i32 s15, s15, s0
	v_cmp_lt_u32_e64 s0, 1, v11
	v_add_lshl_u32 v1, s15, v0, 3
	s_delay_alu instid0(VALU_DEP_1) | instskip(NEXT) | instid1(VALU_DEP_1)
	v_lshlrev_b64 v[9:10], 2, v[1:2]
	v_add_co_u32 v1, vcc_lo, s16, v9
	s_delay_alu instid0(VALU_DEP_2)
	v_add_co_ci_u32_e32 v2, vcc_lo, s17, v10, vcc_lo
	v_cmp_eq_u32_e32 vcc_lo, 0, v11
	v_cndmask_b32_e64 v11, v14, v12, s4
	v_and_b32_e32 v14, 7, v12
	s_clause 0x1
	global_load_b128 v[5:8], v[1:2], off
	global_load_b128 v[1:4], v[1:2], off offset:16
	v_and_b32_e32 v12, 28, v13
	v_cmp_eq_u32_e64 s4, v15, v0
	v_lshlrev_b32_e32 v11, 2, v11
	v_lshlrev_b32_e32 v0, 2, v0
	v_cmp_eq_u32_e64 s9, 0, v14
	v_cmp_lt_u32_e64 s10, 1, v14
	v_cmp_lt_u32_e64 s11, 3, v14
	v_add_nc_u32_e32 v13, -4, v12
	s_branch .LBB81_2
.LBB81_1:                               ;   in Loop: Header=BB81_2 Depth=1
	s_or_b32 exec_lo, exec_lo, s13
	ds_bpermute_b32 v14, v11, v14
	s_add_i32 s12, s12, -1
	s_delay_alu instid0(SALU_CYCLE_1) | instskip(SKIP_2) | instid1(VALU_DEP_1)
	s_cmp_lg_u32 s12, 0
	s_waitcnt lgkmcnt(0)
	v_cndmask_b32_e64 v14, v14, v15, s8
	v_cndmask_b32_e64 v14, v14, 0, s7
	s_delay_alu instid0(VALU_DEP_1) | instskip(NEXT) | instid1(VALU_DEP_1)
	v_add_nc_u32_e32 v5, v14, v5
	v_add_nc_u32_e32 v6, v5, v6
	s_delay_alu instid0(VALU_DEP_1) | instskip(NEXT) | instid1(VALU_DEP_1)
	v_add_nc_u32_e32 v7, v6, v7
	v_add_nc_u32_e32 v8, v7, v8
	;; [unrolled: 3-line block ×4, first 2 shown]
	s_cbranch_scc0 .LBB81_8
.LBB81_2:                               ; =>This Inner Loop Header: Depth=1
	s_waitcnt vmcnt(1)
	v_add_nc_u32_e32 v14, v6, v5
	s_delay_alu instid0(VALU_DEP_1) | instskip(SKIP_1) | instid1(VALU_DEP_1)
	v_add3_u32 v14, v14, v7, v8
	s_waitcnt vmcnt(0)
	v_add3_u32 v14, v14, v1, v2
	s_delay_alu instid0(VALU_DEP_1) | instskip(NEXT) | instid1(VALU_DEP_1)
	v_add3_u32 v14, v14, v3, v4
	v_mov_b32_dpp v15, v14 row_shr:1 row_mask:0xf bank_mask:0xf
	s_delay_alu instid0(VALU_DEP_1) | instskip(NEXT) | instid1(VALU_DEP_1)
	v_cndmask_b32_e64 v15, v15, 0, vcc_lo
	v_add_nc_u32_e32 v14, v14, v15
	s_delay_alu instid0(VALU_DEP_1) | instskip(NEXT) | instid1(VALU_DEP_1)
	v_mov_b32_dpp v15, v14 row_shr:2 row_mask:0xf bank_mask:0xf
	v_cndmask_b32_e64 v15, 0, v15, s0
	s_delay_alu instid0(VALU_DEP_1) | instskip(NEXT) | instid1(VALU_DEP_1)
	v_add_nc_u32_e32 v14, v14, v15
	v_mov_b32_dpp v15, v14 row_shr:4 row_mask:0xf bank_mask:0xf
	s_delay_alu instid0(VALU_DEP_1) | instskip(NEXT) | instid1(VALU_DEP_1)
	v_cndmask_b32_e64 v15, 0, v15, s1
	v_add_nc_u32_e32 v14, v14, v15
	s_delay_alu instid0(VALU_DEP_1) | instskip(NEXT) | instid1(VALU_DEP_1)
	v_mov_b32_dpp v15, v14 row_shr:8 row_mask:0xf bank_mask:0xf
	v_cndmask_b32_e64 v15, 0, v15, s2
	s_delay_alu instid0(VALU_DEP_1) | instskip(SKIP_3) | instid1(VALU_DEP_1)
	v_add_nc_u32_e32 v14, v14, v15
	ds_swizzle_b32 v15, v14 offset:swizzle(BROADCAST,32,15)
	s_waitcnt lgkmcnt(0)
	v_cndmask_b32_e64 v15, v15, 0, s3
	v_add_nc_u32_e32 v14, v14, v15
	s_and_saveexec_b32 s13, s4
	s_cbranch_execz .LBB81_4
; %bb.3:                                ;   in Loop: Header=BB81_2 Depth=1
	ds_store_b32 v12, v14
.LBB81_4:                               ;   in Loop: Header=BB81_2 Depth=1
	s_or_b32 exec_lo, exec_lo, s13
	s_waitcnt lgkmcnt(0)
	s_barrier
	buffer_gl0_inv
	s_and_saveexec_b32 s13, s5
	s_cbranch_execz .LBB81_6
; %bb.5:                                ;   in Loop: Header=BB81_2 Depth=1
	ds_load_b32 v15, v0
	s_waitcnt lgkmcnt(0)
	v_mov_b32_dpp v16, v15 row_shr:1 row_mask:0xf bank_mask:0xf
	s_delay_alu instid0(VALU_DEP_1) | instskip(NEXT) | instid1(VALU_DEP_1)
	v_cndmask_b32_e64 v16, v16, 0, s9
	v_add_nc_u32_e32 v15, v16, v15
	s_delay_alu instid0(VALU_DEP_1) | instskip(NEXT) | instid1(VALU_DEP_1)
	v_mov_b32_dpp v16, v15 row_shr:2 row_mask:0xf bank_mask:0xf
	v_cndmask_b32_e64 v16, 0, v16, s10
	s_delay_alu instid0(VALU_DEP_1) | instskip(NEXT) | instid1(VALU_DEP_1)
	v_add_nc_u32_e32 v15, v15, v16
	v_mov_b32_dpp v16, v15 row_shr:4 row_mask:0xf bank_mask:0xf
	s_delay_alu instid0(VALU_DEP_1) | instskip(NEXT) | instid1(VALU_DEP_1)
	v_cndmask_b32_e64 v16, 0, v16, s11
	v_add_nc_u32_e32 v15, v15, v16
	ds_store_b32 v0, v15
.LBB81_6:                               ;   in Loop: Header=BB81_2 Depth=1
	s_or_b32 exec_lo, exec_lo, s13
	s_waitcnt lgkmcnt(0)
	s_barrier
	buffer_gl0_inv
                                        ; implicit-def: $vgpr15
	s_and_saveexec_b32 s13, s6
	s_cbranch_execz .LBB81_1
; %bb.7:                                ;   in Loop: Header=BB81_2 Depth=1
	ds_load_b32 v15, v13
	s_waitcnt lgkmcnt(0)
	v_add_nc_u32_e32 v14, v15, v14
	s_branch .LBB81_1
.LBB81_8:
	v_add_co_u32 v9, vcc_lo, s18, v9
	v_add_co_ci_u32_e32 v10, vcc_lo, s19, v10, vcc_lo
	s_clause 0x1
	global_store_b128 v[9:10], v[5:8], off
	global_store_b128 v[9:10], v[1:4], off offset:16
	s_nop 0
	s_sendmsg sendmsg(MSG_DEALLOC_VGPRS)
	s_endpgm
	.section	.rodata,"a",@progbits
	.p2align	6, 0x0
	.amdhsa_kernel _Z6kernelI14inclusive_scanILN6hipcub18BlockScanAlgorithmE0EEiLj256ELj8ELj100EEvPKT0_PS4_S4_
		.amdhsa_group_segment_fixed_size 32
		.amdhsa_private_segment_fixed_size 0
		.amdhsa_kernarg_size 280
		.amdhsa_user_sgpr_count 15
		.amdhsa_user_sgpr_dispatch_ptr 0
		.amdhsa_user_sgpr_queue_ptr 0
		.amdhsa_user_sgpr_kernarg_segment_ptr 1
		.amdhsa_user_sgpr_dispatch_id 0
		.amdhsa_user_sgpr_private_segment_size 0
		.amdhsa_wavefront_size32 1
		.amdhsa_uses_dynamic_stack 0
		.amdhsa_enable_private_segment 0
		.amdhsa_system_sgpr_workgroup_id_x 1
		.amdhsa_system_sgpr_workgroup_id_y 0
		.amdhsa_system_sgpr_workgroup_id_z 0
		.amdhsa_system_sgpr_workgroup_info 0
		.amdhsa_system_vgpr_workitem_id 0
		.amdhsa_next_free_vgpr 17
		.amdhsa_next_free_sgpr 20
		.amdhsa_reserve_vcc 1
		.amdhsa_float_round_mode_32 0
		.amdhsa_float_round_mode_16_64 0
		.amdhsa_float_denorm_mode_32 3
		.amdhsa_float_denorm_mode_16_64 3
		.amdhsa_dx10_clamp 1
		.amdhsa_ieee_mode 1
		.amdhsa_fp16_overflow 0
		.amdhsa_workgroup_processor_mode 1
		.amdhsa_memory_ordered 1
		.amdhsa_forward_progress 0
		.amdhsa_shared_vgpr_count 0
		.amdhsa_exception_fp_ieee_invalid_op 0
		.amdhsa_exception_fp_denorm_src 0
		.amdhsa_exception_fp_ieee_div_zero 0
		.amdhsa_exception_fp_ieee_overflow 0
		.amdhsa_exception_fp_ieee_underflow 0
		.amdhsa_exception_fp_ieee_inexact 0
		.amdhsa_exception_int_div_zero 0
	.end_amdhsa_kernel
	.section	.text._Z6kernelI14inclusive_scanILN6hipcub18BlockScanAlgorithmE0EEiLj256ELj8ELj100EEvPKT0_PS4_S4_,"axG",@progbits,_Z6kernelI14inclusive_scanILN6hipcub18BlockScanAlgorithmE0EEiLj256ELj8ELj100EEvPKT0_PS4_S4_,comdat
.Lfunc_end81:
	.size	_Z6kernelI14inclusive_scanILN6hipcub18BlockScanAlgorithmE0EEiLj256ELj8ELj100EEvPKT0_PS4_S4_, .Lfunc_end81-_Z6kernelI14inclusive_scanILN6hipcub18BlockScanAlgorithmE0EEiLj256ELj8ELj100EEvPKT0_PS4_S4_
                                        ; -- End function
	.section	.AMDGPU.csdata,"",@progbits
; Kernel info:
; codeLenInByte = 768
; NumSgprs: 22
; NumVgprs: 17
; ScratchSize: 0
; MemoryBound: 0
; FloatMode: 240
; IeeeMode: 1
; LDSByteSize: 32 bytes/workgroup (compile time only)
; SGPRBlocks: 2
; VGPRBlocks: 2
; NumSGPRsForWavesPerEU: 22
; NumVGPRsForWavesPerEU: 17
; Occupancy: 16
; WaveLimiterHint : 0
; COMPUTE_PGM_RSRC2:SCRATCH_EN: 0
; COMPUTE_PGM_RSRC2:USER_SGPR: 15
; COMPUTE_PGM_RSRC2:TRAP_HANDLER: 0
; COMPUTE_PGM_RSRC2:TGID_X_EN: 1
; COMPUTE_PGM_RSRC2:TGID_Y_EN: 0
; COMPUTE_PGM_RSRC2:TGID_Z_EN: 0
; COMPUTE_PGM_RSRC2:TIDIG_COMP_CNT: 0
	.section	.text._Z6kernelI14inclusive_scanILN6hipcub18BlockScanAlgorithmE0EEiLj256ELj11ELj100EEvPKT0_PS4_S4_,"axG",@progbits,_Z6kernelI14inclusive_scanILN6hipcub18BlockScanAlgorithmE0EEiLj256ELj11ELj100EEvPKT0_PS4_S4_,comdat
	.protected	_Z6kernelI14inclusive_scanILN6hipcub18BlockScanAlgorithmE0EEiLj256ELj11ELj100EEvPKT0_PS4_S4_ ; -- Begin function _Z6kernelI14inclusive_scanILN6hipcub18BlockScanAlgorithmE0EEiLj256ELj11ELj100EEvPKT0_PS4_S4_
	.globl	_Z6kernelI14inclusive_scanILN6hipcub18BlockScanAlgorithmE0EEiLj256ELj11ELj100EEvPKT0_PS4_S4_
	.p2align	8
	.type	_Z6kernelI14inclusive_scanILN6hipcub18BlockScanAlgorithmE0EEiLj256ELj11ELj100EEvPKT0_PS4_S4_,@function
_Z6kernelI14inclusive_scanILN6hipcub18BlockScanAlgorithmE0EEiLj256ELj11ELj100EEvPKT0_PS4_S4_: ; @_Z6kernelI14inclusive_scanILN6hipcub18BlockScanAlgorithmE0EEiLj256ELj11ELj100EEvPKT0_PS4_S4_
; %bb.0:
	s_load_b32 s2, s[0:1], 0x24
	v_cmp_gt_u32_e64 s5, 8, v0
	v_cmp_lt_u32_e64 s6, 31, v0
	v_cmp_eq_u32_e64 s7, 0, v0
	s_waitcnt lgkmcnt(0)
	s_and_b32 s2, s2, 0xffff
	s_delay_alu instid0(SALU_CYCLE_1) | instskip(SKIP_1) | instid1(VALU_DEP_1)
	v_mad_u64_u32 v[1:2], null, s15, s2, v[0:1]
	s_load_b128 s[12:15], s[0:1], 0x0
	v_mul_lo_u32 v21, v1, 11
	s_delay_alu instid0(VALU_DEP_1) | instskip(NEXT) | instid1(VALU_DEP_1)
	v_dual_mov_b32 v22, 0 :: v_dual_add_nc_u32 v1, 1, v21
	v_dual_mov_b32 v2, v22 :: v_dual_add_nc_u32 v3, 2, v21
	v_lshlrev_b64 v[15:16], 2, v[21:22]
	v_dual_mov_b32 v4, v22 :: v_dual_add_nc_u32 v5, 3, v21
	s_delay_alu instid0(VALU_DEP_3) | instskip(SKIP_1) | instid1(VALU_DEP_3)
	v_lshlrev_b64 v[17:18], 2, v[1:2]
	v_dual_mov_b32 v6, v22 :: v_dual_add_nc_u32 v7, 4, v21
	v_lshlrev_b64 v[13:14], 2, v[3:4]
	s_waitcnt lgkmcnt(0)
	v_add_co_u32 v25, vcc_lo, s12, v15
	v_dual_mov_b32 v8, v22 :: v_dual_add_nc_u32 v11, 5, v21
	v_add_co_ci_u32_e32 v26, vcc_lo, s13, v16, vcc_lo
	v_lshlrev_b64 v[9:10], 2, v[5:6]
	v_add_co_u32 v27, vcc_lo, s12, v17
	v_dual_mov_b32 v12, v22 :: v_dual_add_nc_u32 v19, 6, v21
	v_add_co_ci_u32_e32 v28, vcc_lo, s13, v18, vcc_lo
	v_lshlrev_b64 v[5:6], 2, v[7:8]
	;; [unrolled: 4-line block ×4, first 2 shown]
	v_add_co_u32 v36, vcc_lo, s12, v5
	v_add_co_ci_u32_e32 v37, vcc_lo, s13, v6, vcc_lo
	v_add_co_u32 v38, vcc_lo, s12, v3
	v_lshlrev_b64 v[7:8], 2, v[23:24]
	v_add_nc_u32_e32 v19, 9, v21
	v_add_co_ci_u32_e32 v39, vcc_lo, s13, v4, vcc_lo
	v_add_co_u32 v23, vcc_lo, s12, v1
	v_lshlrev_b64 v[11:12], 2, v[11:12]
	v_add_nc_u32_e32 v21, 10, v21
	v_add_co_ci_u32_e32 v24, vcc_lo, s13, v2, vcc_lo
	v_add_co_u32 v40, vcc_lo, s12, v7
	v_lshlrev_b64 v[19:20], 2, v[19:20]
	v_add_co_ci_u32_e32 v41, vcc_lo, s13, v8, vcc_lo
	v_add_co_u32 v42, vcc_lo, s12, v11
	v_lshlrev_b64 v[21:22], 2, v[21:22]
	v_add_co_ci_u32_e32 v43, vcc_lo, s13, v12, vcc_lo
	v_add_co_u32 v44, vcc_lo, s12, v19
	v_add_co_ci_u32_e32 v45, vcc_lo, s13, v20, vcc_lo
	s_delay_alu instid0(VALU_DEP_4)
	v_add_co_u32 v46, vcc_lo, s12, v21
	v_add_co_ci_u32_e32 v47, vcc_lo, s13, v22, vcc_lo
	s_clause 0xa
	global_load_b32 v33, v[25:26], off
	global_load_b32 v32, v[27:28], off
	;; [unrolled: 1-line block ×11, first 2 shown]
	v_mbcnt_lo_u32_b32 v35, -1, 0
	v_or_b32_e32 v38, 31, v0
	s_movk_i32 s12, 0x64
	s_delay_alu instid0(VALU_DEP_2) | instskip(SKIP_3) | instid1(VALU_DEP_4)
	v_and_b32_e32 v36, 16, v35
	v_add_nc_u32_e32 v37, -1, v35
	v_and_b32_e32 v34, 15, v35
	v_cmp_eq_u32_e64 s8, 0, v35
	v_cmp_eq_u32_e64 s3, 0, v36
	s_delay_alu instid0(VALU_DEP_4)
	v_cmp_gt_i32_e64 s4, 0, v37
	v_lshrrev_b32_e32 v36, 3, v0
	v_cmp_eq_u32_e32 vcc_lo, 0, v34
	v_cmp_lt_u32_e64 s0, 1, v34
	v_cmp_lt_u32_e64 s1, 3, v34
	;; [unrolled: 1-line block ×3, first 2 shown]
	v_cndmask_b32_e64 v34, v37, v35, s4
	v_and_b32_e32 v37, 7, v35
	v_and_b32_e32 v35, 28, v36
	v_cmp_eq_u32_e64 s4, v38, v0
	v_lshlrev_b32_e32 v0, 2, v0
	v_lshlrev_b32_e32 v34, 2, v34
	v_cmp_eq_u32_e64 s9, 0, v37
	v_cmp_lt_u32_e64 s10, 1, v37
	v_cmp_lt_u32_e64 s11, 3, v37
	v_add_nc_u32_e32 v36, -4, v35
	s_branch .LBB82_2
.LBB82_1:                               ;   in Loop: Header=BB82_2 Depth=1
	s_or_b32 exec_lo, exec_lo, s13
	ds_bpermute_b32 v37, v34, v37
	s_add_i32 s12, s12, -1
	s_delay_alu instid0(SALU_CYCLE_1) | instskip(SKIP_2) | instid1(VALU_DEP_1)
	s_cmp_lg_u32 s12, 0
	s_waitcnt lgkmcnt(0)
	v_cndmask_b32_e64 v37, v37, v38, s8
	v_cndmask_b32_e64 v37, v37, 0, s7
	s_delay_alu instid0(VALU_DEP_1) | instskip(NEXT) | instid1(VALU_DEP_1)
	v_add_nc_u32_e32 v33, v37, v33
	v_add_nc_u32_e32 v32, v33, v32
	s_delay_alu instid0(VALU_DEP_1) | instskip(NEXT) | instid1(VALU_DEP_1)
	v_add_nc_u32_e32 v31, v32, v31
	v_add_nc_u32_e32 v30, v31, v30
	;; [unrolled: 3-line block ×5, first 2 shown]
	s_delay_alu instid0(VALU_DEP_1)
	v_add_nc_u32_e32 v23, v24, v23
	s_cbranch_scc0 .LBB82_8
.LBB82_2:                               ; =>This Inner Loop Header: Depth=1
	s_waitcnt vmcnt(0)
	s_delay_alu instid0(VALU_DEP_1) | instskip(NEXT) | instid1(VALU_DEP_1)
	v_add3_u32 v37, v24, v23, v25
	v_add3_u32 v37, v37, v26, v27
	s_delay_alu instid0(VALU_DEP_1) | instskip(NEXT) | instid1(VALU_DEP_1)
	v_add3_u32 v37, v37, v28, v29
	v_add3_u32 v37, v37, v30, v31
	s_delay_alu instid0(VALU_DEP_1) | instskip(NEXT) | instid1(VALU_DEP_1)
	v_add3_u32 v37, v37, v32, v33
	v_mov_b32_dpp v38, v37 row_shr:1 row_mask:0xf bank_mask:0xf
	s_delay_alu instid0(VALU_DEP_1) | instskip(NEXT) | instid1(VALU_DEP_1)
	v_cndmask_b32_e64 v38, v38, 0, vcc_lo
	v_add_nc_u32_e32 v37, v37, v38
	s_delay_alu instid0(VALU_DEP_1) | instskip(NEXT) | instid1(VALU_DEP_1)
	v_mov_b32_dpp v38, v37 row_shr:2 row_mask:0xf bank_mask:0xf
	v_cndmask_b32_e64 v38, 0, v38, s0
	s_delay_alu instid0(VALU_DEP_1) | instskip(NEXT) | instid1(VALU_DEP_1)
	v_add_nc_u32_e32 v37, v37, v38
	v_mov_b32_dpp v38, v37 row_shr:4 row_mask:0xf bank_mask:0xf
	s_delay_alu instid0(VALU_DEP_1) | instskip(NEXT) | instid1(VALU_DEP_1)
	v_cndmask_b32_e64 v38, 0, v38, s1
	v_add_nc_u32_e32 v37, v37, v38
	s_delay_alu instid0(VALU_DEP_1) | instskip(NEXT) | instid1(VALU_DEP_1)
	v_mov_b32_dpp v38, v37 row_shr:8 row_mask:0xf bank_mask:0xf
	v_cndmask_b32_e64 v38, 0, v38, s2
	s_delay_alu instid0(VALU_DEP_1) | instskip(SKIP_3) | instid1(VALU_DEP_1)
	v_add_nc_u32_e32 v37, v37, v38
	ds_swizzle_b32 v38, v37 offset:swizzle(BROADCAST,32,15)
	s_waitcnt lgkmcnt(0)
	v_cndmask_b32_e64 v38, v38, 0, s3
	v_add_nc_u32_e32 v37, v37, v38
	s_and_saveexec_b32 s13, s4
	s_cbranch_execz .LBB82_4
; %bb.3:                                ;   in Loop: Header=BB82_2 Depth=1
	ds_store_b32 v35, v37
.LBB82_4:                               ;   in Loop: Header=BB82_2 Depth=1
	s_or_b32 exec_lo, exec_lo, s13
	s_waitcnt lgkmcnt(0)
	s_barrier
	buffer_gl0_inv
	s_and_saveexec_b32 s13, s5
	s_cbranch_execz .LBB82_6
; %bb.5:                                ;   in Loop: Header=BB82_2 Depth=1
	ds_load_b32 v38, v0
	s_waitcnt lgkmcnt(0)
	v_mov_b32_dpp v39, v38 row_shr:1 row_mask:0xf bank_mask:0xf
	s_delay_alu instid0(VALU_DEP_1) | instskip(NEXT) | instid1(VALU_DEP_1)
	v_cndmask_b32_e64 v39, v39, 0, s9
	v_add_nc_u32_e32 v38, v39, v38
	s_delay_alu instid0(VALU_DEP_1) | instskip(NEXT) | instid1(VALU_DEP_1)
	v_mov_b32_dpp v39, v38 row_shr:2 row_mask:0xf bank_mask:0xf
	v_cndmask_b32_e64 v39, 0, v39, s10
	s_delay_alu instid0(VALU_DEP_1) | instskip(NEXT) | instid1(VALU_DEP_1)
	v_add_nc_u32_e32 v38, v38, v39
	v_mov_b32_dpp v39, v38 row_shr:4 row_mask:0xf bank_mask:0xf
	s_delay_alu instid0(VALU_DEP_1) | instskip(NEXT) | instid1(VALU_DEP_1)
	v_cndmask_b32_e64 v39, 0, v39, s11
	v_add_nc_u32_e32 v38, v38, v39
	ds_store_b32 v0, v38
.LBB82_6:                               ;   in Loop: Header=BB82_2 Depth=1
	s_or_b32 exec_lo, exec_lo, s13
	s_waitcnt lgkmcnt(0)
	s_barrier
	buffer_gl0_inv
                                        ; implicit-def: $vgpr38
	s_and_saveexec_b32 s13, s6
	s_cbranch_execz .LBB82_1
; %bb.7:                                ;   in Loop: Header=BB82_2 Depth=1
	ds_load_b32 v38, v36
	s_waitcnt lgkmcnt(0)
	v_add_nc_u32_e32 v37, v38, v37
	s_branch .LBB82_1
.LBB82_8:
	v_add_co_u32 v15, vcc_lo, s14, v15
	v_add_co_ci_u32_e32 v16, vcc_lo, s15, v16, vcc_lo
	v_add_co_u32 v17, vcc_lo, s14, v17
	v_add_co_ci_u32_e32 v18, vcc_lo, s15, v18, vcc_lo
	v_add_co_u32 v13, vcc_lo, s14, v13
	v_add_co_ci_u32_e32 v14, vcc_lo, s15, v14, vcc_lo
	v_add_co_u32 v9, vcc_lo, s14, v9
	v_add_co_ci_u32_e32 v10, vcc_lo, s15, v10, vcc_lo
	v_add_co_u32 v5, vcc_lo, s14, v5
	v_add_co_ci_u32_e32 v6, vcc_lo, s15, v6, vcc_lo
	v_add_co_u32 v3, vcc_lo, s14, v3
	v_add_co_ci_u32_e32 v4, vcc_lo, s15, v4, vcc_lo
	v_add_co_u32 v0, vcc_lo, s14, v1
	v_add_co_ci_u32_e32 v1, vcc_lo, s15, v2, vcc_lo
	v_add_co_u32 v7, vcc_lo, s14, v7
	v_add_co_ci_u32_e32 v8, vcc_lo, s15, v8, vcc_lo
	v_add_co_u32 v11, vcc_lo, s14, v11
	v_add_co_ci_u32_e32 v12, vcc_lo, s15, v12, vcc_lo
	v_add_co_u32 v19, vcc_lo, s14, v19
	v_add_co_ci_u32_e32 v20, vcc_lo, s15, v20, vcc_lo
	v_add_co_u32 v21, vcc_lo, s14, v21
	v_add_co_ci_u32_e32 v22, vcc_lo, s15, v22, vcc_lo
	s_clause 0xa
	global_store_b32 v[15:16], v33, off
	global_store_b32 v[17:18], v32, off
	;; [unrolled: 1-line block ×11, first 2 shown]
	s_nop 0
	s_sendmsg sendmsg(MSG_DEALLOC_VGPRS)
	s_endpgm
	.section	.rodata,"a",@progbits
	.p2align	6, 0x0
	.amdhsa_kernel _Z6kernelI14inclusive_scanILN6hipcub18BlockScanAlgorithmE0EEiLj256ELj11ELj100EEvPKT0_PS4_S4_
		.amdhsa_group_segment_fixed_size 32
		.amdhsa_private_segment_fixed_size 0
		.amdhsa_kernarg_size 280
		.amdhsa_user_sgpr_count 15
		.amdhsa_user_sgpr_dispatch_ptr 0
		.amdhsa_user_sgpr_queue_ptr 0
		.amdhsa_user_sgpr_kernarg_segment_ptr 1
		.amdhsa_user_sgpr_dispatch_id 0
		.amdhsa_user_sgpr_private_segment_size 0
		.amdhsa_wavefront_size32 1
		.amdhsa_uses_dynamic_stack 0
		.amdhsa_enable_private_segment 0
		.amdhsa_system_sgpr_workgroup_id_x 1
		.amdhsa_system_sgpr_workgroup_id_y 0
		.amdhsa_system_sgpr_workgroup_id_z 0
		.amdhsa_system_sgpr_workgroup_info 0
		.amdhsa_system_vgpr_workitem_id 0
		.amdhsa_next_free_vgpr 48
		.amdhsa_next_free_sgpr 16
		.amdhsa_reserve_vcc 1
		.amdhsa_float_round_mode_32 0
		.amdhsa_float_round_mode_16_64 0
		.amdhsa_float_denorm_mode_32 3
		.amdhsa_float_denorm_mode_16_64 3
		.amdhsa_dx10_clamp 1
		.amdhsa_ieee_mode 1
		.amdhsa_fp16_overflow 0
		.amdhsa_workgroup_processor_mode 1
		.amdhsa_memory_ordered 1
		.amdhsa_forward_progress 0
		.amdhsa_shared_vgpr_count 0
		.amdhsa_exception_fp_ieee_invalid_op 0
		.amdhsa_exception_fp_denorm_src 0
		.amdhsa_exception_fp_ieee_div_zero 0
		.amdhsa_exception_fp_ieee_overflow 0
		.amdhsa_exception_fp_ieee_underflow 0
		.amdhsa_exception_fp_ieee_inexact 0
		.amdhsa_exception_int_div_zero 0
	.end_amdhsa_kernel
	.section	.text._Z6kernelI14inclusive_scanILN6hipcub18BlockScanAlgorithmE0EEiLj256ELj11ELj100EEvPKT0_PS4_S4_,"axG",@progbits,_Z6kernelI14inclusive_scanILN6hipcub18BlockScanAlgorithmE0EEiLj256ELj11ELj100EEvPKT0_PS4_S4_,comdat
.Lfunc_end82:
	.size	_Z6kernelI14inclusive_scanILN6hipcub18BlockScanAlgorithmE0EEiLj256ELj11ELj100EEvPKT0_PS4_S4_, .Lfunc_end82-_Z6kernelI14inclusive_scanILN6hipcub18BlockScanAlgorithmE0EEiLj256ELj11ELj100EEvPKT0_PS4_S4_
                                        ; -- End function
	.section	.AMDGPU.csdata,"",@progbits
; Kernel info:
; codeLenInByte = 1352
; NumSgprs: 18
; NumVgprs: 48
; ScratchSize: 0
; MemoryBound: 0
; FloatMode: 240
; IeeeMode: 1
; LDSByteSize: 32 bytes/workgroup (compile time only)
; SGPRBlocks: 2
; VGPRBlocks: 5
; NumSGPRsForWavesPerEU: 18
; NumVGPRsForWavesPerEU: 48
; Occupancy: 16
; WaveLimiterHint : 0
; COMPUTE_PGM_RSRC2:SCRATCH_EN: 0
; COMPUTE_PGM_RSRC2:USER_SGPR: 15
; COMPUTE_PGM_RSRC2:TRAP_HANDLER: 0
; COMPUTE_PGM_RSRC2:TGID_X_EN: 1
; COMPUTE_PGM_RSRC2:TGID_Y_EN: 0
; COMPUTE_PGM_RSRC2:TGID_Z_EN: 0
; COMPUTE_PGM_RSRC2:TIDIG_COMP_CNT: 0
	.section	.text._Z6kernelI14inclusive_scanILN6hipcub18BlockScanAlgorithmE0EEiLj256ELj16ELj100EEvPKT0_PS4_S4_,"axG",@progbits,_Z6kernelI14inclusive_scanILN6hipcub18BlockScanAlgorithmE0EEiLj256ELj16ELj100EEvPKT0_PS4_S4_,comdat
	.protected	_Z6kernelI14inclusive_scanILN6hipcub18BlockScanAlgorithmE0EEiLj256ELj16ELj100EEvPKT0_PS4_S4_ ; -- Begin function _Z6kernelI14inclusive_scanILN6hipcub18BlockScanAlgorithmE0EEiLj256ELj16ELj100EEvPKT0_PS4_S4_
	.globl	_Z6kernelI14inclusive_scanILN6hipcub18BlockScanAlgorithmE0EEiLj256ELj16ELj100EEvPKT0_PS4_S4_
	.p2align	8
	.type	_Z6kernelI14inclusive_scanILN6hipcub18BlockScanAlgorithmE0EEiLj256ELj16ELj100EEvPKT0_PS4_S4_,@function
_Z6kernelI14inclusive_scanILN6hipcub18BlockScanAlgorithmE0EEiLj256ELj16ELj100EEvPKT0_PS4_S4_: ; @_Z6kernelI14inclusive_scanILN6hipcub18BlockScanAlgorithmE0EEiLj256ELj16ELj100EEvPKT0_PS4_S4_
; %bb.0:
	s_clause 0x1
	s_load_b32 s2, s[0:1], 0x24
	s_load_b128 s[16:19], s[0:1], 0x0
	v_mbcnt_lo_u32_b32 v20, -1, 0
	v_mov_b32_e32 v2, 0
	v_or_b32_e32 v23, 31, v0
	v_cmp_gt_u32_e64 s5, 8, v0
	v_cmp_lt_u32_e64 s6, 31, v0
	v_and_b32_e32 v19, 15, v20
	v_and_b32_e32 v21, 16, v20
	v_add_nc_u32_e32 v22, -1, v20
	v_cmp_eq_u32_e64 s8, 0, v20
	v_cmp_eq_u32_e64 s7, 0, v0
	v_cmp_lt_u32_e64 s1, 3, v19
	v_cmp_eq_u32_e64 s3, 0, v21
	v_cmp_gt_i32_e64 s4, 0, v22
	v_lshrrev_b32_e32 v21, 3, v0
	s_movk_i32 s12, 0x64
	s_waitcnt lgkmcnt(0)
	s_and_b32 s0, s2, 0xffff
	v_cmp_lt_u32_e64 s2, 7, v19
	s_mul_i32 s15, s15, s0
	v_cmp_lt_u32_e64 s0, 1, v19
	v_add_lshl_u32 v1, s15, v0, 4
	s_delay_alu instid0(VALU_DEP_1) | instskip(NEXT) | instid1(VALU_DEP_1)
	v_lshlrev_b64 v[17:18], 2, v[1:2]
	v_add_co_u32 v1, vcc_lo, s16, v17
	s_delay_alu instid0(VALU_DEP_2)
	v_add_co_ci_u32_e32 v2, vcc_lo, s17, v18, vcc_lo
	v_cmp_eq_u32_e32 vcc_lo, 0, v19
	v_cndmask_b32_e64 v19, v22, v20, s4
	v_and_b32_e32 v22, 7, v20
	s_clause 0x3
	global_load_b128 v[13:16], v[1:2], off
	global_load_b128 v[9:12], v[1:2], off offset:16
	global_load_b128 v[5:8], v[1:2], off offset:32
	;; [unrolled: 1-line block ×3, first 2 shown]
	v_and_b32_e32 v20, 28, v21
	v_cmp_eq_u32_e64 s4, v23, v0
	v_lshlrev_b32_e32 v19, 2, v19
	v_lshlrev_b32_e32 v0, 2, v0
	v_cmp_eq_u32_e64 s9, 0, v22
	v_cmp_lt_u32_e64 s10, 1, v22
	v_cmp_lt_u32_e64 s11, 3, v22
	v_add_nc_u32_e32 v21, -4, v20
	s_branch .LBB83_2
.LBB83_1:                               ;   in Loop: Header=BB83_2 Depth=1
	s_or_b32 exec_lo, exec_lo, s13
	ds_bpermute_b32 v22, v19, v22
	s_add_i32 s12, s12, -1
	s_delay_alu instid0(SALU_CYCLE_1) | instskip(SKIP_2) | instid1(VALU_DEP_1)
	s_cmp_lg_u32 s12, 0
	s_waitcnt lgkmcnt(0)
	v_cndmask_b32_e64 v22, v22, v23, s8
	v_cndmask_b32_e64 v22, v22, 0, s7
	s_delay_alu instid0(VALU_DEP_1) | instskip(NEXT) | instid1(VALU_DEP_1)
	v_add_nc_u32_e32 v13, v22, v13
	v_add_nc_u32_e32 v14, v13, v14
	s_delay_alu instid0(VALU_DEP_1) | instskip(NEXT) | instid1(VALU_DEP_1)
	v_add_nc_u32_e32 v15, v14, v15
	v_add_nc_u32_e32 v16, v15, v16
	;; [unrolled: 3-line block ×8, first 2 shown]
	s_cbranch_scc0 .LBB83_8
.LBB83_2:                               ; =>This Inner Loop Header: Depth=1
	s_waitcnt vmcnt(0)
	s_delay_alu instid0(VALU_DEP_1) | instskip(NEXT) | instid1(VALU_DEP_1)
	v_add_nc_u32_e32 v22, v3, v4
	v_add3_u32 v22, v22, v2, v1
	s_delay_alu instid0(VALU_DEP_1) | instskip(NEXT) | instid1(VALU_DEP_1)
	v_add3_u32 v22, v22, v8, v7
	v_add3_u32 v22, v22, v6, v5
	s_delay_alu instid0(VALU_DEP_1) | instskip(NEXT) | instid1(VALU_DEP_1)
	v_add3_u32 v22, v22, v12, v11
	;; [unrolled: 3-line block ×3, first 2 shown]
	v_add3_u32 v22, v22, v14, v13
	s_delay_alu instid0(VALU_DEP_1) | instskip(NEXT) | instid1(VALU_DEP_1)
	v_mov_b32_dpp v23, v22 row_shr:1 row_mask:0xf bank_mask:0xf
	v_cndmask_b32_e64 v23, v23, 0, vcc_lo
	s_delay_alu instid0(VALU_DEP_1) | instskip(NEXT) | instid1(VALU_DEP_1)
	v_add_nc_u32_e32 v22, v22, v23
	v_mov_b32_dpp v23, v22 row_shr:2 row_mask:0xf bank_mask:0xf
	s_delay_alu instid0(VALU_DEP_1) | instskip(NEXT) | instid1(VALU_DEP_1)
	v_cndmask_b32_e64 v23, 0, v23, s0
	v_add_nc_u32_e32 v22, v22, v23
	s_delay_alu instid0(VALU_DEP_1) | instskip(NEXT) | instid1(VALU_DEP_1)
	v_mov_b32_dpp v23, v22 row_shr:4 row_mask:0xf bank_mask:0xf
	v_cndmask_b32_e64 v23, 0, v23, s1
	s_delay_alu instid0(VALU_DEP_1) | instskip(NEXT) | instid1(VALU_DEP_1)
	v_add_nc_u32_e32 v22, v22, v23
	v_mov_b32_dpp v23, v22 row_shr:8 row_mask:0xf bank_mask:0xf
	s_delay_alu instid0(VALU_DEP_1) | instskip(NEXT) | instid1(VALU_DEP_1)
	v_cndmask_b32_e64 v23, 0, v23, s2
	v_add_nc_u32_e32 v22, v22, v23
	ds_swizzle_b32 v23, v22 offset:swizzle(BROADCAST,32,15)
	s_waitcnt lgkmcnt(0)
	v_cndmask_b32_e64 v23, v23, 0, s3
	s_delay_alu instid0(VALU_DEP_1)
	v_add_nc_u32_e32 v22, v22, v23
	s_and_saveexec_b32 s13, s4
	s_cbranch_execz .LBB83_4
; %bb.3:                                ;   in Loop: Header=BB83_2 Depth=1
	ds_store_b32 v20, v22
.LBB83_4:                               ;   in Loop: Header=BB83_2 Depth=1
	s_or_b32 exec_lo, exec_lo, s13
	s_waitcnt lgkmcnt(0)
	s_barrier
	buffer_gl0_inv
	s_and_saveexec_b32 s13, s5
	s_cbranch_execz .LBB83_6
; %bb.5:                                ;   in Loop: Header=BB83_2 Depth=1
	ds_load_b32 v23, v0
	s_waitcnt lgkmcnt(0)
	v_mov_b32_dpp v24, v23 row_shr:1 row_mask:0xf bank_mask:0xf
	s_delay_alu instid0(VALU_DEP_1) | instskip(NEXT) | instid1(VALU_DEP_1)
	v_cndmask_b32_e64 v24, v24, 0, s9
	v_add_nc_u32_e32 v23, v24, v23
	s_delay_alu instid0(VALU_DEP_1) | instskip(NEXT) | instid1(VALU_DEP_1)
	v_mov_b32_dpp v24, v23 row_shr:2 row_mask:0xf bank_mask:0xf
	v_cndmask_b32_e64 v24, 0, v24, s10
	s_delay_alu instid0(VALU_DEP_1) | instskip(NEXT) | instid1(VALU_DEP_1)
	v_add_nc_u32_e32 v23, v23, v24
	v_mov_b32_dpp v24, v23 row_shr:4 row_mask:0xf bank_mask:0xf
	s_delay_alu instid0(VALU_DEP_1) | instskip(NEXT) | instid1(VALU_DEP_1)
	v_cndmask_b32_e64 v24, 0, v24, s11
	v_add_nc_u32_e32 v23, v23, v24
	ds_store_b32 v0, v23
.LBB83_6:                               ;   in Loop: Header=BB83_2 Depth=1
	s_or_b32 exec_lo, exec_lo, s13
	s_waitcnt lgkmcnt(0)
	s_barrier
	buffer_gl0_inv
                                        ; implicit-def: $vgpr23
	s_and_saveexec_b32 s13, s6
	s_cbranch_execz .LBB83_1
; %bb.7:                                ;   in Loop: Header=BB83_2 Depth=1
	ds_load_b32 v23, v21
	s_waitcnt lgkmcnt(0)
	v_add_nc_u32_e32 v22, v23, v22
	s_branch .LBB83_1
.LBB83_8:
	v_add_co_u32 v17, vcc_lo, s18, v17
	v_add_co_ci_u32_e32 v18, vcc_lo, s19, v18, vcc_lo
	s_clause 0x3
	global_store_b128 v[17:18], v[13:16], off
	global_store_b128 v[17:18], v[9:12], off offset:16
	global_store_b128 v[17:18], v[5:8], off offset:32
	;; [unrolled: 1-line block ×3, first 2 shown]
	s_nop 0
	s_sendmsg sendmsg(MSG_DEALLOC_VGPRS)
	s_endpgm
	.section	.rodata,"a",@progbits
	.p2align	6, 0x0
	.amdhsa_kernel _Z6kernelI14inclusive_scanILN6hipcub18BlockScanAlgorithmE0EEiLj256ELj16ELj100EEvPKT0_PS4_S4_
		.amdhsa_group_segment_fixed_size 32
		.amdhsa_private_segment_fixed_size 0
		.amdhsa_kernarg_size 280
		.amdhsa_user_sgpr_count 15
		.amdhsa_user_sgpr_dispatch_ptr 0
		.amdhsa_user_sgpr_queue_ptr 0
		.amdhsa_user_sgpr_kernarg_segment_ptr 1
		.amdhsa_user_sgpr_dispatch_id 0
		.amdhsa_user_sgpr_private_segment_size 0
		.amdhsa_wavefront_size32 1
		.amdhsa_uses_dynamic_stack 0
		.amdhsa_enable_private_segment 0
		.amdhsa_system_sgpr_workgroup_id_x 1
		.amdhsa_system_sgpr_workgroup_id_y 0
		.amdhsa_system_sgpr_workgroup_id_z 0
		.amdhsa_system_sgpr_workgroup_info 0
		.amdhsa_system_vgpr_workitem_id 0
		.amdhsa_next_free_vgpr 25
		.amdhsa_next_free_sgpr 20
		.amdhsa_reserve_vcc 1
		.amdhsa_float_round_mode_32 0
		.amdhsa_float_round_mode_16_64 0
		.amdhsa_float_denorm_mode_32 3
		.amdhsa_float_denorm_mode_16_64 3
		.amdhsa_dx10_clamp 1
		.amdhsa_ieee_mode 1
		.amdhsa_fp16_overflow 0
		.amdhsa_workgroup_processor_mode 1
		.amdhsa_memory_ordered 1
		.amdhsa_forward_progress 0
		.amdhsa_shared_vgpr_count 0
		.amdhsa_exception_fp_ieee_invalid_op 0
		.amdhsa_exception_fp_denorm_src 0
		.amdhsa_exception_fp_ieee_div_zero 0
		.amdhsa_exception_fp_ieee_overflow 0
		.amdhsa_exception_fp_ieee_underflow 0
		.amdhsa_exception_fp_ieee_inexact 0
		.amdhsa_exception_int_div_zero 0
	.end_amdhsa_kernel
	.section	.text._Z6kernelI14inclusive_scanILN6hipcub18BlockScanAlgorithmE0EEiLj256ELj16ELj100EEvPKT0_PS4_S4_,"axG",@progbits,_Z6kernelI14inclusive_scanILN6hipcub18BlockScanAlgorithmE0EEiLj256ELj16ELj100EEvPKT0_PS4_S4_,comdat
.Lfunc_end83:
	.size	_Z6kernelI14inclusive_scanILN6hipcub18BlockScanAlgorithmE0EEiLj256ELj16ELj100EEvPKT0_PS4_S4_, .Lfunc_end83-_Z6kernelI14inclusive_scanILN6hipcub18BlockScanAlgorithmE0EEiLj256ELj16ELj100EEvPKT0_PS4_S4_
                                        ; -- End function
	.section	.AMDGPU.csdata,"",@progbits
; Kernel info:
; codeLenInByte = 888
; NumSgprs: 22
; NumVgprs: 25
; ScratchSize: 0
; MemoryBound: 0
; FloatMode: 240
; IeeeMode: 1
; LDSByteSize: 32 bytes/workgroup (compile time only)
; SGPRBlocks: 2
; VGPRBlocks: 3
; NumSGPRsForWavesPerEU: 22
; NumVGPRsForWavesPerEU: 25
; Occupancy: 16
; WaveLimiterHint : 0
; COMPUTE_PGM_RSRC2:SCRATCH_EN: 0
; COMPUTE_PGM_RSRC2:USER_SGPR: 15
; COMPUTE_PGM_RSRC2:TRAP_HANDLER: 0
; COMPUTE_PGM_RSRC2:TGID_X_EN: 1
; COMPUTE_PGM_RSRC2:TGID_Y_EN: 0
; COMPUTE_PGM_RSRC2:TGID_Z_EN: 0
; COMPUTE_PGM_RSRC2:TIDIG_COMP_CNT: 0
	.section	.text._Z6kernelI14inclusive_scanILN6hipcub18BlockScanAlgorithmE0EEfLj256ELj1ELj100EEvPKT0_PS4_S4_,"axG",@progbits,_Z6kernelI14inclusive_scanILN6hipcub18BlockScanAlgorithmE0EEfLj256ELj1ELj100EEvPKT0_PS4_S4_,comdat
	.protected	_Z6kernelI14inclusive_scanILN6hipcub18BlockScanAlgorithmE0EEfLj256ELj1ELj100EEvPKT0_PS4_S4_ ; -- Begin function _Z6kernelI14inclusive_scanILN6hipcub18BlockScanAlgorithmE0EEfLj256ELj1ELj100EEvPKT0_PS4_S4_
	.globl	_Z6kernelI14inclusive_scanILN6hipcub18BlockScanAlgorithmE0EEfLj256ELj1ELj100EEvPKT0_PS4_S4_
	.p2align	8
	.type	_Z6kernelI14inclusive_scanILN6hipcub18BlockScanAlgorithmE0EEfLj256ELj1ELj100EEvPKT0_PS4_S4_,@function
_Z6kernelI14inclusive_scanILN6hipcub18BlockScanAlgorithmE0EEfLj256ELj1ELj100EEvPKT0_PS4_S4_: ; @_Z6kernelI14inclusive_scanILN6hipcub18BlockScanAlgorithmE0EEfLj256ELj1ELj100EEvPKT0_PS4_S4_
; %bb.0:
	s_clause 0x1
	s_load_b32 s2, s[0:1], 0x24
	s_load_b128 s[8:11], s[0:1], 0x0
	v_or_b32_e32 v7, 31, v0
	v_cmp_gt_u32_e64 s5, 8, v0
	v_cmp_lt_u32_e64 s6, 31, v0
	s_movk_i32 s12, 0x64
	s_delay_alu instid0(VALU_DEP_3) | instskip(SKIP_2) | instid1(SALU_CYCLE_1)
	v_cmp_eq_u32_e64 s4, v7, v0
	s_waitcnt lgkmcnt(0)
	s_and_b32 s0, s2, 0xffff
	v_mad_u64_u32 v[1:2], null, s15, s0, v[0:1]
	v_mov_b32_e32 v2, 0
	s_delay_alu instid0(VALU_DEP_1) | instskip(NEXT) | instid1(VALU_DEP_1)
	v_lshlrev_b64 v[1:2], 2, v[1:2]
	v_add_co_u32 v3, vcc_lo, s8, v1
	s_delay_alu instid0(VALU_DEP_2) | instskip(SKIP_2) | instid1(VALU_DEP_1)
	v_add_co_ci_u32_e32 v4, vcc_lo, s9, v2, vcc_lo
	global_load_b32 v3, v[3:4], off
	v_mbcnt_lo_u32_b32 v4, -1, 0
	v_and_b32_e32 v5, 15, v4
	v_and_b32_e32 v6, 16, v4
	s_delay_alu instid0(VALU_DEP_2)
	v_cmp_eq_u32_e32 vcc_lo, 0, v5
	v_cmp_lt_u32_e64 s0, 1, v5
	v_cmp_lt_u32_e64 s1, 3, v5
	;; [unrolled: 1-line block ×3, first 2 shown]
	v_lshrrev_b32_e32 v5, 3, v0
	v_cmp_eq_u32_e64 s3, 0, v6
	v_and_b32_e32 v6, 7, v4
	v_lshlrev_b32_e32 v0, 2, v0
	s_delay_alu instid0(VALU_DEP_4) | instskip(NEXT) | instid1(VALU_DEP_3)
	v_and_b32_e32 v4, 28, v5
	v_cmp_eq_u32_e64 s7, 0, v6
	v_cmp_lt_u32_e64 s8, 1, v6
	v_cmp_lt_u32_e64 s9, 3, v6
	s_delay_alu instid0(VALU_DEP_4)
	v_add_nc_u32_e32 v5, -4, v4
	s_branch .LBB84_2
.LBB84_1:                               ;   in Loop: Header=BB84_2 Depth=1
	s_or_b32 exec_lo, exec_lo, s13
	s_add_i32 s12, s12, -1
	s_delay_alu instid0(SALU_CYCLE_1)
	s_cmp_lg_u32 s12, 0
	s_cbranch_scc0 .LBB84_8
.LBB84_2:                               ; =>This Inner Loop Header: Depth=1
	s_waitcnt vmcnt(0)
	v_mov_b32_dpp v6, v3 row_shr:1 row_mask:0xf bank_mask:0xf
	s_delay_alu instid0(VALU_DEP_1) | instskip(NEXT) | instid1(VALU_DEP_1)
	v_add_f32_e32 v6, v3, v6
	v_cndmask_b32_e32 v3, v6, v3, vcc_lo
	s_delay_alu instid0(VALU_DEP_1) | instskip(NEXT) | instid1(VALU_DEP_1)
	v_mov_b32_dpp v6, v3 row_shr:2 row_mask:0xf bank_mask:0xf
	v_add_f32_e32 v6, v3, v6
	s_delay_alu instid0(VALU_DEP_1) | instskip(NEXT) | instid1(VALU_DEP_1)
	v_cndmask_b32_e64 v3, v3, v6, s0
	v_mov_b32_dpp v6, v3 row_shr:4 row_mask:0xf bank_mask:0xf
	s_delay_alu instid0(VALU_DEP_1) | instskip(NEXT) | instid1(VALU_DEP_1)
	v_add_f32_e32 v6, v3, v6
	v_cndmask_b32_e64 v3, v3, v6, s1
	s_delay_alu instid0(VALU_DEP_1) | instskip(NEXT) | instid1(VALU_DEP_1)
	v_mov_b32_dpp v6, v3 row_shr:8 row_mask:0xf bank_mask:0xf
	v_add_f32_e32 v6, v3, v6
	s_delay_alu instid0(VALU_DEP_1) | instskip(SKIP_3) | instid1(VALU_DEP_1)
	v_cndmask_b32_e64 v3, v3, v6, s2
	ds_swizzle_b32 v6, v3 offset:swizzle(BROADCAST,32,15)
	s_waitcnt lgkmcnt(0)
	v_add_f32_e32 v6, v3, v6
	v_cndmask_b32_e64 v3, v6, v3, s3
	s_and_saveexec_b32 s13, s4
	s_cbranch_execz .LBB84_4
; %bb.3:                                ;   in Loop: Header=BB84_2 Depth=1
	ds_store_b32 v4, v3
.LBB84_4:                               ;   in Loop: Header=BB84_2 Depth=1
	s_or_b32 exec_lo, exec_lo, s13
	s_waitcnt lgkmcnt(0)
	s_barrier
	buffer_gl0_inv
	s_and_saveexec_b32 s13, s5
	s_cbranch_execz .LBB84_6
; %bb.5:                                ;   in Loop: Header=BB84_2 Depth=1
	ds_load_b32 v6, v0
	s_waitcnt lgkmcnt(0)
	v_mov_b32_dpp v7, v6 row_shr:1 row_mask:0xf bank_mask:0xf
	s_delay_alu instid0(VALU_DEP_1) | instskip(NEXT) | instid1(VALU_DEP_1)
	v_add_f32_e32 v7, v6, v7
	v_cndmask_b32_e64 v6, v7, v6, s7
	s_delay_alu instid0(VALU_DEP_1) | instskip(NEXT) | instid1(VALU_DEP_1)
	v_mov_b32_dpp v7, v6 row_shr:2 row_mask:0xf bank_mask:0xf
	v_add_f32_e32 v7, v6, v7
	s_delay_alu instid0(VALU_DEP_1) | instskip(NEXT) | instid1(VALU_DEP_1)
	v_cndmask_b32_e64 v6, v6, v7, s8
	v_mov_b32_dpp v7, v6 row_shr:4 row_mask:0xf bank_mask:0xf
	s_delay_alu instid0(VALU_DEP_1) | instskip(NEXT) | instid1(VALU_DEP_1)
	v_add_f32_e32 v7, v6, v7
	v_cndmask_b32_e64 v6, v6, v7, s9
	ds_store_b32 v0, v6
.LBB84_6:                               ;   in Loop: Header=BB84_2 Depth=1
	s_or_b32 exec_lo, exec_lo, s13
	s_waitcnt lgkmcnt(0)
	s_barrier
	buffer_gl0_inv
	s_and_saveexec_b32 s13, s6
	s_cbranch_execz .LBB84_1
; %bb.7:                                ;   in Loop: Header=BB84_2 Depth=1
	ds_load_b32 v6, v5
	s_waitcnt lgkmcnt(0)
	v_add_f32_e32 v3, v3, v6
	s_branch .LBB84_1
.LBB84_8:
	v_add_co_u32 v0, vcc_lo, s10, v1
	v_add_co_ci_u32_e32 v1, vcc_lo, s11, v2, vcc_lo
	global_store_b32 v[0:1], v3, off
	s_nop 0
	s_sendmsg sendmsg(MSG_DEALLOC_VGPRS)
	s_endpgm
	.section	.rodata,"a",@progbits
	.p2align	6, 0x0
	.amdhsa_kernel _Z6kernelI14inclusive_scanILN6hipcub18BlockScanAlgorithmE0EEfLj256ELj1ELj100EEvPKT0_PS4_S4_
		.amdhsa_group_segment_fixed_size 32
		.amdhsa_private_segment_fixed_size 0
		.amdhsa_kernarg_size 280
		.amdhsa_user_sgpr_count 15
		.amdhsa_user_sgpr_dispatch_ptr 0
		.amdhsa_user_sgpr_queue_ptr 0
		.amdhsa_user_sgpr_kernarg_segment_ptr 1
		.amdhsa_user_sgpr_dispatch_id 0
		.amdhsa_user_sgpr_private_segment_size 0
		.amdhsa_wavefront_size32 1
		.amdhsa_uses_dynamic_stack 0
		.amdhsa_enable_private_segment 0
		.amdhsa_system_sgpr_workgroup_id_x 1
		.amdhsa_system_sgpr_workgroup_id_y 0
		.amdhsa_system_sgpr_workgroup_id_z 0
		.amdhsa_system_sgpr_workgroup_info 0
		.amdhsa_system_vgpr_workitem_id 0
		.amdhsa_next_free_vgpr 8
		.amdhsa_next_free_sgpr 16
		.amdhsa_reserve_vcc 1
		.amdhsa_float_round_mode_32 0
		.amdhsa_float_round_mode_16_64 0
		.amdhsa_float_denorm_mode_32 3
		.amdhsa_float_denorm_mode_16_64 3
		.amdhsa_dx10_clamp 1
		.amdhsa_ieee_mode 1
		.amdhsa_fp16_overflow 0
		.amdhsa_workgroup_processor_mode 1
		.amdhsa_memory_ordered 1
		.amdhsa_forward_progress 0
		.amdhsa_shared_vgpr_count 0
		.amdhsa_exception_fp_ieee_invalid_op 0
		.amdhsa_exception_fp_denorm_src 0
		.amdhsa_exception_fp_ieee_div_zero 0
		.amdhsa_exception_fp_ieee_overflow 0
		.amdhsa_exception_fp_ieee_underflow 0
		.amdhsa_exception_fp_ieee_inexact 0
		.amdhsa_exception_int_div_zero 0
	.end_amdhsa_kernel
	.section	.text._Z6kernelI14inclusive_scanILN6hipcub18BlockScanAlgorithmE0EEfLj256ELj1ELj100EEvPKT0_PS4_S4_,"axG",@progbits,_Z6kernelI14inclusive_scanILN6hipcub18BlockScanAlgorithmE0EEfLj256ELj1ELj100EEvPKT0_PS4_S4_,comdat
.Lfunc_end84:
	.size	_Z6kernelI14inclusive_scanILN6hipcub18BlockScanAlgorithmE0EEfLj256ELj1ELj100EEvPKT0_PS4_S4_, .Lfunc_end84-_Z6kernelI14inclusive_scanILN6hipcub18BlockScanAlgorithmE0EEfLj256ELj1ELj100EEvPKT0_PS4_S4_
                                        ; -- End function
	.section	.AMDGPU.csdata,"",@progbits
; Kernel info:
; codeLenInByte = 596
; NumSgprs: 18
; NumVgprs: 8
; ScratchSize: 0
; MemoryBound: 0
; FloatMode: 240
; IeeeMode: 1
; LDSByteSize: 32 bytes/workgroup (compile time only)
; SGPRBlocks: 2
; VGPRBlocks: 0
; NumSGPRsForWavesPerEU: 18
; NumVGPRsForWavesPerEU: 8
; Occupancy: 16
; WaveLimiterHint : 0
; COMPUTE_PGM_RSRC2:SCRATCH_EN: 0
; COMPUTE_PGM_RSRC2:USER_SGPR: 15
; COMPUTE_PGM_RSRC2:TRAP_HANDLER: 0
; COMPUTE_PGM_RSRC2:TGID_X_EN: 1
; COMPUTE_PGM_RSRC2:TGID_Y_EN: 0
; COMPUTE_PGM_RSRC2:TGID_Z_EN: 0
; COMPUTE_PGM_RSRC2:TIDIG_COMP_CNT: 0
	.section	.text._Z6kernelI14inclusive_scanILN6hipcub18BlockScanAlgorithmE0EEfLj256ELj3ELj100EEvPKT0_PS4_S4_,"axG",@progbits,_Z6kernelI14inclusive_scanILN6hipcub18BlockScanAlgorithmE0EEfLj256ELj3ELj100EEvPKT0_PS4_S4_,comdat
	.protected	_Z6kernelI14inclusive_scanILN6hipcub18BlockScanAlgorithmE0EEfLj256ELj3ELj100EEvPKT0_PS4_S4_ ; -- Begin function _Z6kernelI14inclusive_scanILN6hipcub18BlockScanAlgorithmE0EEfLj256ELj3ELj100EEvPKT0_PS4_S4_
	.globl	_Z6kernelI14inclusive_scanILN6hipcub18BlockScanAlgorithmE0EEfLj256ELj3ELj100EEvPKT0_PS4_S4_
	.p2align	8
	.type	_Z6kernelI14inclusive_scanILN6hipcub18BlockScanAlgorithmE0EEfLj256ELj3ELj100EEvPKT0_PS4_S4_,@function
_Z6kernelI14inclusive_scanILN6hipcub18BlockScanAlgorithmE0EEfLj256ELj3ELj100EEvPKT0_PS4_S4_: ; @_Z6kernelI14inclusive_scanILN6hipcub18BlockScanAlgorithmE0EEfLj256ELj3ELj100EEvPKT0_PS4_S4_
; %bb.0:
	s_load_b32 s2, s[0:1], 0x24
	v_or_b32_e32 v14, 31, v0
	v_cmp_gt_u32_e64 s5, 8, v0
	v_cmp_lt_u32_e64 s6, 31, v0
	v_cmp_eq_u32_e64 s7, 0, v0
	s_waitcnt lgkmcnt(0)
	s_and_b32 s2, s2, 0xffff
	s_delay_alu instid0(SALU_CYCLE_1) | instskip(SKIP_1) | instid1(VALU_DEP_1)
	v_mad_u64_u32 v[1:2], null, s15, s2, v[0:1]
	s_load_b128 s[12:15], s[0:1], 0x0
	v_lshl_add_u32 v3, v1, 1, v1
	s_delay_alu instid0(VALU_DEP_1) | instskip(NEXT) | instid1(VALU_DEP_1)
	v_dual_mov_b32 v4, 0 :: v_dual_add_nc_u32 v5, 1, v3
	v_mov_b32_e32 v6, v4
	v_lshlrev_b64 v[1:2], 2, v[3:4]
	v_add_nc_u32_e32 v3, 2, v3
	s_delay_alu instid0(VALU_DEP_3) | instskip(NEXT) | instid1(VALU_DEP_2)
	v_lshlrev_b64 v[5:6], 2, v[5:6]
	v_lshlrev_b64 v[3:4], 2, v[3:4]
	s_waitcnt lgkmcnt(0)
	s_delay_alu instid0(VALU_DEP_4) | instskip(SKIP_1) | instid1(VALU_DEP_4)
	v_add_co_u32 v7, vcc_lo, s12, v1
	v_add_co_ci_u32_e32 v8, vcc_lo, s13, v2, vcc_lo
	v_add_co_u32 v9, vcc_lo, s12, v5
	v_add_co_ci_u32_e32 v10, vcc_lo, s13, v6, vcc_lo
	;; [unrolled: 2-line block ×3, first 2 shown]
	s_clause 0x2
	global_load_b32 v7, v[7:8], off
	global_load_b32 v8, v[9:10], off
	;; [unrolled: 1-line block ×3, first 2 shown]
	v_mbcnt_lo_u32_b32 v11, -1, 0
	s_movk_i32 s12, 0x64
	s_delay_alu instid0(VALU_DEP_1) | instskip(SKIP_3) | instid1(VALU_DEP_4)
	v_and_b32_e32 v12, 16, v11
	v_add_nc_u32_e32 v13, -1, v11
	v_and_b32_e32 v10, 15, v11
	v_cmp_eq_u32_e64 s8, 0, v11
	v_cmp_eq_u32_e64 s3, 0, v12
	s_delay_alu instid0(VALU_DEP_4)
	v_cmp_gt_i32_e64 s4, 0, v13
	v_lshrrev_b32_e32 v12, 3, v0
	v_cmp_eq_u32_e32 vcc_lo, 0, v10
	v_cmp_lt_u32_e64 s0, 1, v10
	v_cmp_lt_u32_e64 s1, 3, v10
	;; [unrolled: 1-line block ×3, first 2 shown]
	v_cndmask_b32_e64 v10, v13, v11, s4
	v_and_b32_e32 v13, 7, v11
	v_and_b32_e32 v11, 28, v12
	v_cmp_eq_u32_e64 s4, v14, v0
	v_lshlrev_b32_e32 v0, 2, v0
	v_lshlrev_b32_e32 v10, 2, v10
	v_cmp_eq_u32_e64 s9, 0, v13
	v_cmp_lt_u32_e64 s10, 1, v13
	v_cmp_lt_u32_e64 s11, 3, v13
	v_add_nc_u32_e32 v12, -4, v11
	s_branch .LBB85_2
.LBB85_1:                               ;   in Loop: Header=BB85_2 Depth=1
	s_or_b32 exec_lo, exec_lo, s13
	ds_bpermute_b32 v13, v10, v13
	s_add_i32 s12, s12, -1
	s_delay_alu instid0(SALU_CYCLE_1) | instskip(SKIP_2) | instid1(VALU_DEP_1)
	s_cmp_lg_u32 s12, 0
	s_waitcnt lgkmcnt(0)
	v_cndmask_b32_e64 v13, v13, v14, s8
	v_add_f32_e32 v13, v7, v13
	s_delay_alu instid0(VALU_DEP_1) | instskip(NEXT) | instid1(VALU_DEP_1)
	v_cndmask_b32_e64 v7, v13, v7, s7
	v_add_f32_e32 v8, v8, v7
	s_delay_alu instid0(VALU_DEP_1)
	v_add_f32_e32 v9, v9, v8
	s_cbranch_scc0 .LBB85_8
.LBB85_2:                               ; =>This Inner Loop Header: Depth=1
	s_waitcnt vmcnt(1)
	v_add_f32_e32 v13, v7, v8
	s_waitcnt vmcnt(0)
	s_delay_alu instid0(VALU_DEP_1) | instskip(NEXT) | instid1(VALU_DEP_1)
	v_add_f32_e32 v13, v9, v13
	v_mov_b32_dpp v14, v13 row_shr:1 row_mask:0xf bank_mask:0xf
	s_delay_alu instid0(VALU_DEP_1) | instskip(NEXT) | instid1(VALU_DEP_1)
	v_add_f32_e32 v14, v13, v14
	v_cndmask_b32_e32 v13, v14, v13, vcc_lo
	s_delay_alu instid0(VALU_DEP_1) | instskip(NEXT) | instid1(VALU_DEP_1)
	v_mov_b32_dpp v14, v13 row_shr:2 row_mask:0xf bank_mask:0xf
	v_add_f32_e32 v14, v13, v14
	s_delay_alu instid0(VALU_DEP_1) | instskip(NEXT) | instid1(VALU_DEP_1)
	v_cndmask_b32_e64 v13, v13, v14, s0
	v_mov_b32_dpp v14, v13 row_shr:4 row_mask:0xf bank_mask:0xf
	s_delay_alu instid0(VALU_DEP_1) | instskip(NEXT) | instid1(VALU_DEP_1)
	v_add_f32_e32 v14, v13, v14
	v_cndmask_b32_e64 v13, v13, v14, s1
	s_delay_alu instid0(VALU_DEP_1) | instskip(NEXT) | instid1(VALU_DEP_1)
	v_mov_b32_dpp v14, v13 row_shr:8 row_mask:0xf bank_mask:0xf
	v_add_f32_e32 v14, v13, v14
	s_delay_alu instid0(VALU_DEP_1) | instskip(SKIP_3) | instid1(VALU_DEP_1)
	v_cndmask_b32_e64 v13, v13, v14, s2
	ds_swizzle_b32 v14, v13 offset:swizzle(BROADCAST,32,15)
	s_waitcnt lgkmcnt(0)
	v_add_f32_e32 v14, v13, v14
	v_cndmask_b32_e64 v13, v14, v13, s3
	s_and_saveexec_b32 s13, s4
	s_cbranch_execz .LBB85_4
; %bb.3:                                ;   in Loop: Header=BB85_2 Depth=1
	ds_store_b32 v11, v13
.LBB85_4:                               ;   in Loop: Header=BB85_2 Depth=1
	s_or_b32 exec_lo, exec_lo, s13
	s_waitcnt lgkmcnt(0)
	s_barrier
	buffer_gl0_inv
	s_and_saveexec_b32 s13, s5
	s_cbranch_execz .LBB85_6
; %bb.5:                                ;   in Loop: Header=BB85_2 Depth=1
	ds_load_b32 v14, v0
	s_waitcnt lgkmcnt(0)
	v_mov_b32_dpp v15, v14 row_shr:1 row_mask:0xf bank_mask:0xf
	s_delay_alu instid0(VALU_DEP_1) | instskip(NEXT) | instid1(VALU_DEP_1)
	v_add_f32_e32 v15, v14, v15
	v_cndmask_b32_e64 v14, v15, v14, s9
	s_delay_alu instid0(VALU_DEP_1) | instskip(NEXT) | instid1(VALU_DEP_1)
	v_mov_b32_dpp v15, v14 row_shr:2 row_mask:0xf bank_mask:0xf
	v_add_f32_e32 v15, v14, v15
	s_delay_alu instid0(VALU_DEP_1) | instskip(NEXT) | instid1(VALU_DEP_1)
	v_cndmask_b32_e64 v14, v14, v15, s10
	v_mov_b32_dpp v15, v14 row_shr:4 row_mask:0xf bank_mask:0xf
	s_delay_alu instid0(VALU_DEP_1) | instskip(NEXT) | instid1(VALU_DEP_1)
	v_add_f32_e32 v15, v14, v15
	v_cndmask_b32_e64 v14, v14, v15, s11
	ds_store_b32 v0, v14
.LBB85_6:                               ;   in Loop: Header=BB85_2 Depth=1
	s_or_b32 exec_lo, exec_lo, s13
	s_waitcnt lgkmcnt(0)
	s_barrier
	buffer_gl0_inv
                                        ; implicit-def: $vgpr14
	s_and_saveexec_b32 s13, s6
	s_cbranch_execz .LBB85_1
; %bb.7:                                ;   in Loop: Header=BB85_2 Depth=1
	ds_load_b32 v14, v12
	s_waitcnt lgkmcnt(0)
	v_add_f32_e32 v13, v13, v14
	s_branch .LBB85_1
.LBB85_8:
	v_add_co_u32 v0, vcc_lo, s14, v1
	v_add_co_ci_u32_e32 v1, vcc_lo, s15, v2, vcc_lo
	v_add_co_u32 v5, vcc_lo, s14, v5
	v_add_co_ci_u32_e32 v6, vcc_lo, s15, v6, vcc_lo
	;; [unrolled: 2-line block ×3, first 2 shown]
	s_clause 0x2
	global_store_b32 v[0:1], v7, off
	global_store_b32 v[5:6], v8, off
	;; [unrolled: 1-line block ×3, first 2 shown]
	s_nop 0
	s_sendmsg sendmsg(MSG_DEALLOC_VGPRS)
	s_endpgm
	.section	.rodata,"a",@progbits
	.p2align	6, 0x0
	.amdhsa_kernel _Z6kernelI14inclusive_scanILN6hipcub18BlockScanAlgorithmE0EEfLj256ELj3ELj100EEvPKT0_PS4_S4_
		.amdhsa_group_segment_fixed_size 32
		.amdhsa_private_segment_fixed_size 0
		.amdhsa_kernarg_size 280
		.amdhsa_user_sgpr_count 15
		.amdhsa_user_sgpr_dispatch_ptr 0
		.amdhsa_user_sgpr_queue_ptr 0
		.amdhsa_user_sgpr_kernarg_segment_ptr 1
		.amdhsa_user_sgpr_dispatch_id 0
		.amdhsa_user_sgpr_private_segment_size 0
		.amdhsa_wavefront_size32 1
		.amdhsa_uses_dynamic_stack 0
		.amdhsa_enable_private_segment 0
		.amdhsa_system_sgpr_workgroup_id_x 1
		.amdhsa_system_sgpr_workgroup_id_y 0
		.amdhsa_system_sgpr_workgroup_id_z 0
		.amdhsa_system_sgpr_workgroup_info 0
		.amdhsa_system_vgpr_workitem_id 0
		.amdhsa_next_free_vgpr 16
		.amdhsa_next_free_sgpr 16
		.amdhsa_reserve_vcc 1
		.amdhsa_float_round_mode_32 0
		.amdhsa_float_round_mode_16_64 0
		.amdhsa_float_denorm_mode_32 3
		.amdhsa_float_denorm_mode_16_64 3
		.amdhsa_dx10_clamp 1
		.amdhsa_ieee_mode 1
		.amdhsa_fp16_overflow 0
		.amdhsa_workgroup_processor_mode 1
		.amdhsa_memory_ordered 1
		.amdhsa_forward_progress 0
		.amdhsa_shared_vgpr_count 0
		.amdhsa_exception_fp_ieee_invalid_op 0
		.amdhsa_exception_fp_denorm_src 0
		.amdhsa_exception_fp_ieee_div_zero 0
		.amdhsa_exception_fp_ieee_overflow 0
		.amdhsa_exception_fp_ieee_underflow 0
		.amdhsa_exception_fp_ieee_inexact 0
		.amdhsa_exception_int_div_zero 0
	.end_amdhsa_kernel
	.section	.text._Z6kernelI14inclusive_scanILN6hipcub18BlockScanAlgorithmE0EEfLj256ELj3ELj100EEvPKT0_PS4_S4_,"axG",@progbits,_Z6kernelI14inclusive_scanILN6hipcub18BlockScanAlgorithmE0EEfLj256ELj3ELj100EEvPKT0_PS4_S4_,comdat
.Lfunc_end85:
	.size	_Z6kernelI14inclusive_scanILN6hipcub18BlockScanAlgorithmE0EEfLj256ELj3ELj100EEvPKT0_PS4_S4_, .Lfunc_end85-_Z6kernelI14inclusive_scanILN6hipcub18BlockScanAlgorithmE0EEfLj256ELj3ELj100EEvPKT0_PS4_S4_
                                        ; -- End function
	.section	.AMDGPU.csdata,"",@progbits
; Kernel info:
; codeLenInByte = 824
; NumSgprs: 18
; NumVgprs: 16
; ScratchSize: 0
; MemoryBound: 0
; FloatMode: 240
; IeeeMode: 1
; LDSByteSize: 32 bytes/workgroup (compile time only)
; SGPRBlocks: 2
; VGPRBlocks: 1
; NumSGPRsForWavesPerEU: 18
; NumVGPRsForWavesPerEU: 16
; Occupancy: 16
; WaveLimiterHint : 0
; COMPUTE_PGM_RSRC2:SCRATCH_EN: 0
; COMPUTE_PGM_RSRC2:USER_SGPR: 15
; COMPUTE_PGM_RSRC2:TRAP_HANDLER: 0
; COMPUTE_PGM_RSRC2:TGID_X_EN: 1
; COMPUTE_PGM_RSRC2:TGID_Y_EN: 0
; COMPUTE_PGM_RSRC2:TGID_Z_EN: 0
; COMPUTE_PGM_RSRC2:TIDIG_COMP_CNT: 0
	.section	.text._Z6kernelI14inclusive_scanILN6hipcub18BlockScanAlgorithmE0EEfLj256ELj4ELj100EEvPKT0_PS4_S4_,"axG",@progbits,_Z6kernelI14inclusive_scanILN6hipcub18BlockScanAlgorithmE0EEfLj256ELj4ELj100EEvPKT0_PS4_S4_,comdat
	.protected	_Z6kernelI14inclusive_scanILN6hipcub18BlockScanAlgorithmE0EEfLj256ELj4ELj100EEvPKT0_PS4_S4_ ; -- Begin function _Z6kernelI14inclusive_scanILN6hipcub18BlockScanAlgorithmE0EEfLj256ELj4ELj100EEvPKT0_PS4_S4_
	.globl	_Z6kernelI14inclusive_scanILN6hipcub18BlockScanAlgorithmE0EEfLj256ELj4ELj100EEvPKT0_PS4_S4_
	.p2align	8
	.type	_Z6kernelI14inclusive_scanILN6hipcub18BlockScanAlgorithmE0EEfLj256ELj4ELj100EEvPKT0_PS4_S4_,@function
_Z6kernelI14inclusive_scanILN6hipcub18BlockScanAlgorithmE0EEfLj256ELj4ELj100EEvPKT0_PS4_S4_: ; @_Z6kernelI14inclusive_scanILN6hipcub18BlockScanAlgorithmE0EEfLj256ELj4ELj100EEvPKT0_PS4_S4_
; %bb.0:
	s_clause 0x1
	s_load_b32 s2, s[0:1], 0x24
	s_load_b128 s[16:19], s[0:1], 0x0
	v_mbcnt_lo_u32_b32 v8, -1, 0
	v_mov_b32_e32 v2, 0
	v_or_b32_e32 v11, 31, v0
	v_cmp_gt_u32_e64 s5, 8, v0
	v_cmp_lt_u32_e64 s6, 31, v0
	v_and_b32_e32 v7, 15, v8
	v_and_b32_e32 v9, 16, v8
	v_add_nc_u32_e32 v10, -1, v8
	v_cmp_eq_u32_e64 s8, 0, v8
	v_cmp_eq_u32_e64 s7, 0, v0
	v_cmp_lt_u32_e64 s1, 3, v7
	v_cmp_eq_u32_e64 s3, 0, v9
	v_cmp_gt_i32_e64 s4, 0, v10
	v_lshrrev_b32_e32 v9, 3, v0
	s_movk_i32 s12, 0x64
	s_waitcnt lgkmcnt(0)
	s_and_b32 s0, s2, 0xffff
	v_cmp_lt_u32_e64 s2, 7, v7
	s_mul_i32 s15, s15, s0
	v_cmp_lt_u32_e64 s0, 1, v7
	v_add_lshl_u32 v1, s15, v0, 2
	s_delay_alu instid0(VALU_DEP_1) | instskip(NEXT) | instid1(VALU_DEP_1)
	v_lshlrev_b64 v[5:6], 2, v[1:2]
	v_add_co_u32 v1, vcc_lo, s16, v5
	s_delay_alu instid0(VALU_DEP_2)
	v_add_co_ci_u32_e32 v2, vcc_lo, s17, v6, vcc_lo
	v_cmp_eq_u32_e32 vcc_lo, 0, v7
	v_cndmask_b32_e64 v7, v10, v8, s4
	v_and_b32_e32 v10, 7, v8
	global_load_b128 v[1:4], v[1:2], off
	v_and_b32_e32 v8, 28, v9
	v_cmp_eq_u32_e64 s4, v11, v0
	v_lshlrev_b32_e32 v7, 2, v7
	v_lshlrev_b32_e32 v0, 2, v0
	v_cmp_eq_u32_e64 s9, 0, v10
	v_cmp_lt_u32_e64 s10, 1, v10
	v_cmp_lt_u32_e64 s11, 3, v10
	v_add_nc_u32_e32 v9, -4, v8
	s_branch .LBB86_2
.LBB86_1:                               ;   in Loop: Header=BB86_2 Depth=1
	s_or_b32 exec_lo, exec_lo, s13
	ds_bpermute_b32 v10, v7, v10
	s_add_i32 s12, s12, -1
	s_delay_alu instid0(SALU_CYCLE_1) | instskip(SKIP_2) | instid1(VALU_DEP_1)
	s_cmp_lg_u32 s12, 0
	s_waitcnt lgkmcnt(0)
	v_cndmask_b32_e64 v10, v10, v11, s8
	v_add_f32_e32 v10, v1, v10
	s_delay_alu instid0(VALU_DEP_1) | instskip(NEXT) | instid1(VALU_DEP_1)
	v_cndmask_b32_e64 v1, v10, v1, s7
	v_add_f32_e32 v2, v2, v1
	s_delay_alu instid0(VALU_DEP_1) | instskip(NEXT) | instid1(VALU_DEP_1)
	v_add_f32_e32 v3, v3, v2
	v_add_f32_e32 v4, v4, v3
	s_cbranch_scc0 .LBB86_8
.LBB86_2:                               ; =>This Inner Loop Header: Depth=1
	s_waitcnt vmcnt(0)
	v_add_f32_e32 v10, v1, v2
	s_delay_alu instid0(VALU_DEP_1) | instskip(NEXT) | instid1(VALU_DEP_1)
	v_add_f32_e32 v10, v3, v10
	v_add_f32_e32 v10, v4, v10
	s_delay_alu instid0(VALU_DEP_1) | instskip(NEXT) | instid1(VALU_DEP_1)
	v_mov_b32_dpp v11, v10 row_shr:1 row_mask:0xf bank_mask:0xf
	v_add_f32_e32 v11, v10, v11
	s_delay_alu instid0(VALU_DEP_1) | instskip(NEXT) | instid1(VALU_DEP_1)
	v_cndmask_b32_e32 v10, v11, v10, vcc_lo
	v_mov_b32_dpp v11, v10 row_shr:2 row_mask:0xf bank_mask:0xf
	s_delay_alu instid0(VALU_DEP_1) | instskip(NEXT) | instid1(VALU_DEP_1)
	v_add_f32_e32 v11, v10, v11
	v_cndmask_b32_e64 v10, v10, v11, s0
	s_delay_alu instid0(VALU_DEP_1) | instskip(NEXT) | instid1(VALU_DEP_1)
	v_mov_b32_dpp v11, v10 row_shr:4 row_mask:0xf bank_mask:0xf
	v_add_f32_e32 v11, v10, v11
	s_delay_alu instid0(VALU_DEP_1) | instskip(NEXT) | instid1(VALU_DEP_1)
	v_cndmask_b32_e64 v10, v10, v11, s1
	v_mov_b32_dpp v11, v10 row_shr:8 row_mask:0xf bank_mask:0xf
	s_delay_alu instid0(VALU_DEP_1) | instskip(NEXT) | instid1(VALU_DEP_1)
	v_add_f32_e32 v11, v10, v11
	v_cndmask_b32_e64 v10, v10, v11, s2
	ds_swizzle_b32 v11, v10 offset:swizzle(BROADCAST,32,15)
	s_waitcnt lgkmcnt(0)
	v_add_f32_e32 v11, v10, v11
	s_delay_alu instid0(VALU_DEP_1)
	v_cndmask_b32_e64 v10, v11, v10, s3
	s_and_saveexec_b32 s13, s4
	s_cbranch_execz .LBB86_4
; %bb.3:                                ;   in Loop: Header=BB86_2 Depth=1
	ds_store_b32 v8, v10
.LBB86_4:                               ;   in Loop: Header=BB86_2 Depth=1
	s_or_b32 exec_lo, exec_lo, s13
	s_waitcnt lgkmcnt(0)
	s_barrier
	buffer_gl0_inv
	s_and_saveexec_b32 s13, s5
	s_cbranch_execz .LBB86_6
; %bb.5:                                ;   in Loop: Header=BB86_2 Depth=1
	ds_load_b32 v11, v0
	s_waitcnt lgkmcnt(0)
	v_mov_b32_dpp v12, v11 row_shr:1 row_mask:0xf bank_mask:0xf
	s_delay_alu instid0(VALU_DEP_1) | instskip(NEXT) | instid1(VALU_DEP_1)
	v_add_f32_e32 v12, v11, v12
	v_cndmask_b32_e64 v11, v12, v11, s9
	s_delay_alu instid0(VALU_DEP_1) | instskip(NEXT) | instid1(VALU_DEP_1)
	v_mov_b32_dpp v12, v11 row_shr:2 row_mask:0xf bank_mask:0xf
	v_add_f32_e32 v12, v11, v12
	s_delay_alu instid0(VALU_DEP_1) | instskip(NEXT) | instid1(VALU_DEP_1)
	v_cndmask_b32_e64 v11, v11, v12, s10
	v_mov_b32_dpp v12, v11 row_shr:4 row_mask:0xf bank_mask:0xf
	s_delay_alu instid0(VALU_DEP_1) | instskip(NEXT) | instid1(VALU_DEP_1)
	v_add_f32_e32 v12, v11, v12
	v_cndmask_b32_e64 v11, v11, v12, s11
	ds_store_b32 v0, v11
.LBB86_6:                               ;   in Loop: Header=BB86_2 Depth=1
	s_or_b32 exec_lo, exec_lo, s13
	s_waitcnt lgkmcnt(0)
	s_barrier
	buffer_gl0_inv
                                        ; implicit-def: $vgpr11
	s_and_saveexec_b32 s13, s6
	s_cbranch_execz .LBB86_1
; %bb.7:                                ;   in Loop: Header=BB86_2 Depth=1
	ds_load_b32 v11, v9
	s_waitcnt lgkmcnt(0)
	v_add_f32_e32 v10, v10, v11
	s_branch .LBB86_1
.LBB86_8:
	v_add_co_u32 v5, vcc_lo, s18, v5
	v_add_co_ci_u32_e32 v6, vcc_lo, s19, v6, vcc_lo
	global_store_b128 v[5:6], v[1:4], off
	s_nop 0
	s_sendmsg sendmsg(MSG_DEALLOC_VGPRS)
	s_endpgm
	.section	.rodata,"a",@progbits
	.p2align	6, 0x0
	.amdhsa_kernel _Z6kernelI14inclusive_scanILN6hipcub18BlockScanAlgorithmE0EEfLj256ELj4ELj100EEvPKT0_PS4_S4_
		.amdhsa_group_segment_fixed_size 32
		.amdhsa_private_segment_fixed_size 0
		.amdhsa_kernarg_size 280
		.amdhsa_user_sgpr_count 15
		.amdhsa_user_sgpr_dispatch_ptr 0
		.amdhsa_user_sgpr_queue_ptr 0
		.amdhsa_user_sgpr_kernarg_segment_ptr 1
		.amdhsa_user_sgpr_dispatch_id 0
		.amdhsa_user_sgpr_private_segment_size 0
		.amdhsa_wavefront_size32 1
		.amdhsa_uses_dynamic_stack 0
		.amdhsa_enable_private_segment 0
		.amdhsa_system_sgpr_workgroup_id_x 1
		.amdhsa_system_sgpr_workgroup_id_y 0
		.amdhsa_system_sgpr_workgroup_id_z 0
		.amdhsa_system_sgpr_workgroup_info 0
		.amdhsa_system_vgpr_workitem_id 0
		.amdhsa_next_free_vgpr 13
		.amdhsa_next_free_sgpr 20
		.amdhsa_reserve_vcc 1
		.amdhsa_float_round_mode_32 0
		.amdhsa_float_round_mode_16_64 0
		.amdhsa_float_denorm_mode_32 3
		.amdhsa_float_denorm_mode_16_64 3
		.amdhsa_dx10_clamp 1
		.amdhsa_ieee_mode 1
		.amdhsa_fp16_overflow 0
		.amdhsa_workgroup_processor_mode 1
		.amdhsa_memory_ordered 1
		.amdhsa_forward_progress 0
		.amdhsa_shared_vgpr_count 0
		.amdhsa_exception_fp_ieee_invalid_op 0
		.amdhsa_exception_fp_denorm_src 0
		.amdhsa_exception_fp_ieee_div_zero 0
		.amdhsa_exception_fp_ieee_overflow 0
		.amdhsa_exception_fp_ieee_underflow 0
		.amdhsa_exception_fp_ieee_inexact 0
		.amdhsa_exception_int_div_zero 0
	.end_amdhsa_kernel
	.section	.text._Z6kernelI14inclusive_scanILN6hipcub18BlockScanAlgorithmE0EEfLj256ELj4ELj100EEvPKT0_PS4_S4_,"axG",@progbits,_Z6kernelI14inclusive_scanILN6hipcub18BlockScanAlgorithmE0EEfLj256ELj4ELj100EEvPKT0_PS4_S4_,comdat
.Lfunc_end86:
	.size	_Z6kernelI14inclusive_scanILN6hipcub18BlockScanAlgorithmE0EEfLj256ELj4ELj100EEvPKT0_PS4_S4_, .Lfunc_end86-_Z6kernelI14inclusive_scanILN6hipcub18BlockScanAlgorithmE0EEfLj256ELj4ELj100EEvPKT0_PS4_S4_
                                        ; -- End function
	.section	.AMDGPU.csdata,"",@progbits
; Kernel info:
; codeLenInByte = 696
; NumSgprs: 22
; NumVgprs: 13
; ScratchSize: 0
; MemoryBound: 0
; FloatMode: 240
; IeeeMode: 1
; LDSByteSize: 32 bytes/workgroup (compile time only)
; SGPRBlocks: 2
; VGPRBlocks: 1
; NumSGPRsForWavesPerEU: 22
; NumVGPRsForWavesPerEU: 13
; Occupancy: 16
; WaveLimiterHint : 0
; COMPUTE_PGM_RSRC2:SCRATCH_EN: 0
; COMPUTE_PGM_RSRC2:USER_SGPR: 15
; COMPUTE_PGM_RSRC2:TRAP_HANDLER: 0
; COMPUTE_PGM_RSRC2:TGID_X_EN: 1
; COMPUTE_PGM_RSRC2:TGID_Y_EN: 0
; COMPUTE_PGM_RSRC2:TGID_Z_EN: 0
; COMPUTE_PGM_RSRC2:TIDIG_COMP_CNT: 0
	.section	.text._Z6kernelI14inclusive_scanILN6hipcub18BlockScanAlgorithmE0EEfLj256ELj8ELj100EEvPKT0_PS4_S4_,"axG",@progbits,_Z6kernelI14inclusive_scanILN6hipcub18BlockScanAlgorithmE0EEfLj256ELj8ELj100EEvPKT0_PS4_S4_,comdat
	.protected	_Z6kernelI14inclusive_scanILN6hipcub18BlockScanAlgorithmE0EEfLj256ELj8ELj100EEvPKT0_PS4_S4_ ; -- Begin function _Z6kernelI14inclusive_scanILN6hipcub18BlockScanAlgorithmE0EEfLj256ELj8ELj100EEvPKT0_PS4_S4_
	.globl	_Z6kernelI14inclusive_scanILN6hipcub18BlockScanAlgorithmE0EEfLj256ELj8ELj100EEvPKT0_PS4_S4_
	.p2align	8
	.type	_Z6kernelI14inclusive_scanILN6hipcub18BlockScanAlgorithmE0EEfLj256ELj8ELj100EEvPKT0_PS4_S4_,@function
_Z6kernelI14inclusive_scanILN6hipcub18BlockScanAlgorithmE0EEfLj256ELj8ELj100EEvPKT0_PS4_S4_: ; @_Z6kernelI14inclusive_scanILN6hipcub18BlockScanAlgorithmE0EEfLj256ELj8ELj100EEvPKT0_PS4_S4_
; %bb.0:
	s_clause 0x1
	s_load_b32 s2, s[0:1], 0x24
	s_load_b128 s[16:19], s[0:1], 0x0
	v_mbcnt_lo_u32_b32 v12, -1, 0
	v_mov_b32_e32 v2, 0
	v_or_b32_e32 v15, 31, v0
	v_cmp_gt_u32_e64 s5, 8, v0
	v_cmp_lt_u32_e64 s6, 31, v0
	v_and_b32_e32 v11, 15, v12
	v_and_b32_e32 v13, 16, v12
	v_add_nc_u32_e32 v14, -1, v12
	v_cmp_eq_u32_e64 s8, 0, v12
	v_cmp_eq_u32_e64 s7, 0, v0
	v_cmp_lt_u32_e64 s1, 3, v11
	v_cmp_eq_u32_e64 s3, 0, v13
	v_cmp_gt_i32_e64 s4, 0, v14
	v_lshrrev_b32_e32 v13, 3, v0
	s_movk_i32 s12, 0x64
	s_waitcnt lgkmcnt(0)
	s_and_b32 s0, s2, 0xffff
	v_cmp_lt_u32_e64 s2, 7, v11
	s_mul_i32 s15, s15, s0
	v_cmp_lt_u32_e64 s0, 1, v11
	v_add_lshl_u32 v1, s15, v0, 3
	s_delay_alu instid0(VALU_DEP_1) | instskip(NEXT) | instid1(VALU_DEP_1)
	v_lshlrev_b64 v[9:10], 2, v[1:2]
	v_add_co_u32 v1, vcc_lo, s16, v9
	s_delay_alu instid0(VALU_DEP_2)
	v_add_co_ci_u32_e32 v2, vcc_lo, s17, v10, vcc_lo
	v_cmp_eq_u32_e32 vcc_lo, 0, v11
	v_cndmask_b32_e64 v11, v14, v12, s4
	v_and_b32_e32 v14, 7, v12
	s_clause 0x1
	global_load_b128 v[5:8], v[1:2], off
	global_load_b128 v[1:4], v[1:2], off offset:16
	v_and_b32_e32 v12, 28, v13
	v_cmp_eq_u32_e64 s4, v15, v0
	v_lshlrev_b32_e32 v11, 2, v11
	v_lshlrev_b32_e32 v0, 2, v0
	v_cmp_eq_u32_e64 s9, 0, v14
	v_cmp_lt_u32_e64 s10, 1, v14
	v_cmp_lt_u32_e64 s11, 3, v14
	v_add_nc_u32_e32 v13, -4, v12
	s_branch .LBB87_2
.LBB87_1:                               ;   in Loop: Header=BB87_2 Depth=1
	s_or_b32 exec_lo, exec_lo, s13
	ds_bpermute_b32 v14, v11, v14
	s_add_i32 s12, s12, -1
	s_delay_alu instid0(SALU_CYCLE_1) | instskip(SKIP_2) | instid1(VALU_DEP_1)
	s_cmp_lg_u32 s12, 0
	s_waitcnt lgkmcnt(0)
	v_cndmask_b32_e64 v14, v14, v15, s8
	v_add_f32_e32 v14, v5, v14
	s_delay_alu instid0(VALU_DEP_1) | instskip(NEXT) | instid1(VALU_DEP_1)
	v_cndmask_b32_e64 v5, v14, v5, s7
	v_add_f32_e32 v6, v6, v5
	s_delay_alu instid0(VALU_DEP_1) | instskip(NEXT) | instid1(VALU_DEP_1)
	v_add_f32_e32 v7, v7, v6
	v_add_f32_e32 v8, v8, v7
	s_delay_alu instid0(VALU_DEP_1) | instskip(NEXT) | instid1(VALU_DEP_1)
	v_add_f32_e32 v1, v1, v8
	;; [unrolled: 3-line block ×3, first 2 shown]
	v_add_f32_e32 v4, v4, v3
	s_cbranch_scc0 .LBB87_8
.LBB87_2:                               ; =>This Inner Loop Header: Depth=1
	s_waitcnt vmcnt(1)
	v_add_f32_e32 v14, v5, v6
	s_delay_alu instid0(VALU_DEP_1) | instskip(NEXT) | instid1(VALU_DEP_1)
	v_add_f32_e32 v14, v7, v14
	v_add_f32_e32 v14, v8, v14
	s_waitcnt vmcnt(0)
	s_delay_alu instid0(VALU_DEP_1) | instskip(NEXT) | instid1(VALU_DEP_1)
	v_add_f32_e32 v14, v1, v14
	v_add_f32_e32 v14, v2, v14
	s_delay_alu instid0(VALU_DEP_1) | instskip(NEXT) | instid1(VALU_DEP_1)
	v_add_f32_e32 v14, v3, v14
	v_add_f32_e32 v14, v4, v14
	s_delay_alu instid0(VALU_DEP_1) | instskip(NEXT) | instid1(VALU_DEP_1)
	v_mov_b32_dpp v15, v14 row_shr:1 row_mask:0xf bank_mask:0xf
	v_add_f32_e32 v15, v14, v15
	s_delay_alu instid0(VALU_DEP_1) | instskip(NEXT) | instid1(VALU_DEP_1)
	v_cndmask_b32_e32 v14, v15, v14, vcc_lo
	v_mov_b32_dpp v15, v14 row_shr:2 row_mask:0xf bank_mask:0xf
	s_delay_alu instid0(VALU_DEP_1) | instskip(NEXT) | instid1(VALU_DEP_1)
	v_add_f32_e32 v15, v14, v15
	v_cndmask_b32_e64 v14, v14, v15, s0
	s_delay_alu instid0(VALU_DEP_1) | instskip(NEXT) | instid1(VALU_DEP_1)
	v_mov_b32_dpp v15, v14 row_shr:4 row_mask:0xf bank_mask:0xf
	v_add_f32_e32 v15, v14, v15
	s_delay_alu instid0(VALU_DEP_1) | instskip(NEXT) | instid1(VALU_DEP_1)
	v_cndmask_b32_e64 v14, v14, v15, s1
	v_mov_b32_dpp v15, v14 row_shr:8 row_mask:0xf bank_mask:0xf
	s_delay_alu instid0(VALU_DEP_1) | instskip(NEXT) | instid1(VALU_DEP_1)
	v_add_f32_e32 v15, v14, v15
	v_cndmask_b32_e64 v14, v14, v15, s2
	ds_swizzle_b32 v15, v14 offset:swizzle(BROADCAST,32,15)
	s_waitcnt lgkmcnt(0)
	v_add_f32_e32 v15, v14, v15
	s_delay_alu instid0(VALU_DEP_1)
	v_cndmask_b32_e64 v14, v15, v14, s3
	s_and_saveexec_b32 s13, s4
	s_cbranch_execz .LBB87_4
; %bb.3:                                ;   in Loop: Header=BB87_2 Depth=1
	ds_store_b32 v12, v14
.LBB87_4:                               ;   in Loop: Header=BB87_2 Depth=1
	s_or_b32 exec_lo, exec_lo, s13
	s_waitcnt lgkmcnt(0)
	s_barrier
	buffer_gl0_inv
	s_and_saveexec_b32 s13, s5
	s_cbranch_execz .LBB87_6
; %bb.5:                                ;   in Loop: Header=BB87_2 Depth=1
	ds_load_b32 v15, v0
	s_waitcnt lgkmcnt(0)
	v_mov_b32_dpp v16, v15 row_shr:1 row_mask:0xf bank_mask:0xf
	s_delay_alu instid0(VALU_DEP_1) | instskip(NEXT) | instid1(VALU_DEP_1)
	v_add_f32_e32 v16, v15, v16
	v_cndmask_b32_e64 v15, v16, v15, s9
	s_delay_alu instid0(VALU_DEP_1) | instskip(NEXT) | instid1(VALU_DEP_1)
	v_mov_b32_dpp v16, v15 row_shr:2 row_mask:0xf bank_mask:0xf
	v_add_f32_e32 v16, v15, v16
	s_delay_alu instid0(VALU_DEP_1) | instskip(NEXT) | instid1(VALU_DEP_1)
	v_cndmask_b32_e64 v15, v15, v16, s10
	v_mov_b32_dpp v16, v15 row_shr:4 row_mask:0xf bank_mask:0xf
	s_delay_alu instid0(VALU_DEP_1) | instskip(NEXT) | instid1(VALU_DEP_1)
	v_add_f32_e32 v16, v15, v16
	v_cndmask_b32_e64 v15, v15, v16, s11
	ds_store_b32 v0, v15
.LBB87_6:                               ;   in Loop: Header=BB87_2 Depth=1
	s_or_b32 exec_lo, exec_lo, s13
	s_waitcnt lgkmcnt(0)
	s_barrier
	buffer_gl0_inv
                                        ; implicit-def: $vgpr15
	s_and_saveexec_b32 s13, s6
	s_cbranch_execz .LBB87_1
; %bb.7:                                ;   in Loop: Header=BB87_2 Depth=1
	ds_load_b32 v15, v13
	s_waitcnt lgkmcnt(0)
	v_add_f32_e32 v14, v14, v15
	s_branch .LBB87_1
.LBB87_8:
	v_add_co_u32 v9, vcc_lo, s18, v9
	v_add_co_ci_u32_e32 v10, vcc_lo, s19, v10, vcc_lo
	s_clause 0x1
	global_store_b128 v[9:10], v[5:8], off
	global_store_b128 v[9:10], v[1:4], off offset:16
	s_nop 0
	s_sendmsg sendmsg(MSG_DEALLOC_VGPRS)
	s_endpgm
	.section	.rodata,"a",@progbits
	.p2align	6, 0x0
	.amdhsa_kernel _Z6kernelI14inclusive_scanILN6hipcub18BlockScanAlgorithmE0EEfLj256ELj8ELj100EEvPKT0_PS4_S4_
		.amdhsa_group_segment_fixed_size 32
		.amdhsa_private_segment_fixed_size 0
		.amdhsa_kernarg_size 280
		.amdhsa_user_sgpr_count 15
		.amdhsa_user_sgpr_dispatch_ptr 0
		.amdhsa_user_sgpr_queue_ptr 0
		.amdhsa_user_sgpr_kernarg_segment_ptr 1
		.amdhsa_user_sgpr_dispatch_id 0
		.amdhsa_user_sgpr_private_segment_size 0
		.amdhsa_wavefront_size32 1
		.amdhsa_uses_dynamic_stack 0
		.amdhsa_enable_private_segment 0
		.amdhsa_system_sgpr_workgroup_id_x 1
		.amdhsa_system_sgpr_workgroup_id_y 0
		.amdhsa_system_sgpr_workgroup_id_z 0
		.amdhsa_system_sgpr_workgroup_info 0
		.amdhsa_system_vgpr_workitem_id 0
		.amdhsa_next_free_vgpr 17
		.amdhsa_next_free_sgpr 20
		.amdhsa_reserve_vcc 1
		.amdhsa_float_round_mode_32 0
		.amdhsa_float_round_mode_16_64 0
		.amdhsa_float_denorm_mode_32 3
		.amdhsa_float_denorm_mode_16_64 3
		.amdhsa_dx10_clamp 1
		.amdhsa_ieee_mode 1
		.amdhsa_fp16_overflow 0
		.amdhsa_workgroup_processor_mode 1
		.amdhsa_memory_ordered 1
		.amdhsa_forward_progress 0
		.amdhsa_shared_vgpr_count 0
		.amdhsa_exception_fp_ieee_invalid_op 0
		.amdhsa_exception_fp_denorm_src 0
		.amdhsa_exception_fp_ieee_div_zero 0
		.amdhsa_exception_fp_ieee_overflow 0
		.amdhsa_exception_fp_ieee_underflow 0
		.amdhsa_exception_fp_ieee_inexact 0
		.amdhsa_exception_int_div_zero 0
	.end_amdhsa_kernel
	.section	.text._Z6kernelI14inclusive_scanILN6hipcub18BlockScanAlgorithmE0EEfLj256ELj8ELj100EEvPKT0_PS4_S4_,"axG",@progbits,_Z6kernelI14inclusive_scanILN6hipcub18BlockScanAlgorithmE0EEfLj256ELj8ELj100EEvPKT0_PS4_S4_,comdat
.Lfunc_end87:
	.size	_Z6kernelI14inclusive_scanILN6hipcub18BlockScanAlgorithmE0EEfLj256ELj8ELj100EEvPKT0_PS4_S4_, .Lfunc_end87-_Z6kernelI14inclusive_scanILN6hipcub18BlockScanAlgorithmE0EEfLj256ELj8ELj100EEvPKT0_PS4_S4_
                                        ; -- End function
	.section	.AMDGPU.csdata,"",@progbits
; Kernel info:
; codeLenInByte = 772
; NumSgprs: 22
; NumVgprs: 17
; ScratchSize: 0
; MemoryBound: 0
; FloatMode: 240
; IeeeMode: 1
; LDSByteSize: 32 bytes/workgroup (compile time only)
; SGPRBlocks: 2
; VGPRBlocks: 2
; NumSGPRsForWavesPerEU: 22
; NumVGPRsForWavesPerEU: 17
; Occupancy: 16
; WaveLimiterHint : 0
; COMPUTE_PGM_RSRC2:SCRATCH_EN: 0
; COMPUTE_PGM_RSRC2:USER_SGPR: 15
; COMPUTE_PGM_RSRC2:TRAP_HANDLER: 0
; COMPUTE_PGM_RSRC2:TGID_X_EN: 1
; COMPUTE_PGM_RSRC2:TGID_Y_EN: 0
; COMPUTE_PGM_RSRC2:TGID_Z_EN: 0
; COMPUTE_PGM_RSRC2:TIDIG_COMP_CNT: 0
	.section	.text._Z6kernelI14inclusive_scanILN6hipcub18BlockScanAlgorithmE0EEfLj256ELj11ELj100EEvPKT0_PS4_S4_,"axG",@progbits,_Z6kernelI14inclusive_scanILN6hipcub18BlockScanAlgorithmE0EEfLj256ELj11ELj100EEvPKT0_PS4_S4_,comdat
	.protected	_Z6kernelI14inclusive_scanILN6hipcub18BlockScanAlgorithmE0EEfLj256ELj11ELj100EEvPKT0_PS4_S4_ ; -- Begin function _Z6kernelI14inclusive_scanILN6hipcub18BlockScanAlgorithmE0EEfLj256ELj11ELj100EEvPKT0_PS4_S4_
	.globl	_Z6kernelI14inclusive_scanILN6hipcub18BlockScanAlgorithmE0EEfLj256ELj11ELj100EEvPKT0_PS4_S4_
	.p2align	8
	.type	_Z6kernelI14inclusive_scanILN6hipcub18BlockScanAlgorithmE0EEfLj256ELj11ELj100EEvPKT0_PS4_S4_,@function
_Z6kernelI14inclusive_scanILN6hipcub18BlockScanAlgorithmE0EEfLj256ELj11ELj100EEvPKT0_PS4_S4_: ; @_Z6kernelI14inclusive_scanILN6hipcub18BlockScanAlgorithmE0EEfLj256ELj11ELj100EEvPKT0_PS4_S4_
; %bb.0:
	s_load_b32 s2, s[0:1], 0x24
	v_cmp_gt_u32_e64 s5, 8, v0
	v_cmp_lt_u32_e64 s6, 31, v0
	v_cmp_eq_u32_e64 s7, 0, v0
	s_waitcnt lgkmcnt(0)
	s_and_b32 s2, s2, 0xffff
	s_delay_alu instid0(SALU_CYCLE_1) | instskip(SKIP_1) | instid1(VALU_DEP_1)
	v_mad_u64_u32 v[1:2], null, s15, s2, v[0:1]
	s_load_b128 s[12:15], s[0:1], 0x0
	v_mul_lo_u32 v21, v1, 11
	s_delay_alu instid0(VALU_DEP_1) | instskip(NEXT) | instid1(VALU_DEP_1)
	v_dual_mov_b32 v22, 0 :: v_dual_add_nc_u32 v1, 1, v21
	v_dual_mov_b32 v2, v22 :: v_dual_add_nc_u32 v3, 2, v21
	v_lshlrev_b64 v[15:16], 2, v[21:22]
	v_dual_mov_b32 v4, v22 :: v_dual_add_nc_u32 v5, 3, v21
	s_delay_alu instid0(VALU_DEP_3) | instskip(SKIP_1) | instid1(VALU_DEP_3)
	v_lshlrev_b64 v[17:18], 2, v[1:2]
	v_dual_mov_b32 v6, v22 :: v_dual_add_nc_u32 v7, 4, v21
	v_lshlrev_b64 v[13:14], 2, v[3:4]
	s_waitcnt lgkmcnt(0)
	v_add_co_u32 v25, vcc_lo, s12, v15
	v_dual_mov_b32 v8, v22 :: v_dual_add_nc_u32 v11, 5, v21
	v_add_co_ci_u32_e32 v26, vcc_lo, s13, v16, vcc_lo
	v_lshlrev_b64 v[9:10], 2, v[5:6]
	v_add_co_u32 v27, vcc_lo, s12, v17
	v_dual_mov_b32 v12, v22 :: v_dual_add_nc_u32 v19, 6, v21
	v_add_co_ci_u32_e32 v28, vcc_lo, s13, v18, vcc_lo
	v_lshlrev_b64 v[5:6], 2, v[7:8]
	;; [unrolled: 4-line block ×4, first 2 shown]
	v_add_co_u32 v36, vcc_lo, s12, v5
	v_add_co_ci_u32_e32 v37, vcc_lo, s13, v6, vcc_lo
	v_add_co_u32 v38, vcc_lo, s12, v3
	v_lshlrev_b64 v[7:8], 2, v[23:24]
	v_add_nc_u32_e32 v19, 9, v21
	v_add_co_ci_u32_e32 v39, vcc_lo, s13, v4, vcc_lo
	v_add_co_u32 v23, vcc_lo, s12, v1
	v_lshlrev_b64 v[11:12], 2, v[11:12]
	v_add_nc_u32_e32 v21, 10, v21
	v_add_co_ci_u32_e32 v24, vcc_lo, s13, v2, vcc_lo
	v_add_co_u32 v40, vcc_lo, s12, v7
	v_lshlrev_b64 v[19:20], 2, v[19:20]
	v_add_co_ci_u32_e32 v41, vcc_lo, s13, v8, vcc_lo
	v_add_co_u32 v42, vcc_lo, s12, v11
	v_lshlrev_b64 v[21:22], 2, v[21:22]
	v_add_co_ci_u32_e32 v43, vcc_lo, s13, v12, vcc_lo
	v_add_co_u32 v44, vcc_lo, s12, v19
	v_add_co_ci_u32_e32 v45, vcc_lo, s13, v20, vcc_lo
	s_delay_alu instid0(VALU_DEP_4)
	v_add_co_u32 v46, vcc_lo, s12, v21
	v_add_co_ci_u32_e32 v47, vcc_lo, s13, v22, vcc_lo
	s_clause 0xa
	global_load_b32 v33, v[25:26], off
	global_load_b32 v32, v[27:28], off
	;; [unrolled: 1-line block ×11, first 2 shown]
	v_mbcnt_lo_u32_b32 v35, -1, 0
	v_or_b32_e32 v38, 31, v0
	s_movk_i32 s12, 0x64
	s_delay_alu instid0(VALU_DEP_2) | instskip(SKIP_3) | instid1(VALU_DEP_4)
	v_and_b32_e32 v36, 16, v35
	v_add_nc_u32_e32 v37, -1, v35
	v_and_b32_e32 v34, 15, v35
	v_cmp_eq_u32_e64 s8, 0, v35
	v_cmp_eq_u32_e64 s3, 0, v36
	s_delay_alu instid0(VALU_DEP_4)
	v_cmp_gt_i32_e64 s4, 0, v37
	v_lshrrev_b32_e32 v36, 3, v0
	v_cmp_eq_u32_e32 vcc_lo, 0, v34
	v_cmp_lt_u32_e64 s0, 1, v34
	v_cmp_lt_u32_e64 s1, 3, v34
	;; [unrolled: 1-line block ×3, first 2 shown]
	v_cndmask_b32_e64 v34, v37, v35, s4
	v_and_b32_e32 v37, 7, v35
	v_and_b32_e32 v35, 28, v36
	v_cmp_eq_u32_e64 s4, v38, v0
	v_lshlrev_b32_e32 v0, 2, v0
	v_lshlrev_b32_e32 v34, 2, v34
	v_cmp_eq_u32_e64 s9, 0, v37
	v_cmp_lt_u32_e64 s10, 1, v37
	v_cmp_lt_u32_e64 s11, 3, v37
	v_add_nc_u32_e32 v36, -4, v35
	s_branch .LBB88_2
.LBB88_1:                               ;   in Loop: Header=BB88_2 Depth=1
	s_or_b32 exec_lo, exec_lo, s13
	ds_bpermute_b32 v37, v34, v37
	s_add_i32 s12, s12, -1
	s_delay_alu instid0(SALU_CYCLE_1) | instskip(SKIP_2) | instid1(VALU_DEP_1)
	s_cmp_lg_u32 s12, 0
	s_waitcnt lgkmcnt(0)
	v_cndmask_b32_e64 v37, v37, v38, s8
	v_add_f32_e32 v37, v33, v37
	s_delay_alu instid0(VALU_DEP_1) | instskip(NEXT) | instid1(VALU_DEP_1)
	v_cndmask_b32_e64 v33, v37, v33, s7
	v_add_f32_e32 v32, v32, v33
	s_delay_alu instid0(VALU_DEP_1) | instskip(NEXT) | instid1(VALU_DEP_1)
	v_add_f32_e32 v31, v31, v32
	v_add_f32_e32 v30, v30, v31
	s_delay_alu instid0(VALU_DEP_1) | instskip(NEXT) | instid1(VALU_DEP_1)
	v_add_f32_e32 v29, v29, v30
	;; [unrolled: 3-line block ×4, first 2 shown]
	v_add_f32_e32 v24, v24, v25
	s_delay_alu instid0(VALU_DEP_1)
	v_add_f32_e32 v23, v23, v24
	s_cbranch_scc0 .LBB88_8
.LBB88_2:                               ; =>This Inner Loop Header: Depth=1
	s_waitcnt vmcnt(9)
	v_add_f32_e32 v37, v32, v33
	s_waitcnt vmcnt(8)
	s_delay_alu instid0(VALU_DEP_1) | instskip(SKIP_1) | instid1(VALU_DEP_1)
	v_add_f32_e32 v37, v31, v37
	s_waitcnt vmcnt(7)
	v_add_f32_e32 v37, v30, v37
	s_waitcnt vmcnt(6)
	s_delay_alu instid0(VALU_DEP_1) | instskip(SKIP_1) | instid1(VALU_DEP_1)
	v_add_f32_e32 v37, v29, v37
	;; [unrolled: 5-line block ×4, first 2 shown]
	s_waitcnt vmcnt(1)
	v_add_f32_e32 v37, v24, v37
	s_waitcnt vmcnt(0)
	s_delay_alu instid0(VALU_DEP_1) | instskip(NEXT) | instid1(VALU_DEP_1)
	v_add_f32_e32 v37, v23, v37
	v_mov_b32_dpp v38, v37 row_shr:1 row_mask:0xf bank_mask:0xf
	s_delay_alu instid0(VALU_DEP_1) | instskip(NEXT) | instid1(VALU_DEP_1)
	v_add_f32_e32 v38, v37, v38
	v_cndmask_b32_e32 v37, v38, v37, vcc_lo
	s_delay_alu instid0(VALU_DEP_1) | instskip(NEXT) | instid1(VALU_DEP_1)
	v_mov_b32_dpp v38, v37 row_shr:2 row_mask:0xf bank_mask:0xf
	v_add_f32_e32 v38, v37, v38
	s_delay_alu instid0(VALU_DEP_1) | instskip(NEXT) | instid1(VALU_DEP_1)
	v_cndmask_b32_e64 v37, v37, v38, s0
	v_mov_b32_dpp v38, v37 row_shr:4 row_mask:0xf bank_mask:0xf
	s_delay_alu instid0(VALU_DEP_1) | instskip(NEXT) | instid1(VALU_DEP_1)
	v_add_f32_e32 v38, v37, v38
	v_cndmask_b32_e64 v37, v37, v38, s1
	s_delay_alu instid0(VALU_DEP_1) | instskip(NEXT) | instid1(VALU_DEP_1)
	v_mov_b32_dpp v38, v37 row_shr:8 row_mask:0xf bank_mask:0xf
	v_add_f32_e32 v38, v37, v38
	s_delay_alu instid0(VALU_DEP_1) | instskip(SKIP_3) | instid1(VALU_DEP_1)
	v_cndmask_b32_e64 v37, v37, v38, s2
	ds_swizzle_b32 v38, v37 offset:swizzle(BROADCAST,32,15)
	s_waitcnt lgkmcnt(0)
	v_add_f32_e32 v38, v37, v38
	v_cndmask_b32_e64 v37, v38, v37, s3
	s_and_saveexec_b32 s13, s4
	s_cbranch_execz .LBB88_4
; %bb.3:                                ;   in Loop: Header=BB88_2 Depth=1
	ds_store_b32 v35, v37
.LBB88_4:                               ;   in Loop: Header=BB88_2 Depth=1
	s_or_b32 exec_lo, exec_lo, s13
	s_waitcnt lgkmcnt(0)
	s_barrier
	buffer_gl0_inv
	s_and_saveexec_b32 s13, s5
	s_cbranch_execz .LBB88_6
; %bb.5:                                ;   in Loop: Header=BB88_2 Depth=1
	ds_load_b32 v38, v0
	s_waitcnt lgkmcnt(0)
	v_mov_b32_dpp v39, v38 row_shr:1 row_mask:0xf bank_mask:0xf
	s_delay_alu instid0(VALU_DEP_1) | instskip(NEXT) | instid1(VALU_DEP_1)
	v_add_f32_e32 v39, v38, v39
	v_cndmask_b32_e64 v38, v39, v38, s9
	s_delay_alu instid0(VALU_DEP_1) | instskip(NEXT) | instid1(VALU_DEP_1)
	v_mov_b32_dpp v39, v38 row_shr:2 row_mask:0xf bank_mask:0xf
	v_add_f32_e32 v39, v38, v39
	s_delay_alu instid0(VALU_DEP_1) | instskip(NEXT) | instid1(VALU_DEP_1)
	v_cndmask_b32_e64 v38, v38, v39, s10
	v_mov_b32_dpp v39, v38 row_shr:4 row_mask:0xf bank_mask:0xf
	s_delay_alu instid0(VALU_DEP_1) | instskip(NEXT) | instid1(VALU_DEP_1)
	v_add_f32_e32 v39, v38, v39
	v_cndmask_b32_e64 v38, v38, v39, s11
	ds_store_b32 v0, v38
.LBB88_6:                               ;   in Loop: Header=BB88_2 Depth=1
	s_or_b32 exec_lo, exec_lo, s13
	s_waitcnt lgkmcnt(0)
	s_barrier
	buffer_gl0_inv
                                        ; implicit-def: $vgpr38
	s_and_saveexec_b32 s13, s6
	s_cbranch_execz .LBB88_1
; %bb.7:                                ;   in Loop: Header=BB88_2 Depth=1
	ds_load_b32 v38, v36
	s_waitcnt lgkmcnt(0)
	v_add_f32_e32 v37, v37, v38
	s_branch .LBB88_1
.LBB88_8:
	v_add_co_u32 v15, vcc_lo, s14, v15
	v_add_co_ci_u32_e32 v16, vcc_lo, s15, v16, vcc_lo
	v_add_co_u32 v17, vcc_lo, s14, v17
	v_add_co_ci_u32_e32 v18, vcc_lo, s15, v18, vcc_lo
	;; [unrolled: 2-line block ×11, first 2 shown]
	s_clause 0xa
	global_store_b32 v[15:16], v33, off
	global_store_b32 v[17:18], v32, off
	;; [unrolled: 1-line block ×11, first 2 shown]
	s_nop 0
	s_sendmsg sendmsg(MSG_DEALLOC_VGPRS)
	s_endpgm
	.section	.rodata,"a",@progbits
	.p2align	6, 0x0
	.amdhsa_kernel _Z6kernelI14inclusive_scanILN6hipcub18BlockScanAlgorithmE0EEfLj256ELj11ELj100EEvPKT0_PS4_S4_
		.amdhsa_group_segment_fixed_size 32
		.amdhsa_private_segment_fixed_size 0
		.amdhsa_kernarg_size 280
		.amdhsa_user_sgpr_count 15
		.amdhsa_user_sgpr_dispatch_ptr 0
		.amdhsa_user_sgpr_queue_ptr 0
		.amdhsa_user_sgpr_kernarg_segment_ptr 1
		.amdhsa_user_sgpr_dispatch_id 0
		.amdhsa_user_sgpr_private_segment_size 0
		.amdhsa_wavefront_size32 1
		.amdhsa_uses_dynamic_stack 0
		.amdhsa_enable_private_segment 0
		.amdhsa_system_sgpr_workgroup_id_x 1
		.amdhsa_system_sgpr_workgroup_id_y 0
		.amdhsa_system_sgpr_workgroup_id_z 0
		.amdhsa_system_sgpr_workgroup_info 0
		.amdhsa_system_vgpr_workitem_id 0
		.amdhsa_next_free_vgpr 48
		.amdhsa_next_free_sgpr 16
		.amdhsa_reserve_vcc 1
		.amdhsa_float_round_mode_32 0
		.amdhsa_float_round_mode_16_64 0
		.amdhsa_float_denorm_mode_32 3
		.amdhsa_float_denorm_mode_16_64 3
		.amdhsa_dx10_clamp 1
		.amdhsa_ieee_mode 1
		.amdhsa_fp16_overflow 0
		.amdhsa_workgroup_processor_mode 1
		.amdhsa_memory_ordered 1
		.amdhsa_forward_progress 0
		.amdhsa_shared_vgpr_count 0
		.amdhsa_exception_fp_ieee_invalid_op 0
		.amdhsa_exception_fp_denorm_src 0
		.amdhsa_exception_fp_ieee_div_zero 0
		.amdhsa_exception_fp_ieee_overflow 0
		.amdhsa_exception_fp_ieee_underflow 0
		.amdhsa_exception_fp_ieee_inexact 0
		.amdhsa_exception_int_div_zero 0
	.end_amdhsa_kernel
	.section	.text._Z6kernelI14inclusive_scanILN6hipcub18BlockScanAlgorithmE0EEfLj256ELj11ELj100EEvPKT0_PS4_S4_,"axG",@progbits,_Z6kernelI14inclusive_scanILN6hipcub18BlockScanAlgorithmE0EEfLj256ELj11ELj100EEvPKT0_PS4_S4_,comdat
.Lfunc_end88:
	.size	_Z6kernelI14inclusive_scanILN6hipcub18BlockScanAlgorithmE0EEfLj256ELj11ELj100EEvPKT0_PS4_S4_, .Lfunc_end88-_Z6kernelI14inclusive_scanILN6hipcub18BlockScanAlgorithmE0EEfLj256ELj11ELj100EEvPKT0_PS4_S4_
                                        ; -- End function
	.section	.AMDGPU.csdata,"",@progbits
; Kernel info:
; codeLenInByte = 1392
; NumSgprs: 18
; NumVgprs: 48
; ScratchSize: 0
; MemoryBound: 0
; FloatMode: 240
; IeeeMode: 1
; LDSByteSize: 32 bytes/workgroup (compile time only)
; SGPRBlocks: 2
; VGPRBlocks: 5
; NumSGPRsForWavesPerEU: 18
; NumVGPRsForWavesPerEU: 48
; Occupancy: 16
; WaveLimiterHint : 0
; COMPUTE_PGM_RSRC2:SCRATCH_EN: 0
; COMPUTE_PGM_RSRC2:USER_SGPR: 15
; COMPUTE_PGM_RSRC2:TRAP_HANDLER: 0
; COMPUTE_PGM_RSRC2:TGID_X_EN: 1
; COMPUTE_PGM_RSRC2:TGID_Y_EN: 0
; COMPUTE_PGM_RSRC2:TGID_Z_EN: 0
; COMPUTE_PGM_RSRC2:TIDIG_COMP_CNT: 0
	.section	.text._Z6kernelI14inclusive_scanILN6hipcub18BlockScanAlgorithmE0EEfLj256ELj16ELj100EEvPKT0_PS4_S4_,"axG",@progbits,_Z6kernelI14inclusive_scanILN6hipcub18BlockScanAlgorithmE0EEfLj256ELj16ELj100EEvPKT0_PS4_S4_,comdat
	.protected	_Z6kernelI14inclusive_scanILN6hipcub18BlockScanAlgorithmE0EEfLj256ELj16ELj100EEvPKT0_PS4_S4_ ; -- Begin function _Z6kernelI14inclusive_scanILN6hipcub18BlockScanAlgorithmE0EEfLj256ELj16ELj100EEvPKT0_PS4_S4_
	.globl	_Z6kernelI14inclusive_scanILN6hipcub18BlockScanAlgorithmE0EEfLj256ELj16ELj100EEvPKT0_PS4_S4_
	.p2align	8
	.type	_Z6kernelI14inclusive_scanILN6hipcub18BlockScanAlgorithmE0EEfLj256ELj16ELj100EEvPKT0_PS4_S4_,@function
_Z6kernelI14inclusive_scanILN6hipcub18BlockScanAlgorithmE0EEfLj256ELj16ELj100EEvPKT0_PS4_S4_: ; @_Z6kernelI14inclusive_scanILN6hipcub18BlockScanAlgorithmE0EEfLj256ELj16ELj100EEvPKT0_PS4_S4_
; %bb.0:
	s_clause 0x1
	s_load_b32 s2, s[0:1], 0x24
	s_load_b128 s[16:19], s[0:1], 0x0
	v_mbcnt_lo_u32_b32 v20, -1, 0
	v_mov_b32_e32 v2, 0
	v_or_b32_e32 v23, 31, v0
	v_cmp_gt_u32_e64 s5, 8, v0
	v_cmp_lt_u32_e64 s6, 31, v0
	v_and_b32_e32 v19, 15, v20
	v_and_b32_e32 v21, 16, v20
	v_add_nc_u32_e32 v22, -1, v20
	v_cmp_eq_u32_e64 s8, 0, v20
	v_cmp_eq_u32_e64 s7, 0, v0
	v_cmp_lt_u32_e64 s1, 3, v19
	v_cmp_eq_u32_e64 s3, 0, v21
	v_cmp_gt_i32_e64 s4, 0, v22
	v_lshrrev_b32_e32 v21, 3, v0
	s_movk_i32 s12, 0x64
	s_waitcnt lgkmcnt(0)
	s_and_b32 s0, s2, 0xffff
	v_cmp_lt_u32_e64 s2, 7, v19
	s_mul_i32 s15, s15, s0
	v_cmp_lt_u32_e64 s0, 1, v19
	v_add_lshl_u32 v1, s15, v0, 4
	s_delay_alu instid0(VALU_DEP_1) | instskip(NEXT) | instid1(VALU_DEP_1)
	v_lshlrev_b64 v[17:18], 2, v[1:2]
	v_add_co_u32 v1, vcc_lo, s16, v17
	s_delay_alu instid0(VALU_DEP_2)
	v_add_co_ci_u32_e32 v2, vcc_lo, s17, v18, vcc_lo
	v_cmp_eq_u32_e32 vcc_lo, 0, v19
	v_cndmask_b32_e64 v19, v22, v20, s4
	v_and_b32_e32 v22, 7, v20
	s_clause 0x3
	global_load_b128 v[13:16], v[1:2], off
	global_load_b128 v[9:12], v[1:2], off offset:16
	global_load_b128 v[5:8], v[1:2], off offset:32
	;; [unrolled: 1-line block ×3, first 2 shown]
	v_and_b32_e32 v20, 28, v21
	v_cmp_eq_u32_e64 s4, v23, v0
	v_lshlrev_b32_e32 v19, 2, v19
	v_lshlrev_b32_e32 v0, 2, v0
	v_cmp_eq_u32_e64 s9, 0, v22
	v_cmp_lt_u32_e64 s10, 1, v22
	v_cmp_lt_u32_e64 s11, 3, v22
	v_add_nc_u32_e32 v21, -4, v20
	s_branch .LBB89_2
.LBB89_1:                               ;   in Loop: Header=BB89_2 Depth=1
	s_or_b32 exec_lo, exec_lo, s13
	ds_bpermute_b32 v22, v19, v22
	s_add_i32 s12, s12, -1
	s_delay_alu instid0(SALU_CYCLE_1) | instskip(SKIP_2) | instid1(VALU_DEP_1)
	s_cmp_lg_u32 s12, 0
	s_waitcnt lgkmcnt(0)
	v_cndmask_b32_e64 v22, v22, v23, s8
	v_add_f32_e32 v22, v13, v22
	s_delay_alu instid0(VALU_DEP_1) | instskip(NEXT) | instid1(VALU_DEP_1)
	v_cndmask_b32_e64 v13, v22, v13, s7
	v_add_f32_e32 v14, v14, v13
	s_delay_alu instid0(VALU_DEP_1) | instskip(NEXT) | instid1(VALU_DEP_1)
	v_add_f32_e32 v15, v15, v14
	v_add_f32_e32 v16, v16, v15
	s_delay_alu instid0(VALU_DEP_1) | instskip(NEXT) | instid1(VALU_DEP_1)
	v_add_f32_e32 v9, v9, v16
	;; [unrolled: 3-line block ×7, first 2 shown]
	v_add_f32_e32 v4, v4, v3
	s_cbranch_scc0 .LBB89_8
.LBB89_2:                               ; =>This Inner Loop Header: Depth=1
	s_waitcnt vmcnt(3)
	v_add_f32_e32 v22, v14, v13
	s_delay_alu instid0(VALU_DEP_1) | instskip(NEXT) | instid1(VALU_DEP_1)
	v_add_f32_e32 v22, v15, v22
	v_add_f32_e32 v22, v16, v22
	s_waitcnt vmcnt(2)
	s_delay_alu instid0(VALU_DEP_1) | instskip(NEXT) | instid1(VALU_DEP_1)
	v_add_f32_e32 v22, v9, v22
	v_add_f32_e32 v22, v10, v22
	s_delay_alu instid0(VALU_DEP_1) | instskip(NEXT) | instid1(VALU_DEP_1)
	v_add_f32_e32 v22, v11, v22
	v_add_f32_e32 v22, v12, v22
	s_waitcnt vmcnt(1)
	s_delay_alu instid0(VALU_DEP_1) | instskip(NEXT) | instid1(VALU_DEP_1)
	v_add_f32_e32 v22, v5, v22
	;; [unrolled: 7-line block ×3, first 2 shown]
	v_add_f32_e32 v22, v2, v22
	s_delay_alu instid0(VALU_DEP_1) | instskip(NEXT) | instid1(VALU_DEP_1)
	v_add_f32_e32 v22, v3, v22
	v_add_f32_e32 v22, v4, v22
	s_delay_alu instid0(VALU_DEP_1) | instskip(NEXT) | instid1(VALU_DEP_1)
	v_mov_b32_dpp v23, v22 row_shr:1 row_mask:0xf bank_mask:0xf
	v_add_f32_e32 v23, v22, v23
	s_delay_alu instid0(VALU_DEP_1) | instskip(NEXT) | instid1(VALU_DEP_1)
	v_cndmask_b32_e32 v22, v23, v22, vcc_lo
	v_mov_b32_dpp v23, v22 row_shr:2 row_mask:0xf bank_mask:0xf
	s_delay_alu instid0(VALU_DEP_1) | instskip(NEXT) | instid1(VALU_DEP_1)
	v_add_f32_e32 v23, v22, v23
	v_cndmask_b32_e64 v22, v22, v23, s0
	s_delay_alu instid0(VALU_DEP_1) | instskip(NEXT) | instid1(VALU_DEP_1)
	v_mov_b32_dpp v23, v22 row_shr:4 row_mask:0xf bank_mask:0xf
	v_add_f32_e32 v23, v22, v23
	s_delay_alu instid0(VALU_DEP_1) | instskip(NEXT) | instid1(VALU_DEP_1)
	v_cndmask_b32_e64 v22, v22, v23, s1
	v_mov_b32_dpp v23, v22 row_shr:8 row_mask:0xf bank_mask:0xf
	s_delay_alu instid0(VALU_DEP_1) | instskip(NEXT) | instid1(VALU_DEP_1)
	v_add_f32_e32 v23, v22, v23
	v_cndmask_b32_e64 v22, v22, v23, s2
	ds_swizzle_b32 v23, v22 offset:swizzle(BROADCAST,32,15)
	s_waitcnt lgkmcnt(0)
	v_add_f32_e32 v23, v22, v23
	s_delay_alu instid0(VALU_DEP_1)
	v_cndmask_b32_e64 v22, v23, v22, s3
	s_and_saveexec_b32 s13, s4
	s_cbranch_execz .LBB89_4
; %bb.3:                                ;   in Loop: Header=BB89_2 Depth=1
	ds_store_b32 v20, v22
.LBB89_4:                               ;   in Loop: Header=BB89_2 Depth=1
	s_or_b32 exec_lo, exec_lo, s13
	s_waitcnt lgkmcnt(0)
	s_barrier
	buffer_gl0_inv
	s_and_saveexec_b32 s13, s5
	s_cbranch_execz .LBB89_6
; %bb.5:                                ;   in Loop: Header=BB89_2 Depth=1
	ds_load_b32 v23, v0
	s_waitcnt lgkmcnt(0)
	v_mov_b32_dpp v24, v23 row_shr:1 row_mask:0xf bank_mask:0xf
	s_delay_alu instid0(VALU_DEP_1) | instskip(NEXT) | instid1(VALU_DEP_1)
	v_add_f32_e32 v24, v23, v24
	v_cndmask_b32_e64 v23, v24, v23, s9
	s_delay_alu instid0(VALU_DEP_1) | instskip(NEXT) | instid1(VALU_DEP_1)
	v_mov_b32_dpp v24, v23 row_shr:2 row_mask:0xf bank_mask:0xf
	v_add_f32_e32 v24, v23, v24
	s_delay_alu instid0(VALU_DEP_1) | instskip(NEXT) | instid1(VALU_DEP_1)
	v_cndmask_b32_e64 v23, v23, v24, s10
	v_mov_b32_dpp v24, v23 row_shr:4 row_mask:0xf bank_mask:0xf
	s_delay_alu instid0(VALU_DEP_1) | instskip(NEXT) | instid1(VALU_DEP_1)
	v_add_f32_e32 v24, v23, v24
	v_cndmask_b32_e64 v23, v23, v24, s11
	ds_store_b32 v0, v23
.LBB89_6:                               ;   in Loop: Header=BB89_2 Depth=1
	s_or_b32 exec_lo, exec_lo, s13
	s_waitcnt lgkmcnt(0)
	s_barrier
	buffer_gl0_inv
                                        ; implicit-def: $vgpr23
	s_and_saveexec_b32 s13, s6
	s_cbranch_execz .LBB89_1
; %bb.7:                                ;   in Loop: Header=BB89_2 Depth=1
	ds_load_b32 v23, v21
	s_waitcnt lgkmcnt(0)
	v_add_f32_e32 v22, v22, v23
	s_branch .LBB89_1
.LBB89_8:
	v_add_co_u32 v17, vcc_lo, s18, v17
	v_add_co_ci_u32_e32 v18, vcc_lo, s19, v18, vcc_lo
	s_clause 0x3
	global_store_b128 v[17:18], v[13:16], off
	global_store_b128 v[17:18], v[9:12], off offset:16
	global_store_b128 v[17:18], v[5:8], off offset:32
	;; [unrolled: 1-line block ×3, first 2 shown]
	s_nop 0
	s_sendmsg sendmsg(MSG_DEALLOC_VGPRS)
	s_endpgm
	.section	.rodata,"a",@progbits
	.p2align	6, 0x0
	.amdhsa_kernel _Z6kernelI14inclusive_scanILN6hipcub18BlockScanAlgorithmE0EEfLj256ELj16ELj100EEvPKT0_PS4_S4_
		.amdhsa_group_segment_fixed_size 32
		.amdhsa_private_segment_fixed_size 0
		.amdhsa_kernarg_size 280
		.amdhsa_user_sgpr_count 15
		.amdhsa_user_sgpr_dispatch_ptr 0
		.amdhsa_user_sgpr_queue_ptr 0
		.amdhsa_user_sgpr_kernarg_segment_ptr 1
		.amdhsa_user_sgpr_dispatch_id 0
		.amdhsa_user_sgpr_private_segment_size 0
		.amdhsa_wavefront_size32 1
		.amdhsa_uses_dynamic_stack 0
		.amdhsa_enable_private_segment 0
		.amdhsa_system_sgpr_workgroup_id_x 1
		.amdhsa_system_sgpr_workgroup_id_y 0
		.amdhsa_system_sgpr_workgroup_id_z 0
		.amdhsa_system_sgpr_workgroup_info 0
		.amdhsa_system_vgpr_workitem_id 0
		.amdhsa_next_free_vgpr 25
		.amdhsa_next_free_sgpr 20
		.amdhsa_reserve_vcc 1
		.amdhsa_float_round_mode_32 0
		.amdhsa_float_round_mode_16_64 0
		.amdhsa_float_denorm_mode_32 3
		.amdhsa_float_denorm_mode_16_64 3
		.amdhsa_dx10_clamp 1
		.amdhsa_ieee_mode 1
		.amdhsa_fp16_overflow 0
		.amdhsa_workgroup_processor_mode 1
		.amdhsa_memory_ordered 1
		.amdhsa_forward_progress 0
		.amdhsa_shared_vgpr_count 0
		.amdhsa_exception_fp_ieee_invalid_op 0
		.amdhsa_exception_fp_denorm_src 0
		.amdhsa_exception_fp_ieee_div_zero 0
		.amdhsa_exception_fp_ieee_overflow 0
		.amdhsa_exception_fp_ieee_underflow 0
		.amdhsa_exception_fp_ieee_inexact 0
		.amdhsa_exception_int_div_zero 0
	.end_amdhsa_kernel
	.section	.text._Z6kernelI14inclusive_scanILN6hipcub18BlockScanAlgorithmE0EEfLj256ELj16ELj100EEvPKT0_PS4_S4_,"axG",@progbits,_Z6kernelI14inclusive_scanILN6hipcub18BlockScanAlgorithmE0EEfLj256ELj16ELj100EEvPKT0_PS4_S4_,comdat
.Lfunc_end89:
	.size	_Z6kernelI14inclusive_scanILN6hipcub18BlockScanAlgorithmE0EEfLj256ELj16ELj100EEvPKT0_PS4_S4_, .Lfunc_end89-_Z6kernelI14inclusive_scanILN6hipcub18BlockScanAlgorithmE0EEfLj256ELj16ELj100EEvPKT0_PS4_S4_
                                        ; -- End function
	.section	.AMDGPU.csdata,"",@progbits
; Kernel info:
; codeLenInByte = 908
; NumSgprs: 22
; NumVgprs: 25
; ScratchSize: 0
; MemoryBound: 0
; FloatMode: 240
; IeeeMode: 1
; LDSByteSize: 32 bytes/workgroup (compile time only)
; SGPRBlocks: 2
; VGPRBlocks: 3
; NumSGPRsForWavesPerEU: 22
; NumVGPRsForWavesPerEU: 25
; Occupancy: 16
; WaveLimiterHint : 0
; COMPUTE_PGM_RSRC2:SCRATCH_EN: 0
; COMPUTE_PGM_RSRC2:USER_SGPR: 15
; COMPUTE_PGM_RSRC2:TRAP_HANDLER: 0
; COMPUTE_PGM_RSRC2:TGID_X_EN: 1
; COMPUTE_PGM_RSRC2:TGID_Y_EN: 0
; COMPUTE_PGM_RSRC2:TGID_Z_EN: 0
; COMPUTE_PGM_RSRC2:TIDIG_COMP_CNT: 0
	.section	.text._Z6kernelI14inclusive_scanILN6hipcub18BlockScanAlgorithmE0EEdLj256ELj1ELj100EEvPKT0_PS4_S4_,"axG",@progbits,_Z6kernelI14inclusive_scanILN6hipcub18BlockScanAlgorithmE0EEdLj256ELj1ELj100EEvPKT0_PS4_S4_,comdat
	.protected	_Z6kernelI14inclusive_scanILN6hipcub18BlockScanAlgorithmE0EEdLj256ELj1ELj100EEvPKT0_PS4_S4_ ; -- Begin function _Z6kernelI14inclusive_scanILN6hipcub18BlockScanAlgorithmE0EEdLj256ELj1ELj100EEvPKT0_PS4_S4_
	.globl	_Z6kernelI14inclusive_scanILN6hipcub18BlockScanAlgorithmE0EEdLj256ELj1ELj100EEvPKT0_PS4_S4_
	.p2align	8
	.type	_Z6kernelI14inclusive_scanILN6hipcub18BlockScanAlgorithmE0EEdLj256ELj1ELj100EEvPKT0_PS4_S4_,@function
_Z6kernelI14inclusive_scanILN6hipcub18BlockScanAlgorithmE0EEdLj256ELj1ELj100EEvPKT0_PS4_S4_: ; @_Z6kernelI14inclusive_scanILN6hipcub18BlockScanAlgorithmE0EEdLj256ELj1ELj100EEvPKT0_PS4_S4_
; %bb.0:
	s_clause 0x1
	s_load_b32 s2, s[0:1], 0x24
	s_load_b128 s[8:11], s[0:1], 0x0
	v_mbcnt_lo_u32_b32 v5, -1, 0
	v_or_b32_e32 v8, 31, v0
	v_cmp_gt_u32_e64 s5, 8, v0
	v_cmp_lt_u32_e64 s6, 31, v0
	s_movk_i32 s12, 0x64
	v_and_b32_e32 v6, 15, v5
	v_cmp_eq_u32_e64 s4, v8, v0
	v_and_b32_e32 v7, 16, v5
	v_and_b32_e32 v5, 7, v5
	s_delay_alu instid0(VALU_DEP_4) | instskip(NEXT) | instid1(VALU_DEP_3)
	v_cmp_lt_u32_e64 s1, 3, v6
	v_cmp_ne_u32_e64 s3, 0, v7
	s_delay_alu instid0(VALU_DEP_3)
	v_cmp_ne_u32_e64 s7, 0, v5
	s_waitcnt lgkmcnt(0)
	s_and_b32 s0, s2, 0xffff
	v_cmp_lt_u32_e64 s2, 7, v6
	v_mad_u64_u32 v[1:2], null, s15, s0, v[0:1]
	v_mov_b32_e32 v2, 0
	v_cmp_lt_u32_e64 s0, 1, v6
	s_delay_alu instid0(VALU_DEP_2) | instskip(NEXT) | instid1(VALU_DEP_1)
	v_lshlrev_b64 v[1:2], 3, v[1:2]
	v_add_co_u32 v3, vcc_lo, s8, v1
	s_delay_alu instid0(VALU_DEP_2)
	v_add_co_ci_u32_e32 v4, vcc_lo, s9, v2, vcc_lo
	v_cmp_ne_u32_e32 vcc_lo, 0, v6
	v_lshrrev_b32_e32 v6, 2, v0
	v_lshlrev_b32_e32 v0, 3, v0
	global_load_b64 v[3:4], v[3:4], off
	v_cmp_lt_u32_e64 s8, 1, v5
	v_cmp_lt_u32_e64 s9, 3, v5
	v_and_b32_e32 v9, 56, v6
	s_delay_alu instid0(VALU_DEP_1)
	v_add_nc_u32_e32 v10, -8, v9
	s_branch .LBB90_2
.LBB90_1:                               ;   in Loop: Header=BB90_2 Depth=1
	s_or_b32 exec_lo, exec_lo, s13
	s_add_i32 s12, s12, -1
	s_delay_alu instid0(SALU_CYCLE_1)
	s_cmp_lg_u32 s12, 0
	s_cbranch_scc0 .LBB90_24
.LBB90_2:                               ; =>This Inner Loop Header: Depth=1
	s_waitcnt vmcnt(0)
	s_delay_alu instid0(VALU_DEP_1) | instskip(NEXT) | instid1(VALU_DEP_2)
	v_mov_b32_dpp v5, v3 row_shr:1 row_mask:0xf bank_mask:0xf
	v_mov_b32_dpp v6, v4 row_shr:1 row_mask:0xf bank_mask:0xf
	s_and_saveexec_b32 s13, vcc_lo
; %bb.3:                                ;   in Loop: Header=BB90_2 Depth=1
	s_delay_alu instid0(VALU_DEP_1)
	v_add_f64 v[3:4], v[3:4], v[5:6]
; %bb.4:                                ;   in Loop: Header=BB90_2 Depth=1
	s_or_b32 exec_lo, exec_lo, s13
	s_delay_alu instid0(VALU_DEP_1) | instskip(NEXT) | instid1(VALU_DEP_2)
	v_mov_b32_dpp v5, v3 row_shr:2 row_mask:0xf bank_mask:0xf
	v_mov_b32_dpp v6, v4 row_shr:2 row_mask:0xf bank_mask:0xf
	s_and_saveexec_b32 s13, s0
; %bb.5:                                ;   in Loop: Header=BB90_2 Depth=1
	s_delay_alu instid0(VALU_DEP_1)
	v_add_f64 v[3:4], v[3:4], v[5:6]
; %bb.6:                                ;   in Loop: Header=BB90_2 Depth=1
	s_or_b32 exec_lo, exec_lo, s13
	s_delay_alu instid0(VALU_DEP_1) | instskip(NEXT) | instid1(VALU_DEP_2)
	v_mov_b32_dpp v5, v3 row_shr:4 row_mask:0xf bank_mask:0xf
	v_mov_b32_dpp v6, v4 row_shr:4 row_mask:0xf bank_mask:0xf
	s_and_saveexec_b32 s13, s1
	;; [unrolled: 9-line block ×3, first 2 shown]
; %bb.9:                                ;   in Loop: Header=BB90_2 Depth=1
	s_delay_alu instid0(VALU_DEP_1)
	v_add_f64 v[3:4], v[3:4], v[5:6]
; %bb.10:                               ;   in Loop: Header=BB90_2 Depth=1
	s_or_b32 exec_lo, exec_lo, s13
	ds_swizzle_b32 v5, v3 offset:swizzle(BROADCAST,32,15)
	ds_swizzle_b32 v6, v4 offset:swizzle(BROADCAST,32,15)
	s_and_saveexec_b32 s13, s3
	s_cbranch_execz .LBB90_12
; %bb.11:                               ;   in Loop: Header=BB90_2 Depth=1
	s_waitcnt lgkmcnt(0)
	v_add_f64 v[3:4], v[3:4], v[5:6]
.LBB90_12:                              ;   in Loop: Header=BB90_2 Depth=1
	s_or_b32 exec_lo, exec_lo, s13
	s_and_saveexec_b32 s13, s4
	s_cbranch_execz .LBB90_14
; %bb.13:                               ;   in Loop: Header=BB90_2 Depth=1
	ds_store_b64 v9, v[3:4]
.LBB90_14:                              ;   in Loop: Header=BB90_2 Depth=1
	s_or_b32 exec_lo, exec_lo, s13
	s_waitcnt lgkmcnt(0)
	s_barrier
	buffer_gl0_inv
	s_and_saveexec_b32 s13, s5
	s_cbranch_execz .LBB90_22
; %bb.15:                               ;   in Loop: Header=BB90_2 Depth=1
	ds_load_b64 v[5:6], v0
	s_waitcnt lgkmcnt(0)
	v_mov_b32_dpp v7, v5 row_shr:1 row_mask:0xf bank_mask:0xf
	v_mov_b32_dpp v8, v6 row_shr:1 row_mask:0xf bank_mask:0xf
	s_and_saveexec_b32 s14, s7
; %bb.16:                               ;   in Loop: Header=BB90_2 Depth=1
	s_delay_alu instid0(VALU_DEP_1)
	v_add_f64 v[5:6], v[5:6], v[7:8]
; %bb.17:                               ;   in Loop: Header=BB90_2 Depth=1
	s_or_b32 exec_lo, exec_lo, s14
	s_delay_alu instid0(VALU_DEP_1) | instskip(NEXT) | instid1(VALU_DEP_2)
	v_mov_b32_dpp v7, v5 row_shr:2 row_mask:0xf bank_mask:0xf
	v_mov_b32_dpp v8, v6 row_shr:2 row_mask:0xf bank_mask:0xf
	s_and_saveexec_b32 s14, s8
; %bb.18:                               ;   in Loop: Header=BB90_2 Depth=1
	s_delay_alu instid0(VALU_DEP_1)
	v_add_f64 v[5:6], v[5:6], v[7:8]
; %bb.19:                               ;   in Loop: Header=BB90_2 Depth=1
	s_or_b32 exec_lo, exec_lo, s14
	s_delay_alu instid0(VALU_DEP_1) | instskip(NEXT) | instid1(VALU_DEP_2)
	v_mov_b32_dpp v7, v5 row_shr:4 row_mask:0xf bank_mask:0xf
	v_mov_b32_dpp v8, v6 row_shr:4 row_mask:0xf bank_mask:0xf
	s_and_saveexec_b32 s14, s9
; %bb.20:                               ;   in Loop: Header=BB90_2 Depth=1
	s_delay_alu instid0(VALU_DEP_1)
	v_add_f64 v[5:6], v[5:6], v[7:8]
; %bb.21:                               ;   in Loop: Header=BB90_2 Depth=1
	s_or_b32 exec_lo, exec_lo, s14
	ds_store_b64 v0, v[5:6]
.LBB90_22:                              ;   in Loop: Header=BB90_2 Depth=1
	s_or_b32 exec_lo, exec_lo, s13
	s_waitcnt lgkmcnt(0)
	s_barrier
	buffer_gl0_inv
	s_and_saveexec_b32 s13, s6
	s_cbranch_execz .LBB90_1
; %bb.23:                               ;   in Loop: Header=BB90_2 Depth=1
	ds_load_b64 v[5:6], v10
	s_waitcnt lgkmcnt(0)
	v_add_f64 v[3:4], v[3:4], v[5:6]
	s_branch .LBB90_1
.LBB90_24:
	v_add_co_u32 v0, vcc_lo, s10, v1
	v_add_co_ci_u32_e32 v1, vcc_lo, s11, v2, vcc_lo
	global_store_b64 v[0:1], v[3:4], off
	s_nop 0
	s_sendmsg sendmsg(MSG_DEALLOC_VGPRS)
	s_endpgm
	.section	.rodata,"a",@progbits
	.p2align	6, 0x0
	.amdhsa_kernel _Z6kernelI14inclusive_scanILN6hipcub18BlockScanAlgorithmE0EEdLj256ELj1ELj100EEvPKT0_PS4_S4_
		.amdhsa_group_segment_fixed_size 64
		.amdhsa_private_segment_fixed_size 0
		.amdhsa_kernarg_size 280
		.amdhsa_user_sgpr_count 15
		.amdhsa_user_sgpr_dispatch_ptr 0
		.amdhsa_user_sgpr_queue_ptr 0
		.amdhsa_user_sgpr_kernarg_segment_ptr 1
		.amdhsa_user_sgpr_dispatch_id 0
		.amdhsa_user_sgpr_private_segment_size 0
		.amdhsa_wavefront_size32 1
		.amdhsa_uses_dynamic_stack 0
		.amdhsa_enable_private_segment 0
		.amdhsa_system_sgpr_workgroup_id_x 1
		.amdhsa_system_sgpr_workgroup_id_y 0
		.amdhsa_system_sgpr_workgroup_id_z 0
		.amdhsa_system_sgpr_workgroup_info 0
		.amdhsa_system_vgpr_workitem_id 0
		.amdhsa_next_free_vgpr 11
		.amdhsa_next_free_sgpr 16
		.amdhsa_reserve_vcc 1
		.amdhsa_float_round_mode_32 0
		.amdhsa_float_round_mode_16_64 0
		.amdhsa_float_denorm_mode_32 3
		.amdhsa_float_denorm_mode_16_64 3
		.amdhsa_dx10_clamp 1
		.amdhsa_ieee_mode 1
		.amdhsa_fp16_overflow 0
		.amdhsa_workgroup_processor_mode 1
		.amdhsa_memory_ordered 1
		.amdhsa_forward_progress 0
		.amdhsa_shared_vgpr_count 0
		.amdhsa_exception_fp_ieee_invalid_op 0
		.amdhsa_exception_fp_denorm_src 0
		.amdhsa_exception_fp_ieee_div_zero 0
		.amdhsa_exception_fp_ieee_overflow 0
		.amdhsa_exception_fp_ieee_underflow 0
		.amdhsa_exception_fp_ieee_inexact 0
		.amdhsa_exception_int_div_zero 0
	.end_amdhsa_kernel
	.section	.text._Z6kernelI14inclusive_scanILN6hipcub18BlockScanAlgorithmE0EEdLj256ELj1ELj100EEvPKT0_PS4_S4_,"axG",@progbits,_Z6kernelI14inclusive_scanILN6hipcub18BlockScanAlgorithmE0EEdLj256ELj1ELj100EEvPKT0_PS4_S4_,comdat
.Lfunc_end90:
	.size	_Z6kernelI14inclusive_scanILN6hipcub18BlockScanAlgorithmE0EEdLj256ELj1ELj100EEvPKT0_PS4_S4_, .Lfunc_end90-_Z6kernelI14inclusive_scanILN6hipcub18BlockScanAlgorithmE0EEdLj256ELj1ELj100EEvPKT0_PS4_S4_
                                        ; -- End function
	.section	.AMDGPU.csdata,"",@progbits
; Kernel info:
; codeLenInByte = 712
; NumSgprs: 18
; NumVgprs: 11
; ScratchSize: 0
; MemoryBound: 0
; FloatMode: 240
; IeeeMode: 1
; LDSByteSize: 64 bytes/workgroup (compile time only)
; SGPRBlocks: 2
; VGPRBlocks: 1
; NumSGPRsForWavesPerEU: 18
; NumVGPRsForWavesPerEU: 11
; Occupancy: 16
; WaveLimiterHint : 0
; COMPUTE_PGM_RSRC2:SCRATCH_EN: 0
; COMPUTE_PGM_RSRC2:USER_SGPR: 15
; COMPUTE_PGM_RSRC2:TRAP_HANDLER: 0
; COMPUTE_PGM_RSRC2:TGID_X_EN: 1
; COMPUTE_PGM_RSRC2:TGID_Y_EN: 0
; COMPUTE_PGM_RSRC2:TGID_Z_EN: 0
; COMPUTE_PGM_RSRC2:TIDIG_COMP_CNT: 0
	.section	.text._Z6kernelI14inclusive_scanILN6hipcub18BlockScanAlgorithmE0EEdLj256ELj3ELj100EEvPKT0_PS4_S4_,"axG",@progbits,_Z6kernelI14inclusive_scanILN6hipcub18BlockScanAlgorithmE0EEdLj256ELj3ELj100EEvPKT0_PS4_S4_,comdat
	.protected	_Z6kernelI14inclusive_scanILN6hipcub18BlockScanAlgorithmE0EEdLj256ELj3ELj100EEvPKT0_PS4_S4_ ; -- Begin function _Z6kernelI14inclusive_scanILN6hipcub18BlockScanAlgorithmE0EEdLj256ELj3ELj100EEvPKT0_PS4_S4_
	.globl	_Z6kernelI14inclusive_scanILN6hipcub18BlockScanAlgorithmE0EEdLj256ELj3ELj100EEvPKT0_PS4_S4_
	.p2align	8
	.type	_Z6kernelI14inclusive_scanILN6hipcub18BlockScanAlgorithmE0EEdLj256ELj3ELj100EEvPKT0_PS4_S4_,@function
_Z6kernelI14inclusive_scanILN6hipcub18BlockScanAlgorithmE0EEdLj256ELj3ELj100EEvPKT0_PS4_S4_: ; @_Z6kernelI14inclusive_scanILN6hipcub18BlockScanAlgorithmE0EEdLj256ELj3ELj100EEvPKT0_PS4_S4_
; %bb.0:
	s_load_b32 s2, s[0:1], 0x24
	v_mbcnt_lo_u32_b32 v13, -1, 0
	v_or_b32_e32 v16, 31, v0
	v_cmp_lt_u32_e64 s6, 31, v0
	v_cmp_ne_u32_e64 s7, 0, v0
	s_delay_alu instid0(VALU_DEP_4)
	v_and_b32_e32 v15, 16, v13
	v_add_nc_u32_e32 v17, -1, v13
	v_and_b32_e32 v14, 15, v13
	v_cmp_eq_u32_e64 s4, v16, v0
	v_and_b32_e32 v16, 7, v13
	v_cmp_ne_u32_e64 s3, 0, v15
	v_cmp_gt_i32_e64 s5, 0, v17
	v_lshrrev_b32_e32 v15, 2, v0
	v_cmp_eq_u32_e64 s11, 0, v13
	v_cmp_ne_u32_e64 s8, 0, v16
	v_cmp_lt_u32_e64 s9, 1, v16
	v_cmp_lt_u32_e64 s10, 3, v16
	v_and_b32_e32 v24, 56, v15
	s_waitcnt lgkmcnt(0)
	s_and_b32 s2, s2, 0xffff
	s_delay_alu instid0(SALU_CYCLE_1)
	v_mad_u64_u32 v[1:2], null, s15, s2, v[0:1]
	s_load_b128 s[12:15], s[0:1], 0x0
	v_cmp_lt_u32_e64 s0, 1, v14
	v_cmp_lt_u32_e64 s1, 3, v14
	v_cmp_lt_u32_e64 s2, 7, v14
	v_add_nc_u32_e32 v25, -8, v24
	v_lshl_add_u32 v3, v1, 1, v1
	s_delay_alu instid0(VALU_DEP_1) | instskip(NEXT) | instid1(VALU_DEP_1)
	v_dual_mov_b32 v4, 0 :: v_dual_add_nc_u32 v5, 1, v3
	v_mov_b32_e32 v6, v4
	v_lshlrev_b64 v[1:2], 3, v[3:4]
	v_add_nc_u32_e32 v3, 2, v3
	s_delay_alu instid0(VALU_DEP_3) | instskip(NEXT) | instid1(VALU_DEP_2)
	v_lshlrev_b64 v[5:6], 3, v[5:6]
	v_lshlrev_b64 v[3:4], 3, v[3:4]
	s_waitcnt lgkmcnt(0)
	s_delay_alu instid0(VALU_DEP_4) | instskip(SKIP_1) | instid1(VALU_DEP_4)
	v_add_co_u32 v7, vcc_lo, s12, v1
	v_add_co_ci_u32_e32 v8, vcc_lo, s13, v2, vcc_lo
	v_add_co_u32 v9, vcc_lo, s12, v5
	v_add_co_ci_u32_e32 v10, vcc_lo, s13, v6, vcc_lo
	;; [unrolled: 2-line block ×3, first 2 shown]
	s_clause 0x2
	global_load_b64 v[7:8], v[7:8], off
	global_load_b64 v[9:10], v[9:10], off
	;; [unrolled: 1-line block ×3, first 2 shown]
	v_cmp_ne_u32_e32 vcc_lo, 0, v14
	v_cndmask_b32_e64 v14, v17, v13, s5
	v_cmp_gt_u32_e64 s5, 8, v0
	v_lshlrev_b32_e32 v0, 3, v0
	s_movk_i32 s12, 0x64
	s_delay_alu instid0(VALU_DEP_3)
	v_lshlrev_b32_e32 v23, 2, v14
.LBB91_1:                               ; =>This Inner Loop Header: Depth=1
	s_waitcnt vmcnt(1)
	s_delay_alu instid0(VALU_DEP_2) | instskip(SKIP_1) | instid1(VALU_DEP_1)
	v_add_f64 v[15:16], v[7:8], v[9:10]
	s_waitcnt vmcnt(0)
	v_add_f64 v[13:14], v[11:12], v[15:16]
	s_delay_alu instid0(VALU_DEP_1) | instskip(NEXT) | instid1(VALU_DEP_2)
	v_mov_b32_dpp v21, v13 row_shr:1 row_mask:0xf bank_mask:0xf
	v_mov_b32_dpp v22, v14 row_shr:1 row_mask:0xf bank_mask:0xf
	s_waitcnt lgkmcnt(0)
	v_dual_mov_b32 v18, v14 :: v_dual_mov_b32 v17, v13
	v_dual_mov_b32 v20, v14 :: v_dual_mov_b32 v19, v13
	s_and_saveexec_b32 s13, vcc_lo
; %bb.2:                                ;   in Loop: Header=BB91_1 Depth=1
	v_add_f64 v[17:18], v[13:14], v[21:22]
	s_delay_alu instid0(VALU_DEP_1)
	v_dual_mov_b32 v20, v18 :: v_dual_mov_b32 v19, v17
; %bb.3:                                ;   in Loop: Header=BB91_1 Depth=1
	s_or_b32 exec_lo, exec_lo, s13
	s_delay_alu instid0(VALU_DEP_1) | instskip(NEXT) | instid1(VALU_DEP_2)
	v_mov_b32_dpp v21, v19 row_shr:2 row_mask:0xf bank_mask:0xf
	v_mov_b32_dpp v22, v20 row_shr:2 row_mask:0xf bank_mask:0xf
	s_and_saveexec_b32 s13, s0
; %bb.4:                                ;   in Loop: Header=BB91_1 Depth=1
	s_delay_alu instid0(VALU_DEP_1) | instskip(NEXT) | instid1(VALU_DEP_1)
	v_add_f64 v[19:20], v[17:18], v[21:22]
	v_dual_mov_b32 v17, v19 :: v_dual_mov_b32 v18, v20
; %bb.5:                                ;   in Loop: Header=BB91_1 Depth=1
	s_or_b32 exec_lo, exec_lo, s13
	v_mov_b32_dpp v21, v19 row_shr:4 row_mask:0xf bank_mask:0xf
	v_mov_b32_dpp v22, v20 row_shr:4 row_mask:0xf bank_mask:0xf
	s_and_saveexec_b32 s13, s1
; %bb.6:                                ;   in Loop: Header=BB91_1 Depth=1
	s_delay_alu instid0(VALU_DEP_1) | instskip(NEXT) | instid1(VALU_DEP_1)
	v_add_f64 v[19:20], v[17:18], v[21:22]
	v_dual_mov_b32 v17, v19 :: v_dual_mov_b32 v18, v20
; %bb.7:                                ;   in Loop: Header=BB91_1 Depth=1
	s_or_b32 exec_lo, exec_lo, s13
	;; [unrolled: 9-line block ×3, first 2 shown]
	ds_swizzle_b32 v19, v19 offset:swizzle(BROADCAST,32,15)
	ds_swizzle_b32 v20, v20 offset:swizzle(BROADCAST,32,15)
	s_and_saveexec_b32 s13, s3
	s_cbranch_execz .LBB91_11
; %bb.10:                               ;   in Loop: Header=BB91_1 Depth=1
	s_waitcnt lgkmcnt(0)
	v_add_f64 v[17:18], v[17:18], v[19:20]
.LBB91_11:                              ;   in Loop: Header=BB91_1 Depth=1
	s_or_b32 exec_lo, exec_lo, s13
	s_and_saveexec_b32 s13, s4
	s_cbranch_execz .LBB91_13
; %bb.12:                               ;   in Loop: Header=BB91_1 Depth=1
	ds_store_b64 v24, v[17:18]
.LBB91_13:                              ;   in Loop: Header=BB91_1 Depth=1
	s_or_b32 exec_lo, exec_lo, s13
	s_waitcnt lgkmcnt(0)
	s_barrier
	buffer_gl0_inv
	s_and_saveexec_b32 s13, s5
	s_cbranch_execz .LBB91_21
; %bb.14:                               ;   in Loop: Header=BB91_1 Depth=1
	ds_load_b64 v[19:20], v0
	s_waitcnt lgkmcnt(0)
	v_mov_b32_dpp v21, v19 row_shr:1 row_mask:0xf bank_mask:0xf
	v_mov_b32_dpp v22, v20 row_shr:1 row_mask:0xf bank_mask:0xf
	s_and_saveexec_b32 s16, s8
; %bb.15:                               ;   in Loop: Header=BB91_1 Depth=1
	s_delay_alu instid0(VALU_DEP_1)
	v_add_f64 v[19:20], v[19:20], v[21:22]
; %bb.16:                               ;   in Loop: Header=BB91_1 Depth=1
	s_or_b32 exec_lo, exec_lo, s16
	s_delay_alu instid0(VALU_DEP_1) | instskip(NEXT) | instid1(VALU_DEP_2)
	v_mov_b32_dpp v21, v19 row_shr:2 row_mask:0xf bank_mask:0xf
	v_mov_b32_dpp v22, v20 row_shr:2 row_mask:0xf bank_mask:0xf
	s_and_saveexec_b32 s16, s9
; %bb.17:                               ;   in Loop: Header=BB91_1 Depth=1
	s_delay_alu instid0(VALU_DEP_1)
	v_add_f64 v[19:20], v[19:20], v[21:22]
; %bb.18:                               ;   in Loop: Header=BB91_1 Depth=1
	s_or_b32 exec_lo, exec_lo, s16
	s_delay_alu instid0(VALU_DEP_1) | instskip(NEXT) | instid1(VALU_DEP_2)
	v_mov_b32_dpp v21, v19 row_shr:4 row_mask:0xf bank_mask:0xf
	v_mov_b32_dpp v22, v20 row_shr:4 row_mask:0xf bank_mask:0xf
	s_and_saveexec_b32 s16, s10
; %bb.19:                               ;   in Loop: Header=BB91_1 Depth=1
	s_delay_alu instid0(VALU_DEP_1)
	v_add_f64 v[19:20], v[19:20], v[21:22]
; %bb.20:                               ;   in Loop: Header=BB91_1 Depth=1
	s_or_b32 exec_lo, exec_lo, s16
	ds_store_b64 v0, v[19:20]
.LBB91_21:                              ;   in Loop: Header=BB91_1 Depth=1
	s_or_b32 exec_lo, exec_lo, s13
	s_waitcnt lgkmcnt(0)
	s_barrier
	buffer_gl0_inv
                                        ; implicit-def: $vgpr19_vgpr20
	s_and_saveexec_b32 s13, s6
	s_cbranch_execz .LBB91_23
; %bb.22:                               ;   in Loop: Header=BB91_1 Depth=1
	ds_load_b64 v[19:20], v25
	s_waitcnt lgkmcnt(0)
	v_add_f64 v[17:18], v[17:18], v[19:20]
.LBB91_23:                              ;   in Loop: Header=BB91_1 Depth=1
	s_or_b32 exec_lo, exec_lo, s13
	ds_bpermute_b32 v17, v23, v17
	ds_bpermute_b32 v18, v23, v18
	s_and_saveexec_b32 s13, s7
	s_cbranch_execz .LBB91_25
; %bb.24:                               ;   in Loop: Header=BB91_1 Depth=1
	s_waitcnt lgkmcnt(0)
	v_cndmask_b32_e64 v14, v18, v20, s11
	v_cndmask_b32_e64 v13, v17, v19, s11
	s_delay_alu instid0(VALU_DEP_1) | instskip(NEXT) | instid1(VALU_DEP_1)
	v_add_f64 v[7:8], v[7:8], v[13:14]
	v_add_f64 v[15:16], v[9:10], v[7:8]
	s_delay_alu instid0(VALU_DEP_1)
	v_add_f64 v[13:14], v[11:12], v[15:16]
.LBB91_25:                              ;   in Loop: Header=BB91_1 Depth=1
	s_or_b32 exec_lo, exec_lo, s13
	s_add_i32 s12, s12, -1
	s_delay_alu instid0(SALU_CYCLE_1)
	s_cmp_lg_u32 s12, 0
	s_cbranch_scc0 .LBB91_27
; %bb.26:                               ;   in Loop: Header=BB91_1 Depth=1
	v_dual_mov_b32 v9, v15 :: v_dual_mov_b32 v10, v16
	s_delay_alu instid0(VALU_DEP_2)
	v_dual_mov_b32 v11, v13 :: v_dual_mov_b32 v12, v14
	s_branch .LBB91_1
.LBB91_27:
	v_add_co_u32 v0, vcc_lo, s14, v1
	v_add_co_ci_u32_e32 v1, vcc_lo, s15, v2, vcc_lo
	v_add_co_u32 v5, vcc_lo, s14, v5
	v_add_co_ci_u32_e32 v6, vcc_lo, s15, v6, vcc_lo
	;; [unrolled: 2-line block ×3, first 2 shown]
	s_clause 0x2
	global_store_b64 v[0:1], v[7:8], off
	global_store_b64 v[5:6], v[15:16], off
	;; [unrolled: 1-line block ×3, first 2 shown]
	s_nop 0
	s_sendmsg sendmsg(MSG_DEALLOC_VGPRS)
	s_endpgm
	.section	.rodata,"a",@progbits
	.p2align	6, 0x0
	.amdhsa_kernel _Z6kernelI14inclusive_scanILN6hipcub18BlockScanAlgorithmE0EEdLj256ELj3ELj100EEvPKT0_PS4_S4_
		.amdhsa_group_segment_fixed_size 64
		.amdhsa_private_segment_fixed_size 0
		.amdhsa_kernarg_size 280
		.amdhsa_user_sgpr_count 15
		.amdhsa_user_sgpr_dispatch_ptr 0
		.amdhsa_user_sgpr_queue_ptr 0
		.amdhsa_user_sgpr_kernarg_segment_ptr 1
		.amdhsa_user_sgpr_dispatch_id 0
		.amdhsa_user_sgpr_private_segment_size 0
		.amdhsa_wavefront_size32 1
		.amdhsa_uses_dynamic_stack 0
		.amdhsa_enable_private_segment 0
		.amdhsa_system_sgpr_workgroup_id_x 1
		.amdhsa_system_sgpr_workgroup_id_y 0
		.amdhsa_system_sgpr_workgroup_id_z 0
		.amdhsa_system_sgpr_workgroup_info 0
		.amdhsa_system_vgpr_workitem_id 0
		.amdhsa_next_free_vgpr 26
		.amdhsa_next_free_sgpr 17
		.amdhsa_reserve_vcc 1
		.amdhsa_float_round_mode_32 0
		.amdhsa_float_round_mode_16_64 0
		.amdhsa_float_denorm_mode_32 3
		.amdhsa_float_denorm_mode_16_64 3
		.amdhsa_dx10_clamp 1
		.amdhsa_ieee_mode 1
		.amdhsa_fp16_overflow 0
		.amdhsa_workgroup_processor_mode 1
		.amdhsa_memory_ordered 1
		.amdhsa_forward_progress 0
		.amdhsa_shared_vgpr_count 0
		.amdhsa_exception_fp_ieee_invalid_op 0
		.amdhsa_exception_fp_denorm_src 0
		.amdhsa_exception_fp_ieee_div_zero 0
		.amdhsa_exception_fp_ieee_overflow 0
		.amdhsa_exception_fp_ieee_underflow 0
		.amdhsa_exception_fp_ieee_inexact 0
		.amdhsa_exception_int_div_zero 0
	.end_amdhsa_kernel
	.section	.text._Z6kernelI14inclusive_scanILN6hipcub18BlockScanAlgorithmE0EEdLj256ELj3ELj100EEvPKT0_PS4_S4_,"axG",@progbits,_Z6kernelI14inclusive_scanILN6hipcub18BlockScanAlgorithmE0EEdLj256ELj3ELj100EEvPKT0_PS4_S4_,comdat
.Lfunc_end91:
	.size	_Z6kernelI14inclusive_scanILN6hipcub18BlockScanAlgorithmE0EEdLj256ELj3ELj100EEvPKT0_PS4_S4_, .Lfunc_end91-_Z6kernelI14inclusive_scanILN6hipcub18BlockScanAlgorithmE0EEdLj256ELj3ELj100EEvPKT0_PS4_S4_
                                        ; -- End function
	.section	.AMDGPU.csdata,"",@progbits
; Kernel info:
; codeLenInByte = 1044
; NumSgprs: 19
; NumVgprs: 26
; ScratchSize: 0
; MemoryBound: 0
; FloatMode: 240
; IeeeMode: 1
; LDSByteSize: 64 bytes/workgroup (compile time only)
; SGPRBlocks: 2
; VGPRBlocks: 3
; NumSGPRsForWavesPerEU: 19
; NumVGPRsForWavesPerEU: 26
; Occupancy: 16
; WaveLimiterHint : 0
; COMPUTE_PGM_RSRC2:SCRATCH_EN: 0
; COMPUTE_PGM_RSRC2:USER_SGPR: 15
; COMPUTE_PGM_RSRC2:TRAP_HANDLER: 0
; COMPUTE_PGM_RSRC2:TGID_X_EN: 1
; COMPUTE_PGM_RSRC2:TGID_Y_EN: 0
; COMPUTE_PGM_RSRC2:TGID_Z_EN: 0
; COMPUTE_PGM_RSRC2:TIDIG_COMP_CNT: 0
	.section	.text._Z6kernelI14inclusive_scanILN6hipcub18BlockScanAlgorithmE0EEdLj256ELj4ELj100EEvPKT0_PS4_S4_,"axG",@progbits,_Z6kernelI14inclusive_scanILN6hipcub18BlockScanAlgorithmE0EEdLj256ELj4ELj100EEvPKT0_PS4_S4_,comdat
	.protected	_Z6kernelI14inclusive_scanILN6hipcub18BlockScanAlgorithmE0EEdLj256ELj4ELj100EEvPKT0_PS4_S4_ ; -- Begin function _Z6kernelI14inclusive_scanILN6hipcub18BlockScanAlgorithmE0EEdLj256ELj4ELj100EEvPKT0_PS4_S4_
	.globl	_Z6kernelI14inclusive_scanILN6hipcub18BlockScanAlgorithmE0EEdLj256ELj4ELj100EEvPKT0_PS4_S4_
	.p2align	8
	.type	_Z6kernelI14inclusive_scanILN6hipcub18BlockScanAlgorithmE0EEdLj256ELj4ELj100EEvPKT0_PS4_S4_,@function
_Z6kernelI14inclusive_scanILN6hipcub18BlockScanAlgorithmE0EEdLj256ELj4ELj100EEvPKT0_PS4_S4_: ; @_Z6kernelI14inclusive_scanILN6hipcub18BlockScanAlgorithmE0EEdLj256ELj4ELj100EEvPKT0_PS4_S4_
; %bb.0:
	s_clause 0x1
	s_load_b32 s2, s[0:1], 0x24
	s_load_b128 s[16:19], s[0:1], 0x0
	v_mbcnt_lo_u32_b32 v9, -1, 0
	v_mov_b32_e32 v2, 0
	v_or_b32_e32 v12, 31, v0
	v_cmp_lt_u32_e64 s6, 31, v0
	v_cmp_ne_u32_e64 s7, 0, v0
	v_and_b32_e32 v11, 16, v9
	v_add_nc_u32_e32 v15, -1, v9
	v_and_b32_e32 v10, 15, v9
	v_cmp_eq_u32_e64 s4, v12, v0
	v_and_b32_e32 v12, 7, v9
	v_cmp_ne_u32_e64 s3, 0, v11
	v_cmp_gt_i32_e64 s5, 0, v15
	v_lshrrev_b32_e32 v11, 2, v0
	v_cmp_lt_u32_e64 s1, 3, v10
	v_cmp_ne_u32_e64 s8, 0, v12
	v_cmp_lt_u32_e64 s9, 1, v12
	v_cmp_lt_u32_e64 s10, 3, v12
	v_and_b32_e32 v24, 56, v11
	s_waitcnt lgkmcnt(0)
	s_and_b32 s0, s2, 0xffff
	v_cmp_lt_u32_e64 s2, 7, v10
	s_mul_i32 s15, s15, s0
	v_cmp_lt_u32_e64 s0, 1, v10
	v_add_lshl_u32 v1, s15, v0, 2
	v_add_nc_u32_e32 v25, -8, v24
	v_cmp_eq_u32_e64 s11, 0, v9
	s_movk_i32 s12, 0x64
	s_delay_alu instid0(VALU_DEP_3) | instskip(NEXT) | instid1(VALU_DEP_1)
	v_lshlrev_b64 v[13:14], 3, v[1:2]
	v_add_co_u32 v1, vcc_lo, s16, v13
	s_delay_alu instid0(VALU_DEP_2)
	v_add_co_ci_u32_e32 v2, vcc_lo, s17, v14, vcc_lo
	v_cmp_ne_u32_e32 vcc_lo, 0, v10
	v_cndmask_b32_e64 v10, v15, v9, s5
	v_cmp_gt_u32_e64 s5, 8, v0
	s_clause 0x1
	global_load_b128 v[5:8], v[1:2], off offset:16
	global_load_b128 v[1:4], v[1:2], off
	v_lshlrev_b32_e32 v0, 3, v0
	v_lshlrev_b32_e32 v23, 2, v10
.LBB92_1:                               ; =>This Inner Loop Header: Depth=1
	s_waitcnt vmcnt(0)
	v_add_f64 v[15:16], v[1:2], v[3:4]
	s_delay_alu instid0(VALU_DEP_1) | instskip(NEXT) | instid1(VALU_DEP_1)
	v_add_f64 v[9:10], v[5:6], v[15:16]
	v_add_f64 v[11:12], v[7:8], v[9:10]
	s_delay_alu instid0(VALU_DEP_1) | instskip(NEXT) | instid1(VALU_DEP_2)
	v_mov_b32_dpp v21, v11 row_shr:1 row_mask:0xf bank_mask:0xf
	v_mov_b32_dpp v22, v12 row_shr:1 row_mask:0xf bank_mask:0xf
	s_waitcnt lgkmcnt(0)
	v_dual_mov_b32 v18, v12 :: v_dual_mov_b32 v17, v11
	v_dual_mov_b32 v20, v12 :: v_dual_mov_b32 v19, v11
	s_and_saveexec_b32 s13, vcc_lo
; %bb.2:                                ;   in Loop: Header=BB92_1 Depth=1
	v_add_f64 v[17:18], v[11:12], v[21:22]
	s_delay_alu instid0(VALU_DEP_1)
	v_dual_mov_b32 v20, v18 :: v_dual_mov_b32 v19, v17
; %bb.3:                                ;   in Loop: Header=BB92_1 Depth=1
	s_or_b32 exec_lo, exec_lo, s13
	s_delay_alu instid0(VALU_DEP_1) | instskip(NEXT) | instid1(VALU_DEP_2)
	v_mov_b32_dpp v21, v19 row_shr:2 row_mask:0xf bank_mask:0xf
	v_mov_b32_dpp v22, v20 row_shr:2 row_mask:0xf bank_mask:0xf
	s_and_saveexec_b32 s13, s0
; %bb.4:                                ;   in Loop: Header=BB92_1 Depth=1
	s_delay_alu instid0(VALU_DEP_1) | instskip(NEXT) | instid1(VALU_DEP_1)
	v_add_f64 v[19:20], v[17:18], v[21:22]
	v_dual_mov_b32 v17, v19 :: v_dual_mov_b32 v18, v20
; %bb.5:                                ;   in Loop: Header=BB92_1 Depth=1
	s_or_b32 exec_lo, exec_lo, s13
	v_mov_b32_dpp v21, v19 row_shr:4 row_mask:0xf bank_mask:0xf
	v_mov_b32_dpp v22, v20 row_shr:4 row_mask:0xf bank_mask:0xf
	s_and_saveexec_b32 s13, s1
; %bb.6:                                ;   in Loop: Header=BB92_1 Depth=1
	s_delay_alu instid0(VALU_DEP_1) | instskip(NEXT) | instid1(VALU_DEP_1)
	v_add_f64 v[19:20], v[17:18], v[21:22]
	v_dual_mov_b32 v17, v19 :: v_dual_mov_b32 v18, v20
; %bb.7:                                ;   in Loop: Header=BB92_1 Depth=1
	s_or_b32 exec_lo, exec_lo, s13
	;; [unrolled: 9-line block ×3, first 2 shown]
	ds_swizzle_b32 v19, v19 offset:swizzle(BROADCAST,32,15)
	ds_swizzle_b32 v20, v20 offset:swizzle(BROADCAST,32,15)
	s_and_saveexec_b32 s13, s3
	s_cbranch_execz .LBB92_11
; %bb.10:                               ;   in Loop: Header=BB92_1 Depth=1
	s_waitcnt lgkmcnt(0)
	v_add_f64 v[17:18], v[17:18], v[19:20]
.LBB92_11:                              ;   in Loop: Header=BB92_1 Depth=1
	s_or_b32 exec_lo, exec_lo, s13
	s_and_saveexec_b32 s13, s4
	s_cbranch_execz .LBB92_13
; %bb.12:                               ;   in Loop: Header=BB92_1 Depth=1
	ds_store_b64 v24, v[17:18]
.LBB92_13:                              ;   in Loop: Header=BB92_1 Depth=1
	s_or_b32 exec_lo, exec_lo, s13
	s_waitcnt lgkmcnt(0)
	s_barrier
	buffer_gl0_inv
	s_and_saveexec_b32 s13, s5
	s_cbranch_execz .LBB92_21
; %bb.14:                               ;   in Loop: Header=BB92_1 Depth=1
	ds_load_b64 v[19:20], v0
	s_waitcnt lgkmcnt(0)
	v_mov_b32_dpp v21, v19 row_shr:1 row_mask:0xf bank_mask:0xf
	v_mov_b32_dpp v22, v20 row_shr:1 row_mask:0xf bank_mask:0xf
	s_and_saveexec_b32 s14, s8
; %bb.15:                               ;   in Loop: Header=BB92_1 Depth=1
	s_delay_alu instid0(VALU_DEP_1)
	v_add_f64 v[19:20], v[19:20], v[21:22]
; %bb.16:                               ;   in Loop: Header=BB92_1 Depth=1
	s_or_b32 exec_lo, exec_lo, s14
	s_delay_alu instid0(VALU_DEP_1) | instskip(NEXT) | instid1(VALU_DEP_2)
	v_mov_b32_dpp v21, v19 row_shr:2 row_mask:0xf bank_mask:0xf
	v_mov_b32_dpp v22, v20 row_shr:2 row_mask:0xf bank_mask:0xf
	s_and_saveexec_b32 s14, s9
; %bb.17:                               ;   in Loop: Header=BB92_1 Depth=1
	s_delay_alu instid0(VALU_DEP_1)
	v_add_f64 v[19:20], v[19:20], v[21:22]
; %bb.18:                               ;   in Loop: Header=BB92_1 Depth=1
	s_or_b32 exec_lo, exec_lo, s14
	s_delay_alu instid0(VALU_DEP_1) | instskip(NEXT) | instid1(VALU_DEP_2)
	v_mov_b32_dpp v21, v19 row_shr:4 row_mask:0xf bank_mask:0xf
	v_mov_b32_dpp v22, v20 row_shr:4 row_mask:0xf bank_mask:0xf
	s_and_saveexec_b32 s14, s10
; %bb.19:                               ;   in Loop: Header=BB92_1 Depth=1
	s_delay_alu instid0(VALU_DEP_1)
	v_add_f64 v[19:20], v[19:20], v[21:22]
; %bb.20:                               ;   in Loop: Header=BB92_1 Depth=1
	s_or_b32 exec_lo, exec_lo, s14
	ds_store_b64 v0, v[19:20]
.LBB92_21:                              ;   in Loop: Header=BB92_1 Depth=1
	s_or_b32 exec_lo, exec_lo, s13
	s_waitcnt lgkmcnt(0)
	s_barrier
	buffer_gl0_inv
                                        ; implicit-def: $vgpr19_vgpr20
	s_and_saveexec_b32 s13, s6
	s_cbranch_execz .LBB92_23
; %bb.22:                               ;   in Loop: Header=BB92_1 Depth=1
	ds_load_b64 v[19:20], v25
	s_waitcnt lgkmcnt(0)
	v_add_f64 v[17:18], v[17:18], v[19:20]
.LBB92_23:                              ;   in Loop: Header=BB92_1 Depth=1
	s_or_b32 exec_lo, exec_lo, s13
	ds_bpermute_b32 v17, v23, v17
	ds_bpermute_b32 v18, v23, v18
	s_and_saveexec_b32 s13, s7
	s_cbranch_execz .LBB92_25
; %bb.24:                               ;   in Loop: Header=BB92_1 Depth=1
	s_waitcnt lgkmcnt(0)
	v_cndmask_b32_e64 v10, v18, v20, s11
	v_cndmask_b32_e64 v9, v17, v19, s11
	s_delay_alu instid0(VALU_DEP_1) | instskip(NEXT) | instid1(VALU_DEP_1)
	v_add_f64 v[1:2], v[1:2], v[9:10]
	v_add_f64 v[15:16], v[3:4], v[1:2]
	s_delay_alu instid0(VALU_DEP_1) | instskip(NEXT) | instid1(VALU_DEP_1)
	v_add_f64 v[9:10], v[5:6], v[15:16]
	v_add_f64 v[11:12], v[7:8], v[9:10]
.LBB92_25:                              ;   in Loop: Header=BB92_1 Depth=1
	s_or_b32 exec_lo, exec_lo, s13
	s_add_i32 s12, s12, -1
	s_delay_alu instid0(SALU_CYCLE_1)
	s_cmp_lg_u32 s12, 0
	s_cbranch_scc0 .LBB92_27
; %bb.26:                               ;   in Loop: Header=BB92_1 Depth=1
	v_dual_mov_b32 v3, v15 :: v_dual_mov_b32 v4, v16
	v_dual_mov_b32 v5, v9 :: v_dual_mov_b32 v6, v10
	s_delay_alu instid0(VALU_DEP_3)
	v_dual_mov_b32 v7, v11 :: v_dual_mov_b32 v8, v12
	s_branch .LBB92_1
.LBB92_27:
	v_add_co_u32 v5, vcc_lo, s18, v13
	v_add_co_ci_u32_e32 v6, vcc_lo, s19, v14, vcc_lo
	v_dual_mov_b32 v3, v15 :: v_dual_mov_b32 v4, v16
	s_clause 0x1
	global_store_b128 v[5:6], v[1:4], off
	global_store_b128 v[5:6], v[9:12], off offset:16
	s_nop 0
	s_sendmsg sendmsg(MSG_DEALLOC_VGPRS)
	s_endpgm
	.section	.rodata,"a",@progbits
	.p2align	6, 0x0
	.amdhsa_kernel _Z6kernelI14inclusive_scanILN6hipcub18BlockScanAlgorithmE0EEdLj256ELj4ELj100EEvPKT0_PS4_S4_
		.amdhsa_group_segment_fixed_size 64
		.amdhsa_private_segment_fixed_size 0
		.amdhsa_kernarg_size 280
		.amdhsa_user_sgpr_count 15
		.amdhsa_user_sgpr_dispatch_ptr 0
		.amdhsa_user_sgpr_queue_ptr 0
		.amdhsa_user_sgpr_kernarg_segment_ptr 1
		.amdhsa_user_sgpr_dispatch_id 0
		.amdhsa_user_sgpr_private_segment_size 0
		.amdhsa_wavefront_size32 1
		.amdhsa_uses_dynamic_stack 0
		.amdhsa_enable_private_segment 0
		.amdhsa_system_sgpr_workgroup_id_x 1
		.amdhsa_system_sgpr_workgroup_id_y 0
		.amdhsa_system_sgpr_workgroup_id_z 0
		.amdhsa_system_sgpr_workgroup_info 0
		.amdhsa_system_vgpr_workitem_id 0
		.amdhsa_next_free_vgpr 26
		.amdhsa_next_free_sgpr 20
		.amdhsa_reserve_vcc 1
		.amdhsa_float_round_mode_32 0
		.amdhsa_float_round_mode_16_64 0
		.amdhsa_float_denorm_mode_32 3
		.amdhsa_float_denorm_mode_16_64 3
		.amdhsa_dx10_clamp 1
		.amdhsa_ieee_mode 1
		.amdhsa_fp16_overflow 0
		.amdhsa_workgroup_processor_mode 1
		.amdhsa_memory_ordered 1
		.amdhsa_forward_progress 0
		.amdhsa_shared_vgpr_count 0
		.amdhsa_exception_fp_ieee_invalid_op 0
		.amdhsa_exception_fp_denorm_src 0
		.amdhsa_exception_fp_ieee_div_zero 0
		.amdhsa_exception_fp_ieee_overflow 0
		.amdhsa_exception_fp_ieee_underflow 0
		.amdhsa_exception_fp_ieee_inexact 0
		.amdhsa_exception_int_div_zero 0
	.end_amdhsa_kernel
	.section	.text._Z6kernelI14inclusive_scanILN6hipcub18BlockScanAlgorithmE0EEdLj256ELj4ELj100EEvPKT0_PS4_S4_,"axG",@progbits,_Z6kernelI14inclusive_scanILN6hipcub18BlockScanAlgorithmE0EEdLj256ELj4ELj100EEvPKT0_PS4_S4_,comdat
.Lfunc_end92:
	.size	_Z6kernelI14inclusive_scanILN6hipcub18BlockScanAlgorithmE0EEdLj256ELj4ELj100EEvPKT0_PS4_S4_, .Lfunc_end92-_Z6kernelI14inclusive_scanILN6hipcub18BlockScanAlgorithmE0EEdLj256ELj4ELj100EEvPKT0_PS4_S4_
                                        ; -- End function
	.section	.AMDGPU.csdata,"",@progbits
; Kernel info:
; codeLenInByte = 960
; NumSgprs: 22
; NumVgprs: 26
; ScratchSize: 0
; MemoryBound: 0
; FloatMode: 240
; IeeeMode: 1
; LDSByteSize: 64 bytes/workgroup (compile time only)
; SGPRBlocks: 2
; VGPRBlocks: 3
; NumSGPRsForWavesPerEU: 22
; NumVGPRsForWavesPerEU: 26
; Occupancy: 16
; WaveLimiterHint : 0
; COMPUTE_PGM_RSRC2:SCRATCH_EN: 0
; COMPUTE_PGM_RSRC2:USER_SGPR: 15
; COMPUTE_PGM_RSRC2:TRAP_HANDLER: 0
; COMPUTE_PGM_RSRC2:TGID_X_EN: 1
; COMPUTE_PGM_RSRC2:TGID_Y_EN: 0
; COMPUTE_PGM_RSRC2:TGID_Z_EN: 0
; COMPUTE_PGM_RSRC2:TIDIG_COMP_CNT: 0
	.section	.text._Z6kernelI14inclusive_scanILN6hipcub18BlockScanAlgorithmE0EEdLj256ELj8ELj100EEvPKT0_PS4_S4_,"axG",@progbits,_Z6kernelI14inclusive_scanILN6hipcub18BlockScanAlgorithmE0EEdLj256ELj8ELj100EEvPKT0_PS4_S4_,comdat
	.protected	_Z6kernelI14inclusive_scanILN6hipcub18BlockScanAlgorithmE0EEdLj256ELj8ELj100EEvPKT0_PS4_S4_ ; -- Begin function _Z6kernelI14inclusive_scanILN6hipcub18BlockScanAlgorithmE0EEdLj256ELj8ELj100EEvPKT0_PS4_S4_
	.globl	_Z6kernelI14inclusive_scanILN6hipcub18BlockScanAlgorithmE0EEdLj256ELj8ELj100EEvPKT0_PS4_S4_
	.p2align	8
	.type	_Z6kernelI14inclusive_scanILN6hipcub18BlockScanAlgorithmE0EEdLj256ELj8ELj100EEvPKT0_PS4_S4_,@function
_Z6kernelI14inclusive_scanILN6hipcub18BlockScanAlgorithmE0EEdLj256ELj8ELj100EEvPKT0_PS4_S4_: ; @_Z6kernelI14inclusive_scanILN6hipcub18BlockScanAlgorithmE0EEdLj256ELj8ELj100EEvPKT0_PS4_S4_
; %bb.0:
	s_clause 0x1
	s_load_b32 s2, s[0:1], 0x24
	s_load_b128 s[16:19], s[0:1], 0x0
	v_mbcnt_lo_u32_b32 v17, -1, 0
	v_mov_b32_e32 v2, 0
	v_or_b32_e32 v20, 31, v0
	v_cmp_lt_u32_e64 s6, 31, v0
	v_cmp_ne_u32_e64 s7, 0, v0
	v_and_b32_e32 v19, 16, v17
	v_add_nc_u32_e32 v21, -1, v17
	v_and_b32_e32 v18, 15, v17
	v_cmp_eq_u32_e64 s4, v20, v0
	v_and_b32_e32 v20, 7, v17
	v_cmp_ne_u32_e64 s3, 0, v19
	v_cmp_gt_i32_e64 s5, 0, v21
	v_lshrrev_b32_e32 v19, 2, v0
	v_cmp_lt_u32_e64 s1, 3, v18
	v_cmp_ne_u32_e64 s8, 0, v20
	v_cmp_lt_u32_e64 s9, 1, v20
	v_cmp_lt_u32_e64 s10, 3, v20
	v_and_b32_e32 v40, 56, v19
	s_waitcnt lgkmcnt(0)
	s_and_b32 s0, s2, 0xffff
	v_cmp_lt_u32_e64 s2, 7, v18
	s_mul_i32 s15, s15, s0
	v_cmp_lt_u32_e64 s0, 1, v18
	v_add_lshl_u32 v1, s15, v0, 3
	v_add_nc_u32_e32 v41, -8, v40
	v_cmp_eq_u32_e64 s11, 0, v17
	s_movk_i32 s12, 0x64
	s_delay_alu instid0(VALU_DEP_3) | instskip(NEXT) | instid1(VALU_DEP_1)
	v_lshlrev_b64 v[29:30], 3, v[1:2]
	v_add_co_u32 v1, vcc_lo, s16, v29
	s_delay_alu instid0(VALU_DEP_2)
	v_add_co_ci_u32_e32 v2, vcc_lo, s17, v30, vcc_lo
	v_cmp_ne_u32_e32 vcc_lo, 0, v18
	v_cndmask_b32_e64 v18, v21, v17, s5
	v_cmp_gt_u32_e64 s5, 8, v0
	s_clause 0x3
	global_load_b128 v[5:8], v[1:2], off offset:48
	global_load_b128 v[9:12], v[1:2], off offset:32
	;; [unrolled: 1-line block ×3, first 2 shown]
	global_load_b128 v[1:4], v[1:2], off
	v_lshlrev_b32_e32 v0, 3, v0
	v_lshlrev_b32_e32 v39, 2, v18
.LBB93_1:                               ; =>This Inner Loop Header: Depth=1
	s_waitcnt vmcnt(0)
	s_delay_alu instid0(VALU_DEP_1) | instskip(NEXT) | instid1(VALU_DEP_1)
	v_add_f64 v[31:32], v[3:4], v[1:2]
	v_add_f64 v[25:26], v[13:14], v[31:32]
	s_delay_alu instid0(VALU_DEP_1) | instskip(NEXT) | instid1(VALU_DEP_1)
	v_add_f64 v[27:28], v[15:16], v[25:26]
	v_add_f64 v[21:22], v[9:10], v[27:28]
	;; [unrolled: 3-line block ×3, first 2 shown]
	s_delay_alu instid0(VALU_DEP_1) | instskip(NEXT) | instid1(VALU_DEP_1)
	v_add_f64 v[19:20], v[7:8], v[17:18]
	v_mov_b32_dpp v37, v19 row_shr:1 row_mask:0xf bank_mask:0xf
	s_delay_alu instid0(VALU_DEP_2)
	v_mov_b32_dpp v38, v20 row_shr:1 row_mask:0xf bank_mask:0xf
	s_waitcnt lgkmcnt(0)
	v_dual_mov_b32 v34, v20 :: v_dual_mov_b32 v33, v19
	v_dual_mov_b32 v36, v20 :: v_dual_mov_b32 v35, v19
	s_and_saveexec_b32 s13, vcc_lo
; %bb.2:                                ;   in Loop: Header=BB93_1 Depth=1
	v_add_f64 v[33:34], v[19:20], v[37:38]
	s_delay_alu instid0(VALU_DEP_1)
	v_dual_mov_b32 v36, v34 :: v_dual_mov_b32 v35, v33
; %bb.3:                                ;   in Loop: Header=BB93_1 Depth=1
	s_or_b32 exec_lo, exec_lo, s13
	s_delay_alu instid0(VALU_DEP_1) | instskip(NEXT) | instid1(VALU_DEP_2)
	v_mov_b32_dpp v37, v35 row_shr:2 row_mask:0xf bank_mask:0xf
	v_mov_b32_dpp v38, v36 row_shr:2 row_mask:0xf bank_mask:0xf
	s_and_saveexec_b32 s13, s0
; %bb.4:                                ;   in Loop: Header=BB93_1 Depth=1
	s_delay_alu instid0(VALU_DEP_1) | instskip(NEXT) | instid1(VALU_DEP_1)
	v_add_f64 v[35:36], v[33:34], v[37:38]
	v_dual_mov_b32 v33, v35 :: v_dual_mov_b32 v34, v36
; %bb.5:                                ;   in Loop: Header=BB93_1 Depth=1
	s_or_b32 exec_lo, exec_lo, s13
	v_mov_b32_dpp v37, v35 row_shr:4 row_mask:0xf bank_mask:0xf
	v_mov_b32_dpp v38, v36 row_shr:4 row_mask:0xf bank_mask:0xf
	s_and_saveexec_b32 s13, s1
; %bb.6:                                ;   in Loop: Header=BB93_1 Depth=1
	s_delay_alu instid0(VALU_DEP_1) | instskip(NEXT) | instid1(VALU_DEP_1)
	v_add_f64 v[35:36], v[33:34], v[37:38]
	v_dual_mov_b32 v33, v35 :: v_dual_mov_b32 v34, v36
; %bb.7:                                ;   in Loop: Header=BB93_1 Depth=1
	s_or_b32 exec_lo, exec_lo, s13
	;; [unrolled: 9-line block ×3, first 2 shown]
	ds_swizzle_b32 v35, v35 offset:swizzle(BROADCAST,32,15)
	ds_swizzle_b32 v36, v36 offset:swizzle(BROADCAST,32,15)
	s_and_saveexec_b32 s13, s3
	s_cbranch_execz .LBB93_11
; %bb.10:                               ;   in Loop: Header=BB93_1 Depth=1
	s_waitcnt lgkmcnt(0)
	v_add_f64 v[33:34], v[33:34], v[35:36]
.LBB93_11:                              ;   in Loop: Header=BB93_1 Depth=1
	s_or_b32 exec_lo, exec_lo, s13
	s_and_saveexec_b32 s13, s4
	s_cbranch_execz .LBB93_13
; %bb.12:                               ;   in Loop: Header=BB93_1 Depth=1
	ds_store_b64 v40, v[33:34]
.LBB93_13:                              ;   in Loop: Header=BB93_1 Depth=1
	s_or_b32 exec_lo, exec_lo, s13
	s_waitcnt lgkmcnt(0)
	s_barrier
	buffer_gl0_inv
	s_and_saveexec_b32 s13, s5
	s_cbranch_execz .LBB93_21
; %bb.14:                               ;   in Loop: Header=BB93_1 Depth=1
	ds_load_b64 v[35:36], v0
	s_waitcnt lgkmcnt(0)
	v_mov_b32_dpp v37, v35 row_shr:1 row_mask:0xf bank_mask:0xf
	v_mov_b32_dpp v38, v36 row_shr:1 row_mask:0xf bank_mask:0xf
	s_and_saveexec_b32 s14, s8
; %bb.15:                               ;   in Loop: Header=BB93_1 Depth=1
	s_delay_alu instid0(VALU_DEP_1)
	v_add_f64 v[35:36], v[35:36], v[37:38]
; %bb.16:                               ;   in Loop: Header=BB93_1 Depth=1
	s_or_b32 exec_lo, exec_lo, s14
	s_delay_alu instid0(VALU_DEP_1) | instskip(NEXT) | instid1(VALU_DEP_2)
	v_mov_b32_dpp v37, v35 row_shr:2 row_mask:0xf bank_mask:0xf
	v_mov_b32_dpp v38, v36 row_shr:2 row_mask:0xf bank_mask:0xf
	s_and_saveexec_b32 s14, s9
; %bb.17:                               ;   in Loop: Header=BB93_1 Depth=1
	s_delay_alu instid0(VALU_DEP_1)
	v_add_f64 v[35:36], v[35:36], v[37:38]
; %bb.18:                               ;   in Loop: Header=BB93_1 Depth=1
	s_or_b32 exec_lo, exec_lo, s14
	s_delay_alu instid0(VALU_DEP_1) | instskip(NEXT) | instid1(VALU_DEP_2)
	v_mov_b32_dpp v37, v35 row_shr:4 row_mask:0xf bank_mask:0xf
	v_mov_b32_dpp v38, v36 row_shr:4 row_mask:0xf bank_mask:0xf
	s_and_saveexec_b32 s14, s10
; %bb.19:                               ;   in Loop: Header=BB93_1 Depth=1
	s_delay_alu instid0(VALU_DEP_1)
	v_add_f64 v[35:36], v[35:36], v[37:38]
; %bb.20:                               ;   in Loop: Header=BB93_1 Depth=1
	s_or_b32 exec_lo, exec_lo, s14
	ds_store_b64 v0, v[35:36]
.LBB93_21:                              ;   in Loop: Header=BB93_1 Depth=1
	s_or_b32 exec_lo, exec_lo, s13
	s_waitcnt lgkmcnt(0)
	s_barrier
	buffer_gl0_inv
                                        ; implicit-def: $vgpr35_vgpr36
	s_and_saveexec_b32 s13, s6
	s_cbranch_execz .LBB93_23
; %bb.22:                               ;   in Loop: Header=BB93_1 Depth=1
	ds_load_b64 v[35:36], v41
	s_waitcnt lgkmcnt(0)
	v_add_f64 v[33:34], v[33:34], v[35:36]
.LBB93_23:                              ;   in Loop: Header=BB93_1 Depth=1
	s_or_b32 exec_lo, exec_lo, s13
	ds_bpermute_b32 v33, v39, v33
	ds_bpermute_b32 v34, v39, v34
	s_and_saveexec_b32 s13, s7
	s_cbranch_execz .LBB93_25
; %bb.24:                               ;   in Loop: Header=BB93_1 Depth=1
	s_waitcnt lgkmcnt(0)
	v_cndmask_b32_e64 v18, v34, v36, s11
	v_cndmask_b32_e64 v17, v33, v35, s11
	s_delay_alu instid0(VALU_DEP_1) | instskip(NEXT) | instid1(VALU_DEP_1)
	v_add_f64 v[1:2], v[1:2], v[17:18]
	v_add_f64 v[31:32], v[3:4], v[1:2]
	s_delay_alu instid0(VALU_DEP_1) | instskip(NEXT) | instid1(VALU_DEP_1)
	v_add_f64 v[25:26], v[13:14], v[31:32]
	v_add_f64 v[27:28], v[15:16], v[25:26]
	;; [unrolled: 3-line block ×4, first 2 shown]
.LBB93_25:                              ;   in Loop: Header=BB93_1 Depth=1
	s_or_b32 exec_lo, exec_lo, s13
	s_add_i32 s12, s12, -1
	s_delay_alu instid0(SALU_CYCLE_1)
	s_cmp_lg_u32 s12, 0
	s_cbranch_scc0 .LBB93_27
; %bb.26:                               ;   in Loop: Header=BB93_1 Depth=1
	s_delay_alu instid0(VALU_DEP_1)
	v_dual_mov_b32 v7, v19 :: v_dual_mov_b32 v8, v20
	v_dual_mov_b32 v5, v17 :: v_dual_mov_b32 v6, v18
	;; [unrolled: 1-line block ×7, first 2 shown]
	s_branch .LBB93_1
.LBB93_27:
	v_add_co_u32 v5, vcc_lo, s18, v29
	v_add_co_ci_u32_e32 v6, vcc_lo, s19, v30, vcc_lo
	v_dual_mov_b32 v3, v31 :: v_dual_mov_b32 v4, v32
	s_clause 0x3
	global_store_b128 v[5:6], v[1:4], off
	global_store_b128 v[5:6], v[25:28], off offset:16
	global_store_b128 v[5:6], v[21:24], off offset:32
	;; [unrolled: 1-line block ×3, first 2 shown]
	s_nop 0
	s_sendmsg sendmsg(MSG_DEALLOC_VGPRS)
	s_endpgm
	.section	.rodata,"a",@progbits
	.p2align	6, 0x0
	.amdhsa_kernel _Z6kernelI14inclusive_scanILN6hipcub18BlockScanAlgorithmE0EEdLj256ELj8ELj100EEvPKT0_PS4_S4_
		.amdhsa_group_segment_fixed_size 64
		.amdhsa_private_segment_fixed_size 0
		.amdhsa_kernarg_size 280
		.amdhsa_user_sgpr_count 15
		.amdhsa_user_sgpr_dispatch_ptr 0
		.amdhsa_user_sgpr_queue_ptr 0
		.amdhsa_user_sgpr_kernarg_segment_ptr 1
		.amdhsa_user_sgpr_dispatch_id 0
		.amdhsa_user_sgpr_private_segment_size 0
		.amdhsa_wavefront_size32 1
		.amdhsa_uses_dynamic_stack 0
		.amdhsa_enable_private_segment 0
		.amdhsa_system_sgpr_workgroup_id_x 1
		.amdhsa_system_sgpr_workgroup_id_y 0
		.amdhsa_system_sgpr_workgroup_id_z 0
		.amdhsa_system_sgpr_workgroup_info 0
		.amdhsa_system_vgpr_workitem_id 0
		.amdhsa_next_free_vgpr 42
		.amdhsa_next_free_sgpr 20
		.amdhsa_reserve_vcc 1
		.amdhsa_float_round_mode_32 0
		.amdhsa_float_round_mode_16_64 0
		.amdhsa_float_denorm_mode_32 3
		.amdhsa_float_denorm_mode_16_64 3
		.amdhsa_dx10_clamp 1
		.amdhsa_ieee_mode 1
		.amdhsa_fp16_overflow 0
		.amdhsa_workgroup_processor_mode 1
		.amdhsa_memory_ordered 1
		.amdhsa_forward_progress 0
		.amdhsa_shared_vgpr_count 0
		.amdhsa_exception_fp_ieee_invalid_op 0
		.amdhsa_exception_fp_denorm_src 0
		.amdhsa_exception_fp_ieee_div_zero 0
		.amdhsa_exception_fp_ieee_overflow 0
		.amdhsa_exception_fp_ieee_underflow 0
		.amdhsa_exception_fp_ieee_inexact 0
		.amdhsa_exception_int_div_zero 0
	.end_amdhsa_kernel
	.section	.text._Z6kernelI14inclusive_scanILN6hipcub18BlockScanAlgorithmE0EEdLj256ELj8ELj100EEvPKT0_PS4_S4_,"axG",@progbits,_Z6kernelI14inclusive_scanILN6hipcub18BlockScanAlgorithmE0EEdLj256ELj8ELj100EEvPKT0_PS4_S4_,comdat
.Lfunc_end93:
	.size	_Z6kernelI14inclusive_scanILN6hipcub18BlockScanAlgorithmE0EEdLj256ELj8ELj100EEvPKT0_PS4_S4_, .Lfunc_end93-_Z6kernelI14inclusive_scanILN6hipcub18BlockScanAlgorithmE0EEdLj256ELj8ELj100EEvPKT0_PS4_S4_
                                        ; -- End function
	.section	.AMDGPU.csdata,"",@progbits
; Kernel info:
; codeLenInByte = 1108
; NumSgprs: 22
; NumVgprs: 42
; ScratchSize: 0
; MemoryBound: 0
; FloatMode: 240
; IeeeMode: 1
; LDSByteSize: 64 bytes/workgroup (compile time only)
; SGPRBlocks: 2
; VGPRBlocks: 5
; NumSGPRsForWavesPerEU: 22
; NumVGPRsForWavesPerEU: 42
; Occupancy: 16
; WaveLimiterHint : 0
; COMPUTE_PGM_RSRC2:SCRATCH_EN: 0
; COMPUTE_PGM_RSRC2:USER_SGPR: 15
; COMPUTE_PGM_RSRC2:TRAP_HANDLER: 0
; COMPUTE_PGM_RSRC2:TGID_X_EN: 1
; COMPUTE_PGM_RSRC2:TGID_Y_EN: 0
; COMPUTE_PGM_RSRC2:TGID_Z_EN: 0
; COMPUTE_PGM_RSRC2:TIDIG_COMP_CNT: 0
	.section	.text._Z6kernelI14inclusive_scanILN6hipcub18BlockScanAlgorithmE0EEdLj256ELj11ELj100EEvPKT0_PS4_S4_,"axG",@progbits,_Z6kernelI14inclusive_scanILN6hipcub18BlockScanAlgorithmE0EEdLj256ELj11ELj100EEvPKT0_PS4_S4_,comdat
	.protected	_Z6kernelI14inclusive_scanILN6hipcub18BlockScanAlgorithmE0EEdLj256ELj11ELj100EEvPKT0_PS4_S4_ ; -- Begin function _Z6kernelI14inclusive_scanILN6hipcub18BlockScanAlgorithmE0EEdLj256ELj11ELj100EEvPKT0_PS4_S4_
	.globl	_Z6kernelI14inclusive_scanILN6hipcub18BlockScanAlgorithmE0EEdLj256ELj11ELj100EEvPKT0_PS4_S4_
	.p2align	8
	.type	_Z6kernelI14inclusive_scanILN6hipcub18BlockScanAlgorithmE0EEdLj256ELj11ELj100EEvPKT0_PS4_S4_,@function
_Z6kernelI14inclusive_scanILN6hipcub18BlockScanAlgorithmE0EEdLj256ELj11ELj100EEvPKT0_PS4_S4_: ; @_Z6kernelI14inclusive_scanILN6hipcub18BlockScanAlgorithmE0EEdLj256ELj11ELj100EEvPKT0_PS4_S4_
; %bb.0:
	s_load_b32 s2, s[0:1], 0x24
	v_cmp_lt_u32_e64 s6, 31, v0
	v_cmp_ne_u32_e64 s7, 0, v0
	s_waitcnt lgkmcnt(0)
	s_and_b32 s2, s2, 0xffff
	s_delay_alu instid0(SALU_CYCLE_1) | instskip(SKIP_1) | instid1(VALU_DEP_1)
	v_mad_u64_u32 v[1:2], null, s15, s2, v[0:1]
	s_load_b128 s[12:15], s[0:1], 0x0
	v_mul_lo_u32 v23, v1, 11
	s_delay_alu instid0(VALU_DEP_1) | instskip(NEXT) | instid1(VALU_DEP_1)
	v_dual_mov_b32 v24, 0 :: v_dual_add_nc_u32 v1, 1, v23
	v_dual_mov_b32 v2, v24 :: v_dual_add_nc_u32 v3, 2, v23
	v_lshlrev_b64 v[15:16], 3, v[23:24]
	v_dual_mov_b32 v4, v24 :: v_dual_add_nc_u32 v5, 3, v23
	v_dual_mov_b32 v6, v24 :: v_dual_add_nc_u32 v7, 4, v23
	;; [unrolled: 1-line block ×3, first 2 shown]
	v_lshlrev_b64 v[17:18], 3, v[1:2]
	v_dual_mov_b32 v12, v24 :: v_dual_add_nc_u32 v19, 6, v23
	v_lshlrev_b64 v[13:14], 3, v[3:4]
	v_lshlrev_b64 v[9:10], 3, v[5:6]
	v_lshlrev_b64 v[5:6], 3, v[7:8]
	s_waitcnt lgkmcnt(0)
	v_add_co_u32 v7, vcc_lo, s12, v15
	v_dual_mov_b32 v20, v24 :: v_dual_add_nc_u32 v31, 7, v23
	v_add_co_ci_u32_e32 v8, vcc_lo, s13, v16, vcc_lo
	v_lshlrev_b64 v[3:4], 3, v[11:12]
	v_add_co_u32 v11, vcc_lo, s12, v17
	v_add_co_ci_u32_e32 v12, vcc_lo, s13, v18, vcc_lo
	v_lshlrev_b64 v[1:2], 3, v[19:20]
	v_add_co_u32 v19, vcc_lo, s12, v13
	v_add_co_ci_u32_e32 v20, vcc_lo, s13, v14, vcc_lo
	v_add_co_u32 v25, vcc_lo, s12, v9
	v_mov_b32_e32 v32, v24
	v_add_co_ci_u32_e32 v26, vcc_lo, s13, v10, vcc_lo
	v_add_co_u32 v33, vcc_lo, s12, v5
	s_clause 0x3
	global_load_b64 v[21:22], v[7:8], off
	global_load_b64 v[29:30], v[11:12], off
	;; [unrolled: 1-line block ×4, first 2 shown]
	v_dual_mov_b32 v12, v24 :: v_dual_add_nc_u32 v11, 8, v23
	v_add_nc_u32_e32 v19, 9, v23
	v_add_co_ci_u32_e32 v34, vcc_lo, s13, v6, vcc_lo
	v_add_co_u32 v35, vcc_lo, s12, v3
	v_lshlrev_b64 v[7:8], 3, v[31:32]
	v_dual_mov_b32 v20, v24 :: v_dual_add_nc_u32 v23, 10, v23
	v_add_co_ci_u32_e32 v36, vcc_lo, s13, v4, vcc_lo
	v_add_co_u32 v31, vcc_lo, s12, v1
	v_lshlrev_b64 v[11:12], 3, v[11:12]
	v_add_co_ci_u32_e32 v32, vcc_lo, s13, v2, vcc_lo
	v_add_co_u32 v37, vcc_lo, s12, v7
	v_lshlrev_b64 v[19:20], 3, v[19:20]
	;; [unrolled: 3-line block ×3, first 2 shown]
	v_add_co_ci_u32_e32 v40, vcc_lo, s13, v12, vcc_lo
	v_add_co_u32 v43, vcc_lo, s12, v19
	v_add_co_ci_u32_e32 v44, vcc_lo, s13, v20, vcc_lo
	s_delay_alu instid0(VALU_DEP_4)
	v_add_co_u32 v49, vcc_lo, s12, v23
	v_add_co_ci_u32_e32 v50, vcc_lo, s13, v24, vcc_lo
	s_clause 0x6
	global_load_b64 v[53:54], v[33:34], off
	global_load_b64 v[51:52], v[35:36], off
	;; [unrolled: 1-line block ×7, first 2 shown]
	v_mbcnt_lo_u32_b32 v31, -1, 0
	v_or_b32_e32 v34, 31, v0
	s_movk_i32 s12, 0x64
	s_delay_alu instid0(VALU_DEP_2)
	v_and_b32_e32 v33, 16, v31
	v_add_nc_u32_e32 v35, -1, v31
	v_and_b32_e32 v32, 15, v31
	v_cmp_eq_u32_e64 s4, v34, v0
	v_and_b32_e32 v34, 7, v31
	v_cmp_ne_u32_e64 s3, 0, v33
	v_cmp_gt_i32_e64 s5, 0, v35
	v_lshrrev_b32_e32 v33, 2, v0
	v_cmp_ne_u32_e32 vcc_lo, 0, v32
	v_cmp_lt_u32_e64 s0, 1, v32
	v_cmp_lt_u32_e64 s1, 3, v32
	;; [unrolled: 1-line block ×3, first 2 shown]
	v_cndmask_b32_e64 v32, v35, v31, s5
	v_and_b32_e32 v72, 56, v33
	v_cmp_gt_u32_e64 s5, 8, v0
	v_lshlrev_b32_e32 v0, 3, v0
	v_cmp_ne_u32_e64 s8, 0, v34
	v_lshlrev_b32_e32 v71, 2, v32
	v_cmp_lt_u32_e64 s9, 1, v34
	v_cmp_lt_u32_e64 s10, 3, v34
	v_add_nc_u32_e32 v73, -8, v72
	v_cmp_eq_u32_e64 s11, 0, v31
.LBB94_1:                               ; =>This Inner Loop Header: Depth=1
	s_waitcnt vmcnt(9)
	s_delay_alu instid0(VALU_DEP_1) | instskip(SKIP_1) | instid1(VALU_DEP_1)
	v_add_f64 v[59:60], v[29:30], v[21:22]
	s_waitcnt vmcnt(8)
	v_add_f64 v[63:64], v[27:28], v[59:60]
	s_waitcnt vmcnt(7)
	s_delay_alu instid0(VALU_DEP_1) | instskip(SKIP_1) | instid1(VALU_DEP_1)
	v_add_f64 v[61:62], v[25:26], v[63:64]
	s_waitcnt vmcnt(6)
	v_add_f64 v[31:32], v[53:54], v[61:62]
	;; [unrolled: 5-line block ×5, first 2 shown]
	s_delay_alu instid0(VALU_DEP_1) | instskip(NEXT) | instid1(VALU_DEP_2)
	v_mov_b32_dpp v69, v55 row_shr:1 row_mask:0xf bank_mask:0xf
	v_mov_b32_dpp v70, v56 row_shr:1 row_mask:0xf bank_mask:0xf
	s_waitcnt lgkmcnt(0)
	v_dual_mov_b32 v66, v56 :: v_dual_mov_b32 v65, v55
	v_dual_mov_b32 v68, v56 :: v_dual_mov_b32 v67, v55
	s_and_saveexec_b32 s13, vcc_lo
; %bb.2:                                ;   in Loop: Header=BB94_1 Depth=1
	v_add_f64 v[65:66], v[55:56], v[69:70]
	s_delay_alu instid0(VALU_DEP_1)
	v_dual_mov_b32 v68, v66 :: v_dual_mov_b32 v67, v65
; %bb.3:                                ;   in Loop: Header=BB94_1 Depth=1
	s_or_b32 exec_lo, exec_lo, s13
	s_delay_alu instid0(VALU_DEP_1) | instskip(NEXT) | instid1(VALU_DEP_2)
	v_mov_b32_dpp v69, v67 row_shr:2 row_mask:0xf bank_mask:0xf
	v_mov_b32_dpp v70, v68 row_shr:2 row_mask:0xf bank_mask:0xf
	s_and_saveexec_b32 s13, s0
; %bb.4:                                ;   in Loop: Header=BB94_1 Depth=1
	s_delay_alu instid0(VALU_DEP_1) | instskip(NEXT) | instid1(VALU_DEP_1)
	v_add_f64 v[67:68], v[65:66], v[69:70]
	v_dual_mov_b32 v65, v67 :: v_dual_mov_b32 v66, v68
; %bb.5:                                ;   in Loop: Header=BB94_1 Depth=1
	s_or_b32 exec_lo, exec_lo, s13
	v_mov_b32_dpp v69, v67 row_shr:4 row_mask:0xf bank_mask:0xf
	v_mov_b32_dpp v70, v68 row_shr:4 row_mask:0xf bank_mask:0xf
	s_and_saveexec_b32 s13, s1
; %bb.6:                                ;   in Loop: Header=BB94_1 Depth=1
	s_delay_alu instid0(VALU_DEP_1) | instskip(NEXT) | instid1(VALU_DEP_1)
	v_add_f64 v[67:68], v[65:66], v[69:70]
	v_dual_mov_b32 v65, v67 :: v_dual_mov_b32 v66, v68
; %bb.7:                                ;   in Loop: Header=BB94_1 Depth=1
	s_or_b32 exec_lo, exec_lo, s13
	;; [unrolled: 9-line block ×3, first 2 shown]
	ds_swizzle_b32 v67, v67 offset:swizzle(BROADCAST,32,15)
	ds_swizzle_b32 v68, v68 offset:swizzle(BROADCAST,32,15)
	s_and_saveexec_b32 s13, s3
	s_cbranch_execz .LBB94_11
; %bb.10:                               ;   in Loop: Header=BB94_1 Depth=1
	s_waitcnt lgkmcnt(0)
	v_add_f64 v[65:66], v[65:66], v[67:68]
.LBB94_11:                              ;   in Loop: Header=BB94_1 Depth=1
	s_or_b32 exec_lo, exec_lo, s13
	s_and_saveexec_b32 s13, s4
	s_cbranch_execz .LBB94_13
; %bb.12:                               ;   in Loop: Header=BB94_1 Depth=1
	ds_store_b64 v72, v[65:66]
.LBB94_13:                              ;   in Loop: Header=BB94_1 Depth=1
	s_or_b32 exec_lo, exec_lo, s13
	s_waitcnt lgkmcnt(0)
	s_barrier
	buffer_gl0_inv
	s_and_saveexec_b32 s13, s5
	s_cbranch_execz .LBB94_21
; %bb.14:                               ;   in Loop: Header=BB94_1 Depth=1
	ds_load_b64 v[67:68], v0
	s_waitcnt lgkmcnt(0)
	v_mov_b32_dpp v69, v67 row_shr:1 row_mask:0xf bank_mask:0xf
	v_mov_b32_dpp v70, v68 row_shr:1 row_mask:0xf bank_mask:0xf
	s_and_saveexec_b32 s16, s8
; %bb.15:                               ;   in Loop: Header=BB94_1 Depth=1
	s_delay_alu instid0(VALU_DEP_1)
	v_add_f64 v[67:68], v[67:68], v[69:70]
; %bb.16:                               ;   in Loop: Header=BB94_1 Depth=1
	s_or_b32 exec_lo, exec_lo, s16
	s_delay_alu instid0(VALU_DEP_1) | instskip(NEXT) | instid1(VALU_DEP_2)
	v_mov_b32_dpp v69, v67 row_shr:2 row_mask:0xf bank_mask:0xf
	v_mov_b32_dpp v70, v68 row_shr:2 row_mask:0xf bank_mask:0xf
	s_and_saveexec_b32 s16, s9
; %bb.17:                               ;   in Loop: Header=BB94_1 Depth=1
	s_delay_alu instid0(VALU_DEP_1)
	v_add_f64 v[67:68], v[67:68], v[69:70]
; %bb.18:                               ;   in Loop: Header=BB94_1 Depth=1
	s_or_b32 exec_lo, exec_lo, s16
	s_delay_alu instid0(VALU_DEP_1) | instskip(NEXT) | instid1(VALU_DEP_2)
	v_mov_b32_dpp v69, v67 row_shr:4 row_mask:0xf bank_mask:0xf
	v_mov_b32_dpp v70, v68 row_shr:4 row_mask:0xf bank_mask:0xf
	s_and_saveexec_b32 s16, s10
; %bb.19:                               ;   in Loop: Header=BB94_1 Depth=1
	s_delay_alu instid0(VALU_DEP_1)
	v_add_f64 v[67:68], v[67:68], v[69:70]
; %bb.20:                               ;   in Loop: Header=BB94_1 Depth=1
	s_or_b32 exec_lo, exec_lo, s16
	ds_store_b64 v0, v[67:68]
.LBB94_21:                              ;   in Loop: Header=BB94_1 Depth=1
	s_or_b32 exec_lo, exec_lo, s13
	s_waitcnt lgkmcnt(0)
	s_barrier
	buffer_gl0_inv
                                        ; implicit-def: $vgpr67_vgpr68
	s_and_saveexec_b32 s13, s6
	s_cbranch_execz .LBB94_23
; %bb.22:                               ;   in Loop: Header=BB94_1 Depth=1
	ds_load_b64 v[67:68], v73
	s_waitcnt lgkmcnt(0)
	v_add_f64 v[65:66], v[65:66], v[67:68]
.LBB94_23:                              ;   in Loop: Header=BB94_1 Depth=1
	s_or_b32 exec_lo, exec_lo, s13
	ds_bpermute_b32 v65, v71, v65
	ds_bpermute_b32 v66, v71, v66
	s_and_saveexec_b32 s13, s7
	s_cbranch_execz .LBB94_25
; %bb.24:                               ;   in Loop: Header=BB94_1 Depth=1
	s_waitcnt lgkmcnt(0)
	v_cndmask_b32_e64 v32, v66, v68, s11
	v_cndmask_b32_e64 v31, v65, v67, s11
	s_delay_alu instid0(VALU_DEP_1) | instskip(NEXT) | instid1(VALU_DEP_1)
	v_add_f64 v[21:22], v[21:22], v[31:32]
	v_add_f64 v[59:60], v[29:30], v[21:22]
	s_delay_alu instid0(VALU_DEP_1) | instskip(NEXT) | instid1(VALU_DEP_1)
	v_add_f64 v[63:64], v[27:28], v[59:60]
	v_add_f64 v[61:62], v[25:26], v[63:64]
	;; [unrolled: 3-line block ×5, first 2 shown]
	s_delay_alu instid0(VALU_DEP_1)
	v_add_f64 v[55:56], v[39:40], v[57:58]
.LBB94_25:                              ;   in Loop: Header=BB94_1 Depth=1
	s_or_b32 exec_lo, exec_lo, s13
	s_add_i32 s12, s12, -1
	s_delay_alu instid0(SALU_CYCLE_1)
	s_cmp_lg_u32 s12, 0
	s_cbranch_scc0 .LBB94_27
; %bb.26:                               ;   in Loop: Header=BB94_1 Depth=1
	s_delay_alu instid0(VALU_DEP_1)
	v_dual_mov_b32 v39, v55 :: v_dual_mov_b32 v40, v56
	v_dual_mov_b32 v37, v57 :: v_dual_mov_b32 v38, v58
	;; [unrolled: 1-line block ×10, first 2 shown]
	s_branch .LBB94_1
.LBB94_27:
	v_add_co_u32 v15, vcc_lo, s14, v15
	v_add_co_ci_u32_e32 v16, vcc_lo, s15, v16, vcc_lo
	v_add_co_u32 v17, vcc_lo, s14, v17
	v_add_co_ci_u32_e32 v18, vcc_lo, s15, v18, vcc_lo
	;; [unrolled: 2-line block ×8, first 2 shown]
	s_clause 0x3
	global_store_b64 v[15:16], v[21:22], off
	global_store_b64 v[17:18], v[59:60], off
	;; [unrolled: 1-line block ×4, first 2 shown]
	v_add_co_u32 v9, vcc_lo, s14, v11
	v_add_co_ci_u32_e32 v10, vcc_lo, s15, v12, vcc_lo
	v_add_co_u32 v11, vcc_lo, s14, v19
	v_add_co_ci_u32_e32 v12, vcc_lo, s15, v20, vcc_lo
	v_add_co_u32 v13, vcc_lo, s14, v23
	v_add_co_ci_u32_e32 v14, vcc_lo, s15, v24, vcc_lo
	s_clause 0x6
	global_store_b64 v[5:6], v[31:32], off
	global_store_b64 v[3:4], v[33:34], off
	global_store_b64 v[0:1], v[35:36], off
	global_store_b64 v[7:8], v[43:44], off
	global_store_b64 v[9:10], v[49:50], off
	global_store_b64 v[11:12], v[57:58], off
	global_store_b64 v[13:14], v[55:56], off
	s_nop 0
	s_sendmsg sendmsg(MSG_DEALLOC_VGPRS)
	s_endpgm
	.section	.rodata,"a",@progbits
	.p2align	6, 0x0
	.amdhsa_kernel _Z6kernelI14inclusive_scanILN6hipcub18BlockScanAlgorithmE0EEdLj256ELj11ELj100EEvPKT0_PS4_S4_
		.amdhsa_group_segment_fixed_size 64
		.amdhsa_private_segment_fixed_size 0
		.amdhsa_kernarg_size 280
		.amdhsa_user_sgpr_count 15
		.amdhsa_user_sgpr_dispatch_ptr 0
		.amdhsa_user_sgpr_queue_ptr 0
		.amdhsa_user_sgpr_kernarg_segment_ptr 1
		.amdhsa_user_sgpr_dispatch_id 0
		.amdhsa_user_sgpr_private_segment_size 0
		.amdhsa_wavefront_size32 1
		.amdhsa_uses_dynamic_stack 0
		.amdhsa_enable_private_segment 0
		.amdhsa_system_sgpr_workgroup_id_x 1
		.amdhsa_system_sgpr_workgroup_id_y 0
		.amdhsa_system_sgpr_workgroup_id_z 0
		.amdhsa_system_sgpr_workgroup_info 0
		.amdhsa_system_vgpr_workitem_id 0
		.amdhsa_next_free_vgpr 74
		.amdhsa_next_free_sgpr 17
		.amdhsa_reserve_vcc 1
		.amdhsa_float_round_mode_32 0
		.amdhsa_float_round_mode_16_64 0
		.amdhsa_float_denorm_mode_32 3
		.amdhsa_float_denorm_mode_16_64 3
		.amdhsa_dx10_clamp 1
		.amdhsa_ieee_mode 1
		.amdhsa_fp16_overflow 0
		.amdhsa_workgroup_processor_mode 1
		.amdhsa_memory_ordered 1
		.amdhsa_forward_progress 0
		.amdhsa_shared_vgpr_count 0
		.amdhsa_exception_fp_ieee_invalid_op 0
		.amdhsa_exception_fp_denorm_src 0
		.amdhsa_exception_fp_ieee_div_zero 0
		.amdhsa_exception_fp_ieee_overflow 0
		.amdhsa_exception_fp_ieee_underflow 0
		.amdhsa_exception_fp_ieee_inexact 0
		.amdhsa_exception_int_div_zero 0
	.end_amdhsa_kernel
	.section	.text._Z6kernelI14inclusive_scanILN6hipcub18BlockScanAlgorithmE0EEdLj256ELj11ELj100EEvPKT0_PS4_S4_,"axG",@progbits,_Z6kernelI14inclusive_scanILN6hipcub18BlockScanAlgorithmE0EEdLj256ELj11ELj100EEvPKT0_PS4_S4_,comdat
.Lfunc_end94:
	.size	_Z6kernelI14inclusive_scanILN6hipcub18BlockScanAlgorithmE0EEdLj256ELj11ELj100EEvPKT0_PS4_S4_, .Lfunc_end94-_Z6kernelI14inclusive_scanILN6hipcub18BlockScanAlgorithmE0EEdLj256ELj11ELj100EEvPKT0_PS4_S4_
                                        ; -- End function
	.section	.AMDGPU.csdata,"",@progbits
; Kernel info:
; codeLenInByte = 1748
; NumSgprs: 19
; NumVgprs: 74
; ScratchSize: 0
; MemoryBound: 0
; FloatMode: 240
; IeeeMode: 1
; LDSByteSize: 64 bytes/workgroup (compile time only)
; SGPRBlocks: 2
; VGPRBlocks: 9
; NumSGPRsForWavesPerEU: 19
; NumVGPRsForWavesPerEU: 74
; Occupancy: 16
; WaveLimiterHint : 0
; COMPUTE_PGM_RSRC2:SCRATCH_EN: 0
; COMPUTE_PGM_RSRC2:USER_SGPR: 15
; COMPUTE_PGM_RSRC2:TRAP_HANDLER: 0
; COMPUTE_PGM_RSRC2:TGID_X_EN: 1
; COMPUTE_PGM_RSRC2:TGID_Y_EN: 0
; COMPUTE_PGM_RSRC2:TGID_Z_EN: 0
; COMPUTE_PGM_RSRC2:TIDIG_COMP_CNT: 0
	.section	.text._Z6kernelI14inclusive_scanILN6hipcub18BlockScanAlgorithmE0EEdLj256ELj16ELj100EEvPKT0_PS4_S4_,"axG",@progbits,_Z6kernelI14inclusive_scanILN6hipcub18BlockScanAlgorithmE0EEdLj256ELj16ELj100EEvPKT0_PS4_S4_,comdat
	.protected	_Z6kernelI14inclusive_scanILN6hipcub18BlockScanAlgorithmE0EEdLj256ELj16ELj100EEvPKT0_PS4_S4_ ; -- Begin function _Z6kernelI14inclusive_scanILN6hipcub18BlockScanAlgorithmE0EEdLj256ELj16ELj100EEvPKT0_PS4_S4_
	.globl	_Z6kernelI14inclusive_scanILN6hipcub18BlockScanAlgorithmE0EEdLj256ELj16ELj100EEvPKT0_PS4_S4_
	.p2align	8
	.type	_Z6kernelI14inclusive_scanILN6hipcub18BlockScanAlgorithmE0EEdLj256ELj16ELj100EEvPKT0_PS4_S4_,@function
_Z6kernelI14inclusive_scanILN6hipcub18BlockScanAlgorithmE0EEdLj256ELj16ELj100EEvPKT0_PS4_S4_: ; @_Z6kernelI14inclusive_scanILN6hipcub18BlockScanAlgorithmE0EEdLj256ELj16ELj100EEvPKT0_PS4_S4_
; %bb.0:
	s_clause 0x1
	s_load_b32 s2, s[0:1], 0x24
	s_load_b128 s[16:19], s[0:1], 0x0
	v_mbcnt_lo_u32_b32 v33, -1, 0
	v_mov_b32_e32 v2, 0
	v_or_b32_e32 v36, 31, v0
	v_cmp_lt_u32_e64 s6, 31, v0
	v_cmp_ne_u32_e64 s7, 0, v0
	v_and_b32_e32 v35, 16, v33
	v_add_nc_u32_e32 v37, -1, v33
	v_and_b32_e32 v34, 15, v33
	v_cmp_eq_u32_e64 s4, v36, v0
	v_and_b32_e32 v36, 7, v33
	v_cmp_ne_u32_e64 s3, 0, v35
	v_cmp_gt_i32_e64 s5, 0, v37
	v_lshrrev_b32_e32 v35, 2, v0
	v_cmp_lt_u32_e64 s1, 3, v34
	v_cmp_ne_u32_e64 s8, 0, v36
	v_cmp_lt_u32_e64 s9, 1, v36
	v_cmp_lt_u32_e64 s10, 3, v36
	v_and_b32_e32 v72, 56, v35
	s_waitcnt lgkmcnt(0)
	s_and_b32 s0, s2, 0xffff
	v_cmp_lt_u32_e64 s2, 7, v34
	s_mul_i32 s15, s15, s0
	v_cmp_lt_u32_e64 s0, 1, v34
	v_add_lshl_u32 v1, s15, v0, 4
	v_add_nc_u32_e32 v73, -8, v72
	v_cmp_eq_u32_e64 s11, 0, v33
	s_movk_i32 s12, 0x64
	s_delay_alu instid0(VALU_DEP_3) | instskip(NEXT) | instid1(VALU_DEP_1)
	v_lshlrev_b64 v[61:62], 3, v[1:2]
	v_add_co_u32 v29, vcc_lo, s16, v61
	s_delay_alu instid0(VALU_DEP_2)
	v_add_co_ci_u32_e32 v30, vcc_lo, s17, v62, vcc_lo
	v_cmp_ne_u32_e32 vcc_lo, 0, v34
	v_cndmask_b32_e64 v34, v37, v33, s5
	v_cmp_gt_u32_e64 s5, 8, v0
	s_clause 0x7
	global_load_b128 v[5:8], v[29:30], off offset:48
	global_load_b128 v[9:12], v[29:30], off offset:32
	;; [unrolled: 1-line block ×3, first 2 shown]
	global_load_b128 v[1:4], v[29:30], off
	global_load_b128 v[17:20], v[29:30], off offset:112
	global_load_b128 v[21:24], v[29:30], off offset:96
	;; [unrolled: 1-line block ×4, first 2 shown]
	v_lshlrev_b32_e32 v0, 3, v0
	v_lshlrev_b32_e32 v71, 2, v34
.LBB95_1:                               ; =>This Inner Loop Header: Depth=1
	s_waitcnt vmcnt(4)
	s_delay_alu instid0(VALU_DEP_1) | instskip(NEXT) | instid1(VALU_DEP_1)
	v_add_f64 v[63:64], v[3:4], v[1:2]
	v_add_f64 v[57:58], v[13:14], v[63:64]
	s_delay_alu instid0(VALU_DEP_1) | instskip(NEXT) | instid1(VALU_DEP_1)
	v_add_f64 v[59:60], v[15:16], v[57:58]
	v_add_f64 v[53:54], v[9:10], v[59:60]
	;; [unrolled: 3-line block ×3, first 2 shown]
	s_delay_alu instid0(VALU_DEP_1) | instskip(SKIP_1) | instid1(VALU_DEP_1)
	v_add_f64 v[51:52], v[7:8], v[49:50]
	s_waitcnt vmcnt(0)
	v_add_f64 v[45:46], v[29:30], v[51:52]
	s_delay_alu instid0(VALU_DEP_1) | instskip(NEXT) | instid1(VALU_DEP_1)
	v_add_f64 v[47:48], v[31:32], v[45:46]
	v_add_f64 v[41:42], v[25:26], v[47:48]
	s_delay_alu instid0(VALU_DEP_1) | instskip(NEXT) | instid1(VALU_DEP_1)
	v_add_f64 v[43:44], v[27:28], v[41:42]
	;; [unrolled: 3-line block ×4, first 2 shown]
	v_mov_b32_dpp v69, v35 row_shr:1 row_mask:0xf bank_mask:0xf
	s_delay_alu instid0(VALU_DEP_2)
	v_mov_b32_dpp v70, v36 row_shr:1 row_mask:0xf bank_mask:0xf
	s_waitcnt lgkmcnt(0)
	v_dual_mov_b32 v66, v36 :: v_dual_mov_b32 v65, v35
	v_dual_mov_b32 v68, v36 :: v_dual_mov_b32 v67, v35
	s_and_saveexec_b32 s13, vcc_lo
; %bb.2:                                ;   in Loop: Header=BB95_1 Depth=1
	v_add_f64 v[65:66], v[35:36], v[69:70]
	s_delay_alu instid0(VALU_DEP_1)
	v_dual_mov_b32 v68, v66 :: v_dual_mov_b32 v67, v65
; %bb.3:                                ;   in Loop: Header=BB95_1 Depth=1
	s_or_b32 exec_lo, exec_lo, s13
	s_delay_alu instid0(VALU_DEP_1) | instskip(NEXT) | instid1(VALU_DEP_2)
	v_mov_b32_dpp v69, v67 row_shr:2 row_mask:0xf bank_mask:0xf
	v_mov_b32_dpp v70, v68 row_shr:2 row_mask:0xf bank_mask:0xf
	s_and_saveexec_b32 s13, s0
; %bb.4:                                ;   in Loop: Header=BB95_1 Depth=1
	s_delay_alu instid0(VALU_DEP_1) | instskip(NEXT) | instid1(VALU_DEP_1)
	v_add_f64 v[67:68], v[65:66], v[69:70]
	v_dual_mov_b32 v65, v67 :: v_dual_mov_b32 v66, v68
; %bb.5:                                ;   in Loop: Header=BB95_1 Depth=1
	s_or_b32 exec_lo, exec_lo, s13
	v_mov_b32_dpp v69, v67 row_shr:4 row_mask:0xf bank_mask:0xf
	v_mov_b32_dpp v70, v68 row_shr:4 row_mask:0xf bank_mask:0xf
	s_and_saveexec_b32 s13, s1
; %bb.6:                                ;   in Loop: Header=BB95_1 Depth=1
	s_delay_alu instid0(VALU_DEP_1) | instskip(NEXT) | instid1(VALU_DEP_1)
	v_add_f64 v[67:68], v[65:66], v[69:70]
	v_dual_mov_b32 v65, v67 :: v_dual_mov_b32 v66, v68
; %bb.7:                                ;   in Loop: Header=BB95_1 Depth=1
	s_or_b32 exec_lo, exec_lo, s13
	v_mov_b32_dpp v69, v67 row_shr:8 row_mask:0xf bank_mask:0xf
	v_mov_b32_dpp v70, v68 row_shr:8 row_mask:0xf bank_mask:0xf
	s_and_saveexec_b32 s13, s2
; %bb.8:                                ;   in Loop: Header=BB95_1 Depth=1
	s_delay_alu instid0(VALU_DEP_1) | instskip(NEXT) | instid1(VALU_DEP_1)
	v_add_f64 v[65:66], v[65:66], v[69:70]
	v_dual_mov_b32 v68, v66 :: v_dual_mov_b32 v67, v65
; %bb.9:                                ;   in Loop: Header=BB95_1 Depth=1
	s_or_b32 exec_lo, exec_lo, s13
	ds_swizzle_b32 v67, v67 offset:swizzle(BROADCAST,32,15)
	ds_swizzle_b32 v68, v68 offset:swizzle(BROADCAST,32,15)
	s_and_saveexec_b32 s13, s3
	s_cbranch_execz .LBB95_11
; %bb.10:                               ;   in Loop: Header=BB95_1 Depth=1
	s_waitcnt lgkmcnt(0)
	v_add_f64 v[65:66], v[65:66], v[67:68]
.LBB95_11:                              ;   in Loop: Header=BB95_1 Depth=1
	s_or_b32 exec_lo, exec_lo, s13
	s_and_saveexec_b32 s13, s4
	s_cbranch_execz .LBB95_13
; %bb.12:                               ;   in Loop: Header=BB95_1 Depth=1
	ds_store_b64 v72, v[65:66]
.LBB95_13:                              ;   in Loop: Header=BB95_1 Depth=1
	s_or_b32 exec_lo, exec_lo, s13
	s_waitcnt lgkmcnt(0)
	s_barrier
	buffer_gl0_inv
	s_and_saveexec_b32 s13, s5
	s_cbranch_execz .LBB95_21
; %bb.14:                               ;   in Loop: Header=BB95_1 Depth=1
	ds_load_b64 v[67:68], v0
	s_waitcnt lgkmcnt(0)
	v_mov_b32_dpp v69, v67 row_shr:1 row_mask:0xf bank_mask:0xf
	v_mov_b32_dpp v70, v68 row_shr:1 row_mask:0xf bank_mask:0xf
	s_and_saveexec_b32 s14, s8
; %bb.15:                               ;   in Loop: Header=BB95_1 Depth=1
	s_delay_alu instid0(VALU_DEP_1)
	v_add_f64 v[67:68], v[67:68], v[69:70]
; %bb.16:                               ;   in Loop: Header=BB95_1 Depth=1
	s_or_b32 exec_lo, exec_lo, s14
	s_delay_alu instid0(VALU_DEP_1) | instskip(NEXT) | instid1(VALU_DEP_2)
	v_mov_b32_dpp v69, v67 row_shr:2 row_mask:0xf bank_mask:0xf
	v_mov_b32_dpp v70, v68 row_shr:2 row_mask:0xf bank_mask:0xf
	s_and_saveexec_b32 s14, s9
; %bb.17:                               ;   in Loop: Header=BB95_1 Depth=1
	s_delay_alu instid0(VALU_DEP_1)
	v_add_f64 v[67:68], v[67:68], v[69:70]
; %bb.18:                               ;   in Loop: Header=BB95_1 Depth=1
	s_or_b32 exec_lo, exec_lo, s14
	s_delay_alu instid0(VALU_DEP_1) | instskip(NEXT) | instid1(VALU_DEP_2)
	v_mov_b32_dpp v69, v67 row_shr:4 row_mask:0xf bank_mask:0xf
	v_mov_b32_dpp v70, v68 row_shr:4 row_mask:0xf bank_mask:0xf
	s_and_saveexec_b32 s14, s10
; %bb.19:                               ;   in Loop: Header=BB95_1 Depth=1
	s_delay_alu instid0(VALU_DEP_1)
	v_add_f64 v[67:68], v[67:68], v[69:70]
; %bb.20:                               ;   in Loop: Header=BB95_1 Depth=1
	s_or_b32 exec_lo, exec_lo, s14
	ds_store_b64 v0, v[67:68]
.LBB95_21:                              ;   in Loop: Header=BB95_1 Depth=1
	s_or_b32 exec_lo, exec_lo, s13
	s_waitcnt lgkmcnt(0)
	s_barrier
	buffer_gl0_inv
                                        ; implicit-def: $vgpr67_vgpr68
	s_and_saveexec_b32 s13, s6
	s_cbranch_execz .LBB95_23
; %bb.22:                               ;   in Loop: Header=BB95_1 Depth=1
	ds_load_b64 v[67:68], v73
	s_waitcnt lgkmcnt(0)
	v_add_f64 v[65:66], v[65:66], v[67:68]
.LBB95_23:                              ;   in Loop: Header=BB95_1 Depth=1
	s_or_b32 exec_lo, exec_lo, s13
	ds_bpermute_b32 v65, v71, v65
	ds_bpermute_b32 v66, v71, v66
	s_and_saveexec_b32 s13, s7
	s_cbranch_execz .LBB95_25
; %bb.24:                               ;   in Loop: Header=BB95_1 Depth=1
	s_waitcnt lgkmcnt(0)
	v_cndmask_b32_e64 v34, v66, v68, s11
	v_cndmask_b32_e64 v33, v65, v67, s11
	s_delay_alu instid0(VALU_DEP_1) | instskip(NEXT) | instid1(VALU_DEP_1)
	v_add_f64 v[1:2], v[1:2], v[33:34]
	v_add_f64 v[63:64], v[3:4], v[1:2]
	s_delay_alu instid0(VALU_DEP_1) | instskip(NEXT) | instid1(VALU_DEP_1)
	v_add_f64 v[57:58], v[13:14], v[63:64]
	v_add_f64 v[59:60], v[15:16], v[57:58]
	;; [unrolled: 3-line block ×8, first 2 shown]
.LBB95_25:                              ;   in Loop: Header=BB95_1 Depth=1
	s_or_b32 exec_lo, exec_lo, s13
	s_add_i32 s12, s12, -1
	s_delay_alu instid0(SALU_CYCLE_1)
	s_cmp_lg_u32 s12, 0
	s_cbranch_scc0 .LBB95_27
; %bb.26:                               ;   in Loop: Header=BB95_1 Depth=1
	s_delay_alu instid0(VALU_DEP_1)
	v_dual_mov_b32 v19, v35 :: v_dual_mov_b32 v20, v36
	v_dual_mov_b32 v17, v33 :: v_dual_mov_b32 v18, v34
	v_dual_mov_b32 v23, v39 :: v_dual_mov_b32 v24, v40
	v_dual_mov_b32 v21, v37 :: v_dual_mov_b32 v22, v38
	v_dual_mov_b32 v27, v43 :: v_dual_mov_b32 v28, v44
	v_dual_mov_b32 v25, v41 :: v_dual_mov_b32 v26, v42
	v_dual_mov_b32 v31, v47 :: v_dual_mov_b32 v32, v48
	v_dual_mov_b32 v29, v45 :: v_dual_mov_b32 v30, v46
	v_dual_mov_b32 v7, v51 :: v_dual_mov_b32 v8, v52
	v_dual_mov_b32 v5, v49 :: v_dual_mov_b32 v6, v50
	v_dual_mov_b32 v11, v55 :: v_dual_mov_b32 v12, v56
	v_dual_mov_b32 v9, v53 :: v_dual_mov_b32 v10, v54
	v_dual_mov_b32 v15, v59 :: v_dual_mov_b32 v16, v60
	v_dual_mov_b32 v13, v57 :: v_dual_mov_b32 v14, v58
	v_dual_mov_b32 v3, v63 :: v_dual_mov_b32 v4, v64
	s_branch .LBB95_1
.LBB95_27:
	v_add_co_u32 v5, vcc_lo, s18, v61
	v_add_co_ci_u32_e32 v6, vcc_lo, s19, v62, vcc_lo
	v_dual_mov_b32 v3, v63 :: v_dual_mov_b32 v4, v64
	s_clause 0x7
	global_store_b128 v[5:6], v[1:4], off
	global_store_b128 v[5:6], v[57:60], off offset:16
	global_store_b128 v[5:6], v[53:56], off offset:32
	;; [unrolled: 1-line block ×7, first 2 shown]
	s_nop 0
	s_sendmsg sendmsg(MSG_DEALLOC_VGPRS)
	s_endpgm
	.section	.rodata,"a",@progbits
	.p2align	6, 0x0
	.amdhsa_kernel _Z6kernelI14inclusive_scanILN6hipcub18BlockScanAlgorithmE0EEdLj256ELj16ELj100EEvPKT0_PS4_S4_
		.amdhsa_group_segment_fixed_size 64
		.amdhsa_private_segment_fixed_size 0
		.amdhsa_kernarg_size 280
		.amdhsa_user_sgpr_count 15
		.amdhsa_user_sgpr_dispatch_ptr 0
		.amdhsa_user_sgpr_queue_ptr 0
		.amdhsa_user_sgpr_kernarg_segment_ptr 1
		.amdhsa_user_sgpr_dispatch_id 0
		.amdhsa_user_sgpr_private_segment_size 0
		.amdhsa_wavefront_size32 1
		.amdhsa_uses_dynamic_stack 0
		.amdhsa_enable_private_segment 0
		.amdhsa_system_sgpr_workgroup_id_x 1
		.amdhsa_system_sgpr_workgroup_id_y 0
		.amdhsa_system_sgpr_workgroup_id_z 0
		.amdhsa_system_sgpr_workgroup_info 0
		.amdhsa_system_vgpr_workitem_id 0
		.amdhsa_next_free_vgpr 74
		.amdhsa_next_free_sgpr 20
		.amdhsa_reserve_vcc 1
		.amdhsa_float_round_mode_32 0
		.amdhsa_float_round_mode_16_64 0
		.amdhsa_float_denorm_mode_32 3
		.amdhsa_float_denorm_mode_16_64 3
		.amdhsa_dx10_clamp 1
		.amdhsa_ieee_mode 1
		.amdhsa_fp16_overflow 0
		.amdhsa_workgroup_processor_mode 1
		.amdhsa_memory_ordered 1
		.amdhsa_forward_progress 0
		.amdhsa_shared_vgpr_count 0
		.amdhsa_exception_fp_ieee_invalid_op 0
		.amdhsa_exception_fp_denorm_src 0
		.amdhsa_exception_fp_ieee_div_zero 0
		.amdhsa_exception_fp_ieee_overflow 0
		.amdhsa_exception_fp_ieee_underflow 0
		.amdhsa_exception_fp_ieee_inexact 0
		.amdhsa_exception_int_div_zero 0
	.end_amdhsa_kernel
	.section	.text._Z6kernelI14inclusive_scanILN6hipcub18BlockScanAlgorithmE0EEdLj256ELj16ELj100EEvPKT0_PS4_S4_,"axG",@progbits,_Z6kernelI14inclusive_scanILN6hipcub18BlockScanAlgorithmE0EEdLj256ELj16ELj100EEvPKT0_PS4_S4_,comdat
.Lfunc_end95:
	.size	_Z6kernelI14inclusive_scanILN6hipcub18BlockScanAlgorithmE0EEdLj256ELj16ELj100EEvPKT0_PS4_S4_, .Lfunc_end95-_Z6kernelI14inclusive_scanILN6hipcub18BlockScanAlgorithmE0EEdLj256ELj16ELj100EEvPKT0_PS4_S4_
                                        ; -- End function
	.section	.AMDGPU.csdata,"",@progbits
; Kernel info:
; codeLenInByte = 1400
; NumSgprs: 22
; NumVgprs: 74
; ScratchSize: 0
; MemoryBound: 0
; FloatMode: 240
; IeeeMode: 1
; LDSByteSize: 64 bytes/workgroup (compile time only)
; SGPRBlocks: 2
; VGPRBlocks: 9
; NumSGPRsForWavesPerEU: 22
; NumVGPRsForWavesPerEU: 74
; Occupancy: 16
; WaveLimiterHint : 0
; COMPUTE_PGM_RSRC2:SCRATCH_EN: 0
; COMPUTE_PGM_RSRC2:USER_SGPR: 15
; COMPUTE_PGM_RSRC2:TRAP_HANDLER: 0
; COMPUTE_PGM_RSRC2:TGID_X_EN: 1
; COMPUTE_PGM_RSRC2:TGID_Y_EN: 0
; COMPUTE_PGM_RSRC2:TGID_Z_EN: 0
; COMPUTE_PGM_RSRC2:TIDIG_COMP_CNT: 0
	.section	.text._Z6kernelI14inclusive_scanILN6hipcub18BlockScanAlgorithmE0EEhLj256ELj1ELj100EEvPKT0_PS4_S4_,"axG",@progbits,_Z6kernelI14inclusive_scanILN6hipcub18BlockScanAlgorithmE0EEhLj256ELj1ELj100EEvPKT0_PS4_S4_,comdat
	.protected	_Z6kernelI14inclusive_scanILN6hipcub18BlockScanAlgorithmE0EEhLj256ELj1ELj100EEvPKT0_PS4_S4_ ; -- Begin function _Z6kernelI14inclusive_scanILN6hipcub18BlockScanAlgorithmE0EEhLj256ELj1ELj100EEvPKT0_PS4_S4_
	.globl	_Z6kernelI14inclusive_scanILN6hipcub18BlockScanAlgorithmE0EEhLj256ELj1ELj100EEvPKT0_PS4_S4_
	.p2align	8
	.type	_Z6kernelI14inclusive_scanILN6hipcub18BlockScanAlgorithmE0EEhLj256ELj1ELj100EEvPKT0_PS4_S4_,@function
_Z6kernelI14inclusive_scanILN6hipcub18BlockScanAlgorithmE0EEhLj256ELj1ELj100EEvPKT0_PS4_S4_: ; @_Z6kernelI14inclusive_scanILN6hipcub18BlockScanAlgorithmE0EEhLj256ELj1ELj100EEvPKT0_PS4_S4_
; %bb.0:
	s_clause 0x1
	s_load_b32 s2, s[0:1], 0x24
	s_load_b128 s[8:11], s[0:1], 0x0
	v_mbcnt_lo_u32_b32 v3, -1, 0
	v_or_b32_e32 v6, 31, v0
	v_cmp_gt_u32_e64 s5, 8, v0
	v_cmp_lt_u32_e64 s6, 31, v0
	s_movk_i32 s12, 0x64
	v_and_b32_e32 v4, 15, v3
	v_and_b32_e32 v5, 16, v3
	v_cmp_eq_u32_e64 s4, v6, v0
	s_delay_alu instid0(VALU_DEP_3) | instskip(SKIP_1) | instid1(VALU_DEP_4)
	v_cmp_eq_u32_e32 vcc_lo, 0, v4
	v_cmp_lt_u32_e64 s1, 3, v4
	v_cmp_eq_u32_e64 s3, 0, v5
	s_waitcnt lgkmcnt(0)
	s_and_b32 s0, s2, 0xffff
	v_cmp_lt_u32_e64 s2, 7, v4
	v_mad_u64_u32 v[1:2], null, s15, s0, v[0:1]
	v_cmp_lt_u32_e64 s0, 1, v4
	v_and_b32_e32 v4, 7, v3
	v_lshrrev_b32_e32 v3, 5, v0
	s_delay_alu instid0(VALU_DEP_2)
	v_cmp_eq_u32_e64 s7, 0, v4
	global_load_u8 v2, v1, s[8:9]
	v_cmp_lt_u32_e64 s8, 1, v4
	v_cmp_lt_u32_e64 s9, 3, v4
	v_add_nc_u32_e32 v4, -1, v3
	s_branch .LBB96_2
.LBB96_1:                               ;   in Loop: Header=BB96_2 Depth=1
	s_or_b32 exec_lo, exec_lo, s13
	s_add_i32 s12, s12, -1
	s_delay_alu instid0(SALU_CYCLE_1)
	s_cmp_lg_u32 s12, 0
	s_cbranch_scc0 .LBB96_8
.LBB96_2:                               ; =>This Inner Loop Header: Depth=1
	s_waitcnt vmcnt(0)
	v_and_b32_e32 v5, 0xff, v2
	s_delay_alu instid0(VALU_DEP_1) | instskip(NEXT) | instid1(VALU_DEP_1)
	v_mov_b32_dpp v5, v5 row_shr:1 row_mask:0xf bank_mask:0xf
	v_cndmask_b32_e64 v5, v5, 0, vcc_lo
	s_delay_alu instid0(VALU_DEP_1) | instskip(NEXT) | instid1(VALU_DEP_1)
	v_add_nc_u16 v2, v5, v2
	v_and_b32_e32 v5, 0xff, v2
	s_delay_alu instid0(VALU_DEP_1) | instskip(NEXT) | instid1(VALU_DEP_1)
	v_mov_b32_dpp v5, v5 row_shr:2 row_mask:0xf bank_mask:0xf
	v_cndmask_b32_e64 v5, 0, v5, s0
	s_delay_alu instid0(VALU_DEP_1) | instskip(NEXT) | instid1(VALU_DEP_1)
	v_add_nc_u16 v2, v2, v5
	v_and_b32_e32 v5, 0xff, v2
	s_delay_alu instid0(VALU_DEP_1) | instskip(NEXT) | instid1(VALU_DEP_1)
	v_mov_b32_dpp v5, v5 row_shr:4 row_mask:0xf bank_mask:0xf
	v_cndmask_b32_e64 v5, 0, v5, s1
	;; [unrolled: 6-line block ×3, first 2 shown]
	s_delay_alu instid0(VALU_DEP_1) | instskip(NEXT) | instid1(VALU_DEP_1)
	v_add_nc_u16 v2, v2, v5
	v_and_b32_e32 v5, 0xff, v2
	ds_swizzle_b32 v5, v5 offset:swizzle(BROADCAST,32,15)
	s_waitcnt lgkmcnt(0)
	v_cndmask_b32_e64 v5, v5, 0, s3
	s_delay_alu instid0(VALU_DEP_1)
	v_add_nc_u16 v2, v2, v5
	s_and_saveexec_b32 s13, s4
	s_cbranch_execz .LBB96_4
; %bb.3:                                ;   in Loop: Header=BB96_2 Depth=1
	ds_store_b8 v3, v2
.LBB96_4:                               ;   in Loop: Header=BB96_2 Depth=1
	s_or_b32 exec_lo, exec_lo, s13
	s_waitcnt lgkmcnt(0)
	s_barrier
	buffer_gl0_inv
	s_and_saveexec_b32 s13, s5
	s_cbranch_execz .LBB96_6
; %bb.5:                                ;   in Loop: Header=BB96_2 Depth=1
	ds_load_u8 v5, v0
	s_waitcnt lgkmcnt(0)
	v_and_b32_e32 v6, 0xff, v5
	s_delay_alu instid0(VALU_DEP_1) | instskip(NEXT) | instid1(VALU_DEP_1)
	v_mov_b32_dpp v6, v6 row_shr:1 row_mask:0xf bank_mask:0xf
	v_cndmask_b32_e64 v6, v6, 0, s7
	s_delay_alu instid0(VALU_DEP_1) | instskip(NEXT) | instid1(VALU_DEP_1)
	v_add_nc_u16 v5, v6, v5
	v_and_b32_e32 v6, 0xff, v5
	s_delay_alu instid0(VALU_DEP_1) | instskip(NEXT) | instid1(VALU_DEP_1)
	v_mov_b32_dpp v6, v6 row_shr:2 row_mask:0xf bank_mask:0xf
	v_cndmask_b32_e64 v6, 0, v6, s8
	s_delay_alu instid0(VALU_DEP_1) | instskip(NEXT) | instid1(VALU_DEP_1)
	v_add_nc_u16 v5, v5, v6
	v_and_b32_e32 v6, 0xff, v5
	s_delay_alu instid0(VALU_DEP_1) | instskip(NEXT) | instid1(VALU_DEP_1)
	v_mov_b32_dpp v6, v6 row_shr:4 row_mask:0xf bank_mask:0xf
	v_cndmask_b32_e64 v6, 0, v6, s9
	s_delay_alu instid0(VALU_DEP_1)
	v_add_nc_u16 v5, v5, v6
	ds_store_b8 v0, v5
.LBB96_6:                               ;   in Loop: Header=BB96_2 Depth=1
	s_or_b32 exec_lo, exec_lo, s13
	s_waitcnt lgkmcnt(0)
	s_barrier
	buffer_gl0_inv
	s_and_saveexec_b32 s13, s6
	s_cbranch_execz .LBB96_1
; %bb.7:                                ;   in Loop: Header=BB96_2 Depth=1
	ds_load_u8 v5, v4
	s_waitcnt lgkmcnt(0)
	v_add_nc_u16 v2, v5, v2
	s_branch .LBB96_1
.LBB96_8:
	v_add_co_u32 v0, s0, s10, v1
	s_delay_alu instid0(VALU_DEP_1)
	v_add_co_ci_u32_e64 v1, null, s11, 0, s0
	global_store_b8 v[0:1], v2, off
	s_nop 0
	s_sendmsg sendmsg(MSG_DEALLOC_VGPRS)
	s_endpgm
	.section	.rodata,"a",@progbits
	.p2align	6, 0x0
	.amdhsa_kernel _Z6kernelI14inclusive_scanILN6hipcub18BlockScanAlgorithmE0EEhLj256ELj1ELj100EEvPKT0_PS4_S4_
		.amdhsa_group_segment_fixed_size 8
		.amdhsa_private_segment_fixed_size 0
		.amdhsa_kernarg_size 280
		.amdhsa_user_sgpr_count 15
		.amdhsa_user_sgpr_dispatch_ptr 0
		.amdhsa_user_sgpr_queue_ptr 0
		.amdhsa_user_sgpr_kernarg_segment_ptr 1
		.amdhsa_user_sgpr_dispatch_id 0
		.amdhsa_user_sgpr_private_segment_size 0
		.amdhsa_wavefront_size32 1
		.amdhsa_uses_dynamic_stack 0
		.amdhsa_enable_private_segment 0
		.amdhsa_system_sgpr_workgroup_id_x 1
		.amdhsa_system_sgpr_workgroup_id_y 0
		.amdhsa_system_sgpr_workgroup_id_z 0
		.amdhsa_system_sgpr_workgroup_info 0
		.amdhsa_system_vgpr_workitem_id 0
		.amdhsa_next_free_vgpr 7
		.amdhsa_next_free_sgpr 16
		.amdhsa_reserve_vcc 1
		.amdhsa_float_round_mode_32 0
		.amdhsa_float_round_mode_16_64 0
		.amdhsa_float_denorm_mode_32 3
		.amdhsa_float_denorm_mode_16_64 3
		.amdhsa_dx10_clamp 1
		.amdhsa_ieee_mode 1
		.amdhsa_fp16_overflow 0
		.amdhsa_workgroup_processor_mode 1
		.amdhsa_memory_ordered 1
		.amdhsa_forward_progress 0
		.amdhsa_shared_vgpr_count 0
		.amdhsa_exception_fp_ieee_invalid_op 0
		.amdhsa_exception_fp_denorm_src 0
		.amdhsa_exception_fp_ieee_div_zero 0
		.amdhsa_exception_fp_ieee_overflow 0
		.amdhsa_exception_fp_ieee_underflow 0
		.amdhsa_exception_fp_ieee_inexact 0
		.amdhsa_exception_int_div_zero 0
	.end_amdhsa_kernel
	.section	.text._Z6kernelI14inclusive_scanILN6hipcub18BlockScanAlgorithmE0EEhLj256ELj1ELj100EEvPKT0_PS4_S4_,"axG",@progbits,_Z6kernelI14inclusive_scanILN6hipcub18BlockScanAlgorithmE0EEhLj256ELj1ELj100EEvPKT0_PS4_S4_,comdat
.Lfunc_end96:
	.size	_Z6kernelI14inclusive_scanILN6hipcub18BlockScanAlgorithmE0EEhLj256ELj1ELj100EEvPKT0_PS4_S4_, .Lfunc_end96-_Z6kernelI14inclusive_scanILN6hipcub18BlockScanAlgorithmE0EEhLj256ELj1ELj100EEvPKT0_PS4_S4_
                                        ; -- End function
	.section	.AMDGPU.csdata,"",@progbits
; Kernel info:
; codeLenInByte = 680
; NumSgprs: 18
; NumVgprs: 7
; ScratchSize: 0
; MemoryBound: 0
; FloatMode: 240
; IeeeMode: 1
; LDSByteSize: 8 bytes/workgroup (compile time only)
; SGPRBlocks: 2
; VGPRBlocks: 0
; NumSGPRsForWavesPerEU: 18
; NumVGPRsForWavesPerEU: 7
; Occupancy: 16
; WaveLimiterHint : 0
; COMPUTE_PGM_RSRC2:SCRATCH_EN: 0
; COMPUTE_PGM_RSRC2:USER_SGPR: 15
; COMPUTE_PGM_RSRC2:TRAP_HANDLER: 0
; COMPUTE_PGM_RSRC2:TGID_X_EN: 1
; COMPUTE_PGM_RSRC2:TGID_Y_EN: 0
; COMPUTE_PGM_RSRC2:TGID_Z_EN: 0
; COMPUTE_PGM_RSRC2:TIDIG_COMP_CNT: 0
	.section	.text._Z6kernelI14inclusive_scanILN6hipcub18BlockScanAlgorithmE0EEhLj256ELj3ELj100EEvPKT0_PS4_S4_,"axG",@progbits,_Z6kernelI14inclusive_scanILN6hipcub18BlockScanAlgorithmE0EEhLj256ELj3ELj100EEvPKT0_PS4_S4_,comdat
	.protected	_Z6kernelI14inclusive_scanILN6hipcub18BlockScanAlgorithmE0EEhLj256ELj3ELj100EEvPKT0_PS4_S4_ ; -- Begin function _Z6kernelI14inclusive_scanILN6hipcub18BlockScanAlgorithmE0EEhLj256ELj3ELj100EEvPKT0_PS4_S4_
	.globl	_Z6kernelI14inclusive_scanILN6hipcub18BlockScanAlgorithmE0EEhLj256ELj3ELj100EEvPKT0_PS4_S4_
	.p2align	8
	.type	_Z6kernelI14inclusive_scanILN6hipcub18BlockScanAlgorithmE0EEhLj256ELj3ELj100EEvPKT0_PS4_S4_,@function
_Z6kernelI14inclusive_scanILN6hipcub18BlockScanAlgorithmE0EEhLj256ELj3ELj100EEvPKT0_PS4_S4_: ; @_Z6kernelI14inclusive_scanILN6hipcub18BlockScanAlgorithmE0EEhLj256ELj3ELj100EEvPKT0_PS4_S4_
; %bb.0:
	s_clause 0x1
	s_load_b32 s2, s[0:1], 0x24
	s_load_b128 s[16:19], s[0:1], 0x0
	v_mbcnt_lo_u32_b32 v8, -1, 0
	v_lshrrev_b32_e32 v4, 5, v0
	v_or_b32_e32 v11, 31, v0
	v_cmp_gt_u32_e32 vcc_lo, 8, v0
	v_cmp_eq_u32_e64 s1, 0, v0
	v_add_nc_u32_e32 v12, -1, v8
	v_and_b32_e32 v9, 15, v8
	v_and_b32_e32 v10, 16, v8
	;; [unrolled: 1-line block ×3, first 2 shown]
	v_cmp_eq_u32_e64 s8, v11, v0
	v_cmp_gt_i32_e64 s9, 0, v12
	v_cmp_eq_u32_e64 s3, 0, v9
	v_cmp_lt_u32_e64 s4, 1, v9
	v_cmp_lt_u32_e64 s5, 3, v9
	;; [unrolled: 1-line block ×3, first 2 shown]
	v_cmp_eq_u32_e64 s7, 0, v10
	v_cmp_lt_u32_e64 s10, 1, v13
	v_cmp_lt_u32_e64 s11, 3, v13
	s_waitcnt lgkmcnt(0)
	s_and_b32 s0, s2, 0xffff
	v_cmp_eq_u32_e64 s2, 0, v8
	v_mad_u64_u32 v[1:2], null, s15, s0, v[0:1]
	v_cmp_lt_u32_e64 s0, 31, v0
	s_movk_i32 s12, 0x64
	s_delay_alu instid0(VALU_DEP_2) | instskip(NEXT) | instid1(VALU_DEP_1)
	v_lshl_add_u32 v3, v1, 1, v1
	v_add_nc_u32_e32 v2, 1, v3
	v_add_nc_u32_e32 v1, 2, v3
	s_clause 0x2
	global_load_u8 v5, v2, s[16:17]
	global_load_u8 v6, v3, s[16:17]
	;; [unrolled: 1-line block ×3, first 2 shown]
	s_waitcnt vmcnt(2)
	v_lshlrev_b16 v5, 8, v5
	s_waitcnt vmcnt(1)
	s_delay_alu instid0(VALU_DEP_1) | instskip(SKIP_2) | instid1(VALU_DEP_3)
	v_or_b32_e32 v5, v6, v5
	v_cndmask_b32_e64 v6, v12, v8, s9
	v_cmp_eq_u32_e64 s9, 0, v13
	v_and_b32_e32 v8, 0xffff, v5
	s_delay_alu instid0(VALU_DEP_3) | instskip(SKIP_2) | instid1(VALU_DEP_3)
	v_lshlrev_b32_e32 v5, 2, v6
	v_add_nc_u32_e32 v6, -1, v4
	s_waitcnt vmcnt(0)
	v_lshl_or_b32 v7, v7, 16, v8
	s_branch .LBB97_2
.LBB97_1:                               ;   in Loop: Header=BB97_2 Depth=1
	s_or_b32 exec_lo, exec_lo, s13
	s_delay_alu instid0(VALU_DEP_1) | instskip(SKIP_1) | instid1(SALU_CYCLE_1)
	v_and_b32_e32 v10, 0xff, v10
	s_add_i32 s12, s12, -1
	s_cmp_lg_u32 s12, 0
	ds_bpermute_b32 v10, v5, v10
	s_waitcnt lgkmcnt(0)
	v_cndmask_b32_e64 v10, v10, v11, s2
	s_delay_alu instid0(VALU_DEP_1) | instskip(NEXT) | instid1(VALU_DEP_1)
	v_cndmask_b32_e64 v10, v10, 0, s1
	v_add_nc_u16 v10, v10, v7
	s_delay_alu instid0(VALU_DEP_1) | instskip(SKIP_1) | instid1(VALU_DEP_2)
	v_add_nc_u16 v9, v10, v9
	v_and_b32_e32 v7, 0xff, v10
	v_lshlrev_b16 v11, 8, v9
	v_add_nc_u16 v8, v9, v8
	s_delay_alu instid0(VALU_DEP_2) | instskip(NEXT) | instid1(VALU_DEP_2)
	v_or_b32_e32 v7, v7, v11
	v_and_b32_e32 v11, 0xff, v8
	s_delay_alu instid0(VALU_DEP_2) | instskip(NEXT) | instid1(VALU_DEP_2)
	v_and_b32_e32 v7, 0xffff, v7
	v_lshlrev_b32_e32 v11, 16, v11
	s_delay_alu instid0(VALU_DEP_1)
	v_or_b32_e32 v7, v7, v11
	s_cbranch_scc0 .LBB97_8
.LBB97_2:                               ; =>This Inner Loop Header: Depth=1
	s_delay_alu instid0(VALU_DEP_1) | instskip(SKIP_1) | instid1(VALU_DEP_2)
	v_lshrrev_b32_e32 v9, 8, v7
	v_lshrrev_b32_e32 v8, 16, v7
	v_add_nc_u16 v10, v9, v7
	s_delay_alu instid0(VALU_DEP_1) | instskip(NEXT) | instid1(VALU_DEP_1)
	v_add_nc_u16 v10, v10, v8
	v_and_b32_e32 v11, 0xff, v10
	s_delay_alu instid0(VALU_DEP_1) | instskip(NEXT) | instid1(VALU_DEP_1)
	v_mov_b32_dpp v11, v11 row_shr:1 row_mask:0xf bank_mask:0xf
	v_cndmask_b32_e64 v11, v11, 0, s3
	s_delay_alu instid0(VALU_DEP_1) | instskip(NEXT) | instid1(VALU_DEP_1)
	v_add_nc_u16 v10, v11, v10
	v_and_b32_e32 v11, 0xff, v10
	s_delay_alu instid0(VALU_DEP_1) | instskip(NEXT) | instid1(VALU_DEP_1)
	v_mov_b32_dpp v11, v11 row_shr:2 row_mask:0xf bank_mask:0xf
	v_cndmask_b32_e64 v11, 0, v11, s4
	;; [unrolled: 6-line block ×4, first 2 shown]
	s_delay_alu instid0(VALU_DEP_1) | instskip(NEXT) | instid1(VALU_DEP_1)
	v_add_nc_u16 v10, v10, v11
	v_and_b32_e32 v11, 0xff, v10
	ds_swizzle_b32 v11, v11 offset:swizzle(BROADCAST,32,15)
	s_waitcnt lgkmcnt(0)
	v_cndmask_b32_e64 v11, v11, 0, s7
	s_delay_alu instid0(VALU_DEP_1)
	v_add_nc_u16 v10, v10, v11
	s_and_saveexec_b32 s13, s8
	s_cbranch_execz .LBB97_4
; %bb.3:                                ;   in Loop: Header=BB97_2 Depth=1
	ds_store_b8 v4, v10
.LBB97_4:                               ;   in Loop: Header=BB97_2 Depth=1
	s_or_b32 exec_lo, exec_lo, s13
	s_waitcnt lgkmcnt(0)
	s_barrier
	buffer_gl0_inv
	s_and_saveexec_b32 s13, vcc_lo
	s_cbranch_execz .LBB97_6
; %bb.5:                                ;   in Loop: Header=BB97_2 Depth=1
	ds_load_u8 v11, v0
	s_waitcnt lgkmcnt(0)
	v_and_b32_e32 v12, 0xff, v11
	s_delay_alu instid0(VALU_DEP_1) | instskip(NEXT) | instid1(VALU_DEP_1)
	v_mov_b32_dpp v12, v12 row_shr:1 row_mask:0xf bank_mask:0xf
	v_cndmask_b32_e64 v12, v12, 0, s9
	s_delay_alu instid0(VALU_DEP_1) | instskip(NEXT) | instid1(VALU_DEP_1)
	v_add_nc_u16 v11, v12, v11
	v_and_b32_e32 v12, 0xff, v11
	s_delay_alu instid0(VALU_DEP_1) | instskip(NEXT) | instid1(VALU_DEP_1)
	v_mov_b32_dpp v12, v12 row_shr:2 row_mask:0xf bank_mask:0xf
	v_cndmask_b32_e64 v12, 0, v12, s10
	s_delay_alu instid0(VALU_DEP_1) | instskip(NEXT) | instid1(VALU_DEP_1)
	v_add_nc_u16 v11, v11, v12
	v_and_b32_e32 v12, 0xff, v11
	s_delay_alu instid0(VALU_DEP_1) | instskip(NEXT) | instid1(VALU_DEP_1)
	v_mov_b32_dpp v12, v12 row_shr:4 row_mask:0xf bank_mask:0xf
	v_cndmask_b32_e64 v12, 0, v12, s11
	s_delay_alu instid0(VALU_DEP_1)
	v_add_nc_u16 v11, v11, v12
	ds_store_b8 v0, v11
.LBB97_6:                               ;   in Loop: Header=BB97_2 Depth=1
	s_or_b32 exec_lo, exec_lo, s13
	s_waitcnt lgkmcnt(0)
	s_barrier
	buffer_gl0_inv
                                        ; implicit-def: $vgpr11
	s_and_saveexec_b32 s13, s0
	s_cbranch_execz .LBB97_1
; %bb.7:                                ;   in Loop: Header=BB97_2 Depth=1
	ds_load_u8 v11, v6
	s_waitcnt lgkmcnt(0)
	v_add_nc_u16 v10, v11, v10
	s_branch .LBB97_1
.LBB97_8:
	v_add_co_u32 v3, s0, s18, v3
	s_delay_alu instid0(VALU_DEP_1) | instskip(SKIP_1) | instid1(VALU_DEP_1)
	v_add_co_ci_u32_e64 v4, null, s19, 0, s0
	v_add_co_u32 v5, s0, s18, v2
	v_add_co_ci_u32_e64 v6, null, s19, 0, s0
	v_add_co_u32 v0, s0, s18, v1
	s_delay_alu instid0(VALU_DEP_1)
	v_add_co_ci_u32_e64 v1, null, s19, 0, s0
	s_clause 0x2
	global_store_b8 v[3:4], v10, off
	global_store_b8 v[5:6], v9, off
	;; [unrolled: 1-line block ×3, first 2 shown]
	s_nop 0
	s_sendmsg sendmsg(MSG_DEALLOC_VGPRS)
	s_endpgm
	.section	.rodata,"a",@progbits
	.p2align	6, 0x0
	.amdhsa_kernel _Z6kernelI14inclusive_scanILN6hipcub18BlockScanAlgorithmE0EEhLj256ELj3ELj100EEvPKT0_PS4_S4_
		.amdhsa_group_segment_fixed_size 8
		.amdhsa_private_segment_fixed_size 0
		.amdhsa_kernarg_size 280
		.amdhsa_user_sgpr_count 15
		.amdhsa_user_sgpr_dispatch_ptr 0
		.amdhsa_user_sgpr_queue_ptr 0
		.amdhsa_user_sgpr_kernarg_segment_ptr 1
		.amdhsa_user_sgpr_dispatch_id 0
		.amdhsa_user_sgpr_private_segment_size 0
		.amdhsa_wavefront_size32 1
		.amdhsa_uses_dynamic_stack 0
		.amdhsa_enable_private_segment 0
		.amdhsa_system_sgpr_workgroup_id_x 1
		.amdhsa_system_sgpr_workgroup_id_y 0
		.amdhsa_system_sgpr_workgroup_id_z 0
		.amdhsa_system_sgpr_workgroup_info 0
		.amdhsa_system_vgpr_workitem_id 0
		.amdhsa_next_free_vgpr 14
		.amdhsa_next_free_sgpr 20
		.amdhsa_reserve_vcc 1
		.amdhsa_float_round_mode_32 0
		.amdhsa_float_round_mode_16_64 0
		.amdhsa_float_denorm_mode_32 3
		.amdhsa_float_denorm_mode_16_64 3
		.amdhsa_dx10_clamp 1
		.amdhsa_ieee_mode 1
		.amdhsa_fp16_overflow 0
		.amdhsa_workgroup_processor_mode 1
		.amdhsa_memory_ordered 1
		.amdhsa_forward_progress 0
		.amdhsa_shared_vgpr_count 0
		.amdhsa_exception_fp_ieee_invalid_op 0
		.amdhsa_exception_fp_denorm_src 0
		.amdhsa_exception_fp_ieee_div_zero 0
		.amdhsa_exception_fp_ieee_overflow 0
		.amdhsa_exception_fp_ieee_underflow 0
		.amdhsa_exception_fp_ieee_inexact 0
		.amdhsa_exception_int_div_zero 0
	.end_amdhsa_kernel
	.section	.text._Z6kernelI14inclusive_scanILN6hipcub18BlockScanAlgorithmE0EEhLj256ELj3ELj100EEvPKT0_PS4_S4_,"axG",@progbits,_Z6kernelI14inclusive_scanILN6hipcub18BlockScanAlgorithmE0EEhLj256ELj3ELj100EEvPKT0_PS4_S4_,comdat
.Lfunc_end97:
	.size	_Z6kernelI14inclusive_scanILN6hipcub18BlockScanAlgorithmE0EEhLj256ELj3ELj100EEvPKT0_PS4_S4_, .Lfunc_end97-_Z6kernelI14inclusive_scanILN6hipcub18BlockScanAlgorithmE0EEhLj256ELj3ELj100EEvPKT0_PS4_S4_
                                        ; -- End function
	.section	.AMDGPU.csdata,"",@progbits
; Kernel info:
; codeLenInByte = 1008
; NumSgprs: 22
; NumVgprs: 14
; ScratchSize: 0
; MemoryBound: 0
; FloatMode: 240
; IeeeMode: 1
; LDSByteSize: 8 bytes/workgroup (compile time only)
; SGPRBlocks: 2
; VGPRBlocks: 1
; NumSGPRsForWavesPerEU: 22
; NumVGPRsForWavesPerEU: 14
; Occupancy: 16
; WaveLimiterHint : 0
; COMPUTE_PGM_RSRC2:SCRATCH_EN: 0
; COMPUTE_PGM_RSRC2:USER_SGPR: 15
; COMPUTE_PGM_RSRC2:TRAP_HANDLER: 0
; COMPUTE_PGM_RSRC2:TGID_X_EN: 1
; COMPUTE_PGM_RSRC2:TGID_Y_EN: 0
; COMPUTE_PGM_RSRC2:TGID_Z_EN: 0
; COMPUTE_PGM_RSRC2:TIDIG_COMP_CNT: 0
	.section	.text._Z6kernelI14inclusive_scanILN6hipcub18BlockScanAlgorithmE0EEhLj256ELj4ELj100EEvPKT0_PS4_S4_,"axG",@progbits,_Z6kernelI14inclusive_scanILN6hipcub18BlockScanAlgorithmE0EEhLj256ELj4ELj100EEvPKT0_PS4_S4_,comdat
	.protected	_Z6kernelI14inclusive_scanILN6hipcub18BlockScanAlgorithmE0EEhLj256ELj4ELj100EEvPKT0_PS4_S4_ ; -- Begin function _Z6kernelI14inclusive_scanILN6hipcub18BlockScanAlgorithmE0EEhLj256ELj4ELj100EEvPKT0_PS4_S4_
	.globl	_Z6kernelI14inclusive_scanILN6hipcub18BlockScanAlgorithmE0EEhLj256ELj4ELj100EEvPKT0_PS4_S4_
	.p2align	8
	.type	_Z6kernelI14inclusive_scanILN6hipcub18BlockScanAlgorithmE0EEhLj256ELj4ELj100EEvPKT0_PS4_S4_,@function
_Z6kernelI14inclusive_scanILN6hipcub18BlockScanAlgorithmE0EEhLj256ELj4ELj100EEvPKT0_PS4_S4_: ; @_Z6kernelI14inclusive_scanILN6hipcub18BlockScanAlgorithmE0EEhLj256ELj4ELj100EEvPKT0_PS4_S4_
; %bb.0:
	s_clause 0x1
	s_load_b32 s2, s[0:1], 0x24
	s_load_b128 s[16:19], s[0:1], 0x0
	v_mbcnt_lo_u32_b32 v5, -1, 0
	v_or_b32_e32 v7, 31, v0
	v_cmp_gt_u32_e64 s5, 8, v0
	v_cmp_lt_u32_e64 s6, 31, v0
	v_cmp_eq_u32_e64 s7, 0, v0
	v_add_nc_u32_e32 v6, -1, v5
	v_and_b32_e32 v3, 15, v5
	v_and_b32_e32 v4, 16, v5
	v_cmp_eq_u32_e64 s8, 0, v5
	s_movk_i32 s12, 0x64
	v_cmp_gt_i32_e64 s4, 0, v6
	v_cmp_eq_u32_e32 vcc_lo, 0, v3
	v_cmp_lt_u32_e64 s1, 3, v3
	v_cmp_eq_u32_e64 s3, 0, v4
	s_delay_alu instid0(VALU_DEP_4)
	v_cndmask_b32_e64 v4, v6, v5, s4
	v_and_b32_e32 v6, 7, v5
	v_cmp_eq_u32_e64 s4, v7, v0
	s_waitcnt lgkmcnt(0)
	s_and_b32 s0, s2, 0xffff
	v_cmp_lt_u32_e64 s2, 7, v3
	s_mul_i32 s15, s15, s0
	v_cmp_lt_u32_e64 s0, 1, v3
	v_add_lshl_u32 v1, s15, v0, 2
	v_lshrrev_b32_e32 v3, 5, v0
	v_lshlrev_b32_e32 v4, 2, v4
	v_cmp_eq_u32_e64 s9, 0, v6
	v_cmp_lt_u32_e64 s10, 1, v6
	global_load_b32 v2, v1, s[16:17]
	v_cmp_lt_u32_e64 s11, 3, v6
	v_add_nc_u32_e32 v5, -1, v3
	s_branch .LBB98_2
.LBB98_1:                               ;   in Loop: Header=BB98_2 Depth=1
	s_or_b32 exec_lo, exec_lo, s13
	s_delay_alu instid0(VALU_DEP_1) | instskip(SKIP_1) | instid1(SALU_CYCLE_1)
	v_and_b32_e32 v9, 0xff, v9
	s_add_i32 s12, s12, -1
	s_cmp_lg_u32 s12, 0
	ds_bpermute_b32 v9, v4, v9
	s_waitcnt lgkmcnt(0)
	v_cndmask_b32_e64 v9, v9, v10, s8
	s_delay_alu instid0(VALU_DEP_1) | instskip(NEXT) | instid1(VALU_DEP_1)
	v_cndmask_b32_e64 v9, v9, 0, s7
	v_add_nc_u16 v2, v9, v2
	s_delay_alu instid0(VALU_DEP_1) | instskip(SKIP_1) | instid1(VALU_DEP_2)
	v_add_nc_u16 v7, v2, v7
	v_and_b32_e32 v2, 0xff, v2
	v_add_nc_u16 v6, v7, v6
	v_lshlrev_b16 v7, 8, v7
	s_delay_alu instid0(VALU_DEP_2) | instskip(SKIP_1) | instid1(VALU_DEP_3)
	v_add_nc_u16 v8, v6, v8
	v_and_b32_e32 v6, 0xff, v6
	v_or_b32_e32 v2, v2, v7
	s_delay_alu instid0(VALU_DEP_3) | instskip(NEXT) | instid1(VALU_DEP_2)
	v_lshlrev_b16 v8, 8, v8
	v_and_b32_e32 v2, 0xffff, v2
	s_delay_alu instid0(VALU_DEP_2) | instskip(NEXT) | instid1(VALU_DEP_1)
	v_or_b32_e32 v6, v6, v8
	v_lshlrev_b32_e32 v6, 16, v6
	s_delay_alu instid0(VALU_DEP_1)
	v_or_b32_e32 v2, v2, v6
	s_cbranch_scc0 .LBB98_8
.LBB98_2:                               ; =>This Inner Loop Header: Depth=1
	s_waitcnt vmcnt(0)
	s_delay_alu instid0(VALU_DEP_1) | instskip(SKIP_1) | instid1(VALU_DEP_2)
	v_lshrrev_b32_e32 v7, 8, v2
	v_lshrrev_b32_e32 v6, 16, v2
	v_add_nc_u16 v8, v7, v2
	s_delay_alu instid0(VALU_DEP_1) | instskip(SKIP_1) | instid1(VALU_DEP_1)
	v_add_nc_u16 v9, v8, v6
	v_lshrrev_b32_e32 v8, 24, v2
	v_add_nc_u16 v9, v9, v8
	s_delay_alu instid0(VALU_DEP_1) | instskip(NEXT) | instid1(VALU_DEP_1)
	v_and_b32_e32 v10, 0xff, v9
	v_mov_b32_dpp v10, v10 row_shr:1 row_mask:0xf bank_mask:0xf
	s_delay_alu instid0(VALU_DEP_1) | instskip(NEXT) | instid1(VALU_DEP_1)
	v_cndmask_b32_e64 v10, v10, 0, vcc_lo
	v_add_nc_u16 v9, v9, v10
	s_delay_alu instid0(VALU_DEP_1) | instskip(NEXT) | instid1(VALU_DEP_1)
	v_and_b32_e32 v10, 0xff, v9
	v_mov_b32_dpp v10, v10 row_shr:2 row_mask:0xf bank_mask:0xf
	s_delay_alu instid0(VALU_DEP_1) | instskip(NEXT) | instid1(VALU_DEP_1)
	v_cndmask_b32_e64 v10, 0, v10, s0
	v_add_nc_u16 v9, v9, v10
	s_delay_alu instid0(VALU_DEP_1) | instskip(NEXT) | instid1(VALU_DEP_1)
	v_and_b32_e32 v10, 0xff, v9
	v_mov_b32_dpp v10, v10 row_shr:4 row_mask:0xf bank_mask:0xf
	s_delay_alu instid0(VALU_DEP_1) | instskip(NEXT) | instid1(VALU_DEP_1)
	v_cndmask_b32_e64 v10, 0, v10, s1
	;; [unrolled: 6-line block ×3, first 2 shown]
	v_add_nc_u16 v9, v9, v10
	s_delay_alu instid0(VALU_DEP_1) | instskip(SKIP_3) | instid1(VALU_DEP_1)
	v_and_b32_e32 v10, 0xff, v9
	ds_swizzle_b32 v10, v10 offset:swizzle(BROADCAST,32,15)
	s_waitcnt lgkmcnt(0)
	v_cndmask_b32_e64 v10, v10, 0, s3
	v_add_nc_u16 v9, v9, v10
	s_and_saveexec_b32 s13, s4
	s_cbranch_execz .LBB98_4
; %bb.3:                                ;   in Loop: Header=BB98_2 Depth=1
	ds_store_b8 v3, v9
.LBB98_4:                               ;   in Loop: Header=BB98_2 Depth=1
	s_or_b32 exec_lo, exec_lo, s13
	s_waitcnt lgkmcnt(0)
	s_barrier
	buffer_gl0_inv
	s_and_saveexec_b32 s13, s5
	s_cbranch_execz .LBB98_6
; %bb.5:                                ;   in Loop: Header=BB98_2 Depth=1
	ds_load_u8 v10, v0
	s_waitcnt lgkmcnt(0)
	v_and_b32_e32 v11, 0xff, v10
	s_delay_alu instid0(VALU_DEP_1) | instskip(NEXT) | instid1(VALU_DEP_1)
	v_mov_b32_dpp v11, v11 row_shr:1 row_mask:0xf bank_mask:0xf
	v_cndmask_b32_e64 v11, v11, 0, s9
	s_delay_alu instid0(VALU_DEP_1) | instskip(NEXT) | instid1(VALU_DEP_1)
	v_add_nc_u16 v10, v11, v10
	v_and_b32_e32 v11, 0xff, v10
	s_delay_alu instid0(VALU_DEP_1) | instskip(NEXT) | instid1(VALU_DEP_1)
	v_mov_b32_dpp v11, v11 row_shr:2 row_mask:0xf bank_mask:0xf
	v_cndmask_b32_e64 v11, 0, v11, s10
	s_delay_alu instid0(VALU_DEP_1) | instskip(NEXT) | instid1(VALU_DEP_1)
	v_add_nc_u16 v10, v10, v11
	v_and_b32_e32 v11, 0xff, v10
	s_delay_alu instid0(VALU_DEP_1) | instskip(NEXT) | instid1(VALU_DEP_1)
	v_mov_b32_dpp v11, v11 row_shr:4 row_mask:0xf bank_mask:0xf
	v_cndmask_b32_e64 v11, 0, v11, s11
	s_delay_alu instid0(VALU_DEP_1)
	v_add_nc_u16 v10, v10, v11
	ds_store_b8 v0, v10
.LBB98_6:                               ;   in Loop: Header=BB98_2 Depth=1
	s_or_b32 exec_lo, exec_lo, s13
	s_waitcnt lgkmcnt(0)
	s_barrier
	buffer_gl0_inv
                                        ; implicit-def: $vgpr10
	s_and_saveexec_b32 s13, s6
	s_cbranch_execz .LBB98_1
; %bb.7:                                ;   in Loop: Header=BB98_2 Depth=1
	ds_load_u8 v10, v5
	s_waitcnt lgkmcnt(0)
	v_add_nc_u16 v9, v10, v9
	s_branch .LBB98_1
.LBB98_8:
	v_add_co_u32 v0, s0, s18, v1
	s_delay_alu instid0(VALU_DEP_1)
	v_add_co_ci_u32_e64 v1, null, s19, 0, s0
	global_store_b32 v[0:1], v2, off
	s_nop 0
	s_sendmsg sendmsg(MSG_DEALLOC_VGPRS)
	s_endpgm
	.section	.rodata,"a",@progbits
	.p2align	6, 0x0
	.amdhsa_kernel _Z6kernelI14inclusive_scanILN6hipcub18BlockScanAlgorithmE0EEhLj256ELj4ELj100EEvPKT0_PS4_S4_
		.amdhsa_group_segment_fixed_size 8
		.amdhsa_private_segment_fixed_size 0
		.amdhsa_kernarg_size 280
		.amdhsa_user_sgpr_count 15
		.amdhsa_user_sgpr_dispatch_ptr 0
		.amdhsa_user_sgpr_queue_ptr 0
		.amdhsa_user_sgpr_kernarg_segment_ptr 1
		.amdhsa_user_sgpr_dispatch_id 0
		.amdhsa_user_sgpr_private_segment_size 0
		.amdhsa_wavefront_size32 1
		.amdhsa_uses_dynamic_stack 0
		.amdhsa_enable_private_segment 0
		.amdhsa_system_sgpr_workgroup_id_x 1
		.amdhsa_system_sgpr_workgroup_id_y 0
		.amdhsa_system_sgpr_workgroup_id_z 0
		.amdhsa_system_sgpr_workgroup_info 0
		.amdhsa_system_vgpr_workitem_id 0
		.amdhsa_next_free_vgpr 12
		.amdhsa_next_free_sgpr 20
		.amdhsa_reserve_vcc 1
		.amdhsa_float_round_mode_32 0
		.amdhsa_float_round_mode_16_64 0
		.amdhsa_float_denorm_mode_32 3
		.amdhsa_float_denorm_mode_16_64 3
		.amdhsa_dx10_clamp 1
		.amdhsa_ieee_mode 1
		.amdhsa_fp16_overflow 0
		.amdhsa_workgroup_processor_mode 1
		.amdhsa_memory_ordered 1
		.amdhsa_forward_progress 0
		.amdhsa_shared_vgpr_count 0
		.amdhsa_exception_fp_ieee_invalid_op 0
		.amdhsa_exception_fp_denorm_src 0
		.amdhsa_exception_fp_ieee_div_zero 0
		.amdhsa_exception_fp_ieee_overflow 0
		.amdhsa_exception_fp_ieee_underflow 0
		.amdhsa_exception_fp_ieee_inexact 0
		.amdhsa_exception_int_div_zero 0
	.end_amdhsa_kernel
	.section	.text._Z6kernelI14inclusive_scanILN6hipcub18BlockScanAlgorithmE0EEhLj256ELj4ELj100EEvPKT0_PS4_S4_,"axG",@progbits,_Z6kernelI14inclusive_scanILN6hipcub18BlockScanAlgorithmE0EEhLj256ELj4ELj100EEvPKT0_PS4_S4_,comdat
.Lfunc_end98:
	.size	_Z6kernelI14inclusive_scanILN6hipcub18BlockScanAlgorithmE0EEhLj256ELj4ELj100EEvPKT0_PS4_S4_, .Lfunc_end98-_Z6kernelI14inclusive_scanILN6hipcub18BlockScanAlgorithmE0EEhLj256ELj4ELj100EEvPKT0_PS4_S4_
                                        ; -- End function
	.section	.AMDGPU.csdata,"",@progbits
; Kernel info:
; codeLenInByte = 912
; NumSgprs: 22
; NumVgprs: 12
; ScratchSize: 0
; MemoryBound: 0
; FloatMode: 240
; IeeeMode: 1
; LDSByteSize: 8 bytes/workgroup (compile time only)
; SGPRBlocks: 2
; VGPRBlocks: 1
; NumSGPRsForWavesPerEU: 22
; NumVGPRsForWavesPerEU: 12
; Occupancy: 16
; WaveLimiterHint : 0
; COMPUTE_PGM_RSRC2:SCRATCH_EN: 0
; COMPUTE_PGM_RSRC2:USER_SGPR: 15
; COMPUTE_PGM_RSRC2:TRAP_HANDLER: 0
; COMPUTE_PGM_RSRC2:TGID_X_EN: 1
; COMPUTE_PGM_RSRC2:TGID_Y_EN: 0
; COMPUTE_PGM_RSRC2:TGID_Z_EN: 0
; COMPUTE_PGM_RSRC2:TIDIG_COMP_CNT: 0
	.section	.text._Z6kernelI14inclusive_scanILN6hipcub18BlockScanAlgorithmE0EEhLj256ELj8ELj100EEvPKT0_PS4_S4_,"axG",@progbits,_Z6kernelI14inclusive_scanILN6hipcub18BlockScanAlgorithmE0EEhLj256ELj8ELj100EEvPKT0_PS4_S4_,comdat
	.protected	_Z6kernelI14inclusive_scanILN6hipcub18BlockScanAlgorithmE0EEhLj256ELj8ELj100EEvPKT0_PS4_S4_ ; -- Begin function _Z6kernelI14inclusive_scanILN6hipcub18BlockScanAlgorithmE0EEhLj256ELj8ELj100EEvPKT0_PS4_S4_
	.globl	_Z6kernelI14inclusive_scanILN6hipcub18BlockScanAlgorithmE0EEhLj256ELj8ELj100EEvPKT0_PS4_S4_
	.p2align	8
	.type	_Z6kernelI14inclusive_scanILN6hipcub18BlockScanAlgorithmE0EEhLj256ELj8ELj100EEvPKT0_PS4_S4_,@function
_Z6kernelI14inclusive_scanILN6hipcub18BlockScanAlgorithmE0EEhLj256ELj8ELj100EEvPKT0_PS4_S4_: ; @_Z6kernelI14inclusive_scanILN6hipcub18BlockScanAlgorithmE0EEhLj256ELj8ELj100EEvPKT0_PS4_S4_
; %bb.0:
	s_clause 0x1
	s_load_b32 s2, s[0:1], 0x24
	s_load_b128 s[16:19], s[0:1], 0x0
	v_mbcnt_lo_u32_b32 v6, -1, 0
	v_or_b32_e32 v8, 31, v0
	v_cmp_gt_u32_e64 s5, 8, v0
	v_cmp_lt_u32_e64 s6, 31, v0
	v_cmp_eq_u32_e64 s7, 0, v0
	v_add_nc_u32_e32 v7, -1, v6
	v_and_b32_e32 v4, 15, v6
	v_and_b32_e32 v5, 16, v6
	v_cmp_eq_u32_e64 s8, 0, v6
	s_movk_i32 s12, 0x64
	v_cmp_gt_i32_e64 s4, 0, v7
	v_cmp_eq_u32_e32 vcc_lo, 0, v4
	v_cmp_lt_u32_e64 s1, 3, v4
	v_cmp_eq_u32_e64 s3, 0, v5
	s_delay_alu instid0(VALU_DEP_4)
	v_cndmask_b32_e64 v5, v7, v6, s4
	v_and_b32_e32 v7, 7, v6
	v_cmp_eq_u32_e64 s4, v8, v0
	s_waitcnt lgkmcnt(0)
	s_and_b32 s0, s2, 0xffff
	v_cmp_lt_u32_e64 s2, 7, v4
	s_mul_i32 s15, s15, s0
	v_cmp_lt_u32_e64 s0, 1, v4
	v_add_lshl_u32 v3, s15, v0, 3
	v_lshrrev_b32_e32 v4, 5, v0
	v_lshlrev_b32_e32 v5, 2, v5
	v_cmp_eq_u32_e64 s9, 0, v7
	v_cmp_lt_u32_e64 s10, 1, v7
	global_load_b64 v[1:2], v3, s[16:17]
	v_cmp_lt_u32_e64 s11, 3, v7
	v_add_nc_u32_e32 v6, -1, v4
	s_branch .LBB99_2
.LBB99_1:                               ;   in Loop: Header=BB99_2 Depth=1
	s_or_b32 exec_lo, exec_lo, s13
	s_delay_alu instid0(VALU_DEP_1) | instskip(SKIP_1) | instid1(SALU_CYCLE_1)
	v_and_b32_e32 v13, 0xff, v13
	s_add_i32 s12, s12, -1
	s_cmp_lg_u32 s12, 0
	ds_bpermute_b32 v13, v5, v13
	s_waitcnt lgkmcnt(0)
	v_cndmask_b32_e64 v13, v13, v14, s8
	s_delay_alu instid0(VALU_DEP_1) | instskip(NEXT) | instid1(VALU_DEP_1)
	v_cndmask_b32_e64 v13, v13, 0, s7
	v_add_nc_u16 v1, v13, v1
	s_delay_alu instid0(VALU_DEP_1) | instskip(SKIP_1) | instid1(VALU_DEP_2)
	v_add_nc_u16 v7, v1, v7
	v_and_b32_e32 v1, 0xff, v1
	v_add_nc_u16 v8, v7, v8
	v_lshlrev_b16 v7, 8, v7
	s_delay_alu instid0(VALU_DEP_2) | instskip(SKIP_1) | instid1(VALU_DEP_3)
	v_add_nc_u16 v10, v8, v10
	v_and_b32_e32 v8, 0xff, v8
	v_or_b32_e32 v1, v1, v7
	s_delay_alu instid0(VALU_DEP_3) | instskip(SKIP_1) | instid1(VALU_DEP_3)
	v_add_nc_u16 v2, v10, v2
	v_lshlrev_b16 v10, 8, v10
	v_and_b32_e32 v7, 0xffff, v1
	s_delay_alu instid0(VALU_DEP_3) | instskip(SKIP_1) | instid1(VALU_DEP_4)
	v_add_nc_u16 v11, v2, v11
	v_and_b32_e32 v2, 0xff, v2
	v_or_b32_e32 v8, v8, v10
	s_delay_alu instid0(VALU_DEP_3) | instskip(SKIP_1) | instid1(VALU_DEP_3)
	v_add_nc_u16 v12, v11, v12
	v_lshlrev_b16 v11, 8, v11
	v_lshlrev_b32_e32 v8, 16, v8
	s_delay_alu instid0(VALU_DEP_3) | instskip(SKIP_1) | instid1(VALU_DEP_4)
	v_add_nc_u16 v9, v12, v9
	v_and_b32_e32 v12, 0xff, v12
	v_or_b32_e32 v2, v2, v11
	s_delay_alu instid0(VALU_DEP_4) | instskip(NEXT) | instid1(VALU_DEP_4)
	v_or_b32_e32 v1, v7, v8
	v_lshlrev_b16 v9, 8, v9
	s_delay_alu instid0(VALU_DEP_1) | instskip(NEXT) | instid1(VALU_DEP_4)
	v_or_b32_e32 v10, v12, v9
	v_and_b32_e32 v9, 0xffff, v2
	s_delay_alu instid0(VALU_DEP_2) | instskip(NEXT) | instid1(VALU_DEP_1)
	v_lshlrev_b32_e32 v10, 16, v10
	v_or_b32_e32 v2, v9, v10
	s_cbranch_scc0 .LBB99_8
.LBB99_2:                               ; =>This Inner Loop Header: Depth=1
	s_waitcnt vmcnt(0)
	v_lshrrev_b32_e32 v7, 8, v1
	v_lshrrev_b32_e32 v8, 16, v1
	;; [unrolled: 1-line block ×5, first 2 shown]
	v_add_nc_u16 v9, v7, v1
	s_delay_alu instid0(VALU_DEP_1) | instskip(NEXT) | instid1(VALU_DEP_1)
	v_add_nc_u16 v9, v9, v8
	v_add_nc_u16 v9, v9, v10
	s_delay_alu instid0(VALU_DEP_1) | instskip(NEXT) | instid1(VALU_DEP_1)
	v_add_nc_u16 v9, v9, v2
	v_add_nc_u16 v9, v9, v11
	s_delay_alu instid0(VALU_DEP_1) | instskip(SKIP_1) | instid1(VALU_DEP_1)
	v_add_nc_u16 v13, v9, v12
	v_lshrrev_b32_e32 v9, 24, v2
	v_add_nc_u16 v13, v13, v9
	s_delay_alu instid0(VALU_DEP_1) | instskip(NEXT) | instid1(VALU_DEP_1)
	v_and_b32_e32 v14, 0xff, v13
	v_mov_b32_dpp v14, v14 row_shr:1 row_mask:0xf bank_mask:0xf
	s_delay_alu instid0(VALU_DEP_1) | instskip(NEXT) | instid1(VALU_DEP_1)
	v_cndmask_b32_e64 v14, v14, 0, vcc_lo
	v_add_nc_u16 v13, v13, v14
	s_delay_alu instid0(VALU_DEP_1) | instskip(NEXT) | instid1(VALU_DEP_1)
	v_and_b32_e32 v14, 0xff, v13
	v_mov_b32_dpp v14, v14 row_shr:2 row_mask:0xf bank_mask:0xf
	s_delay_alu instid0(VALU_DEP_1) | instskip(NEXT) | instid1(VALU_DEP_1)
	v_cndmask_b32_e64 v14, 0, v14, s0
	v_add_nc_u16 v13, v13, v14
	s_delay_alu instid0(VALU_DEP_1) | instskip(NEXT) | instid1(VALU_DEP_1)
	v_and_b32_e32 v14, 0xff, v13
	v_mov_b32_dpp v14, v14 row_shr:4 row_mask:0xf bank_mask:0xf
	s_delay_alu instid0(VALU_DEP_1) | instskip(NEXT) | instid1(VALU_DEP_1)
	v_cndmask_b32_e64 v14, 0, v14, s1
	;; [unrolled: 6-line block ×3, first 2 shown]
	v_add_nc_u16 v13, v13, v14
	s_delay_alu instid0(VALU_DEP_1) | instskip(SKIP_3) | instid1(VALU_DEP_1)
	v_and_b32_e32 v14, 0xff, v13
	ds_swizzle_b32 v14, v14 offset:swizzle(BROADCAST,32,15)
	s_waitcnt lgkmcnt(0)
	v_cndmask_b32_e64 v14, v14, 0, s3
	v_add_nc_u16 v13, v13, v14
	s_and_saveexec_b32 s13, s4
	s_cbranch_execz .LBB99_4
; %bb.3:                                ;   in Loop: Header=BB99_2 Depth=1
	ds_store_b8 v4, v13
.LBB99_4:                               ;   in Loop: Header=BB99_2 Depth=1
	s_or_b32 exec_lo, exec_lo, s13
	s_waitcnt lgkmcnt(0)
	s_barrier
	buffer_gl0_inv
	s_and_saveexec_b32 s13, s5
	s_cbranch_execz .LBB99_6
; %bb.5:                                ;   in Loop: Header=BB99_2 Depth=1
	ds_load_u8 v14, v0
	s_waitcnt lgkmcnt(0)
	v_and_b32_e32 v15, 0xff, v14
	s_delay_alu instid0(VALU_DEP_1) | instskip(NEXT) | instid1(VALU_DEP_1)
	v_mov_b32_dpp v15, v15 row_shr:1 row_mask:0xf bank_mask:0xf
	v_cndmask_b32_e64 v15, v15, 0, s9
	s_delay_alu instid0(VALU_DEP_1) | instskip(NEXT) | instid1(VALU_DEP_1)
	v_add_nc_u16 v14, v15, v14
	v_and_b32_e32 v15, 0xff, v14
	s_delay_alu instid0(VALU_DEP_1) | instskip(NEXT) | instid1(VALU_DEP_1)
	v_mov_b32_dpp v15, v15 row_shr:2 row_mask:0xf bank_mask:0xf
	v_cndmask_b32_e64 v15, 0, v15, s10
	s_delay_alu instid0(VALU_DEP_1) | instskip(NEXT) | instid1(VALU_DEP_1)
	v_add_nc_u16 v14, v14, v15
	v_and_b32_e32 v15, 0xff, v14
	s_delay_alu instid0(VALU_DEP_1) | instskip(NEXT) | instid1(VALU_DEP_1)
	v_mov_b32_dpp v15, v15 row_shr:4 row_mask:0xf bank_mask:0xf
	v_cndmask_b32_e64 v15, 0, v15, s11
	s_delay_alu instid0(VALU_DEP_1)
	v_add_nc_u16 v14, v14, v15
	ds_store_b8 v0, v14
.LBB99_6:                               ;   in Loop: Header=BB99_2 Depth=1
	s_or_b32 exec_lo, exec_lo, s13
	s_waitcnt lgkmcnt(0)
	s_barrier
	buffer_gl0_inv
                                        ; implicit-def: $vgpr14
	s_and_saveexec_b32 s13, s6
	s_cbranch_execz .LBB99_1
; %bb.7:                                ;   in Loop: Header=BB99_2 Depth=1
	ds_load_u8 v14, v6
	s_waitcnt lgkmcnt(0)
	v_add_nc_u16 v13, v14, v13
	s_branch .LBB99_1
.LBB99_8:
	v_add_co_u32 v0, s0, s18, v3
	s_delay_alu instid0(VALU_DEP_1)
	v_add_co_ci_u32_e64 v1, null, s19, 0, s0
	v_or_b32_e32 v3, v9, v10
	v_or_b32_e32 v2, v7, v8
	global_store_b64 v[0:1], v[2:3], off
	s_nop 0
	s_sendmsg sendmsg(MSG_DEALLOC_VGPRS)
	s_endpgm
	.section	.rodata,"a",@progbits
	.p2align	6, 0x0
	.amdhsa_kernel _Z6kernelI14inclusive_scanILN6hipcub18BlockScanAlgorithmE0EEhLj256ELj8ELj100EEvPKT0_PS4_S4_
		.amdhsa_group_segment_fixed_size 8
		.amdhsa_private_segment_fixed_size 0
		.amdhsa_kernarg_size 280
		.amdhsa_user_sgpr_count 15
		.amdhsa_user_sgpr_dispatch_ptr 0
		.amdhsa_user_sgpr_queue_ptr 0
		.amdhsa_user_sgpr_kernarg_segment_ptr 1
		.amdhsa_user_sgpr_dispatch_id 0
		.amdhsa_user_sgpr_private_segment_size 0
		.amdhsa_wavefront_size32 1
		.amdhsa_uses_dynamic_stack 0
		.amdhsa_enable_private_segment 0
		.amdhsa_system_sgpr_workgroup_id_x 1
		.amdhsa_system_sgpr_workgroup_id_y 0
		.amdhsa_system_sgpr_workgroup_id_z 0
		.amdhsa_system_sgpr_workgroup_info 0
		.amdhsa_system_vgpr_workitem_id 0
		.amdhsa_next_free_vgpr 16
		.amdhsa_next_free_sgpr 20
		.amdhsa_reserve_vcc 1
		.amdhsa_float_round_mode_32 0
		.amdhsa_float_round_mode_16_64 0
		.amdhsa_float_denorm_mode_32 3
		.amdhsa_float_denorm_mode_16_64 3
		.amdhsa_dx10_clamp 1
		.amdhsa_ieee_mode 1
		.amdhsa_fp16_overflow 0
		.amdhsa_workgroup_processor_mode 1
		.amdhsa_memory_ordered 1
		.amdhsa_forward_progress 0
		.amdhsa_shared_vgpr_count 0
		.amdhsa_exception_fp_ieee_invalid_op 0
		.amdhsa_exception_fp_denorm_src 0
		.amdhsa_exception_fp_ieee_div_zero 0
		.amdhsa_exception_fp_ieee_overflow 0
		.amdhsa_exception_fp_ieee_underflow 0
		.amdhsa_exception_fp_ieee_inexact 0
		.amdhsa_exception_int_div_zero 0
	.end_amdhsa_kernel
	.section	.text._Z6kernelI14inclusive_scanILN6hipcub18BlockScanAlgorithmE0EEhLj256ELj8ELj100EEvPKT0_PS4_S4_,"axG",@progbits,_Z6kernelI14inclusive_scanILN6hipcub18BlockScanAlgorithmE0EEhLj256ELj8ELj100EEvPKT0_PS4_S4_,comdat
.Lfunc_end99:
	.size	_Z6kernelI14inclusive_scanILN6hipcub18BlockScanAlgorithmE0EEhLj256ELj8ELj100EEvPKT0_PS4_S4_, .Lfunc_end99-_Z6kernelI14inclusive_scanILN6hipcub18BlockScanAlgorithmE0EEhLj256ELj8ELj100EEvPKT0_PS4_S4_
                                        ; -- End function
	.section	.AMDGPU.csdata,"",@progbits
; Kernel info:
; codeLenInByte = 1072
; NumSgprs: 22
; NumVgprs: 16
; ScratchSize: 0
; MemoryBound: 0
; FloatMode: 240
; IeeeMode: 1
; LDSByteSize: 8 bytes/workgroup (compile time only)
; SGPRBlocks: 2
; VGPRBlocks: 1
; NumSGPRsForWavesPerEU: 22
; NumVGPRsForWavesPerEU: 16
; Occupancy: 16
; WaveLimiterHint : 0
; COMPUTE_PGM_RSRC2:SCRATCH_EN: 0
; COMPUTE_PGM_RSRC2:USER_SGPR: 15
; COMPUTE_PGM_RSRC2:TRAP_HANDLER: 0
; COMPUTE_PGM_RSRC2:TGID_X_EN: 1
; COMPUTE_PGM_RSRC2:TGID_Y_EN: 0
; COMPUTE_PGM_RSRC2:TGID_Z_EN: 0
; COMPUTE_PGM_RSRC2:TIDIG_COMP_CNT: 0
	.section	.text._Z6kernelI14inclusive_scanILN6hipcub18BlockScanAlgorithmE0EEhLj256ELj11ELj100EEvPKT0_PS4_S4_,"axG",@progbits,_Z6kernelI14inclusive_scanILN6hipcub18BlockScanAlgorithmE0EEhLj256ELj11ELj100EEvPKT0_PS4_S4_,comdat
	.protected	_Z6kernelI14inclusive_scanILN6hipcub18BlockScanAlgorithmE0EEhLj256ELj11ELj100EEvPKT0_PS4_S4_ ; -- Begin function _Z6kernelI14inclusive_scanILN6hipcub18BlockScanAlgorithmE0EEhLj256ELj11ELj100EEvPKT0_PS4_S4_
	.globl	_Z6kernelI14inclusive_scanILN6hipcub18BlockScanAlgorithmE0EEhLj256ELj11ELj100EEvPKT0_PS4_S4_
	.p2align	8
	.type	_Z6kernelI14inclusive_scanILN6hipcub18BlockScanAlgorithmE0EEhLj256ELj11ELj100EEvPKT0_PS4_S4_,@function
_Z6kernelI14inclusive_scanILN6hipcub18BlockScanAlgorithmE0EEhLj256ELj11ELj100EEvPKT0_PS4_S4_: ; @_Z6kernelI14inclusive_scanILN6hipcub18BlockScanAlgorithmE0EEhLj256ELj11ELj100EEvPKT0_PS4_S4_
; %bb.0:
	s_load_b32 s2, s[0:1], 0x24
	v_mbcnt_lo_u32_b32 v24, -1, 0
	v_lshrrev_b32_e32 v15, 5, v0
	v_or_b32_e32 v27, 31, v0
	v_cmp_gt_u32_e32 vcc_lo, 8, v0
	s_delay_alu instid0(VALU_DEP_4)
	v_add_nc_u32_e32 v28, -1, v24
	v_and_b32_e32 v25, 15, v24
	v_and_b32_e32 v26, 16, v24
	;; [unrolled: 1-line block ×3, first 2 shown]
	v_cmp_eq_u32_e64 s8, v27, v0
	v_cmp_gt_i32_e64 s9, 0, v28
	v_cmp_eq_u32_e64 s3, 0, v25
	v_cmp_lt_u32_e64 s4, 1, v25
	v_cmp_lt_u32_e64 s5, 3, v25
	;; [unrolled: 1-line block ×3, first 2 shown]
	v_cmp_eq_u32_e64 s7, 0, v26
	v_cmp_lt_u32_e64 s10, 1, v29
	v_cmp_lt_u32_e64 s11, 3, v29
	s_waitcnt lgkmcnt(0)
	s_and_b32 s2, s2, 0xffff
	s_delay_alu instid0(SALU_CYCLE_1)
	v_mad_u64_u32 v[1:2], null, s15, s2, v[0:1]
	s_load_b128 s[12:15], s[0:1], 0x0
	v_cmp_eq_u32_e64 s2, 0, v24
	v_cndmask_b32_e64 v24, v28, v24, s9
	v_cmp_lt_u32_e64 s0, 31, v0
	v_cmp_eq_u32_e64 s1, 0, v0
	v_cmp_eq_u32_e64 s9, 0, v29
	v_mul_lo_u32 v13, v1, 11
	s_delay_alu instid0(VALU_DEP_1)
	v_add_nc_u32_e32 v12, 1, v13
	v_add_nc_u32_e32 v11, 3, v13
	;; [unrolled: 1-line block ×7, first 2 shown]
	s_waitcnt lgkmcnt(0)
	s_clause 0x7
	global_load_u8 v16, v12, s[12:13]
	global_load_u8 v17, v11, s[12:13]
	;; [unrolled: 1-line block ×8, first 2 shown]
	v_add_nc_u32_e32 v9, 8, v13
	v_add_nc_u32_e32 v7, 9, v13
	;; [unrolled: 1-line block ×3, first 2 shown]
	s_clause 0x2
	global_load_u8 v2, v9, s[12:13]
	global_load_u8 v3, v7, s[12:13]
	;; [unrolled: 1-line block ×3, first 2 shown]
	s_movk_i32 s12, 0x64
	s_waitcnt vmcnt(10)
	v_lshlrev_b16 v16, 8, v16
	s_waitcnt vmcnt(9)
	v_lshlrev_b16 v17, 8, v17
	;; [unrolled: 2-line block ×4, first 2 shown]
	s_waitcnt vmcnt(6)
	v_or_b32_e32 v16, v20, v16
	s_waitcnt vmcnt(5)
	v_or_b32_e32 v17, v21, v17
	;; [unrolled: 2-line block ×4, first 2 shown]
	v_and_b32_e32 v20, 0xffff, v16
	v_lshlrev_b32_e32 v21, 16, v17
	v_and_b32_e32 v18, 0xffff, v18
	s_delay_alu instid0(VALU_DEP_4) | instskip(SKIP_3) | instid1(VALU_DEP_4)
	v_lshlrev_b32_e32 v22, 16, v19
	v_add_nc_u32_e32 v16, -1, v15
	v_lshlrev_b32_e32 v17, 2, v24
	v_or_b32_e32 v19, v20, v21
	v_or_b32_e32 v18, v18, v22
	s_branch .LBB100_2
.LBB100_1:                              ;   in Loop: Header=BB100_2 Depth=1
	s_or_b32 exec_lo, exec_lo, s13
	s_delay_alu instid0(VALU_DEP_1) | instskip(SKIP_1) | instid1(SALU_CYCLE_1)
	v_and_b32_e32 v21, 0xff, v21
	s_add_i32 s12, s12, -1
	s_cmp_lg_u32 s12, 0
	ds_bpermute_b32 v21, v17, v21
	s_waitcnt lgkmcnt(0)
	v_cndmask_b32_e64 v21, v21, v25, s2
	s_delay_alu instid0(VALU_DEP_1) | instskip(NEXT) | instid1(VALU_DEP_1)
	v_cndmask_b32_e64 v21, v21, 0, s1
	v_add_nc_u16 v21, v21, v19
	s_delay_alu instid0(VALU_DEP_1) | instskip(NEXT) | instid1(VALU_DEP_1)
	v_add_nc_u16 v22, v21, v22
	v_add_nc_u16 v23, v22, v23
	v_lshlrev_b16 v19, 8, v22
	s_delay_alu instid0(VALU_DEP_2) | instskip(SKIP_1) | instid1(VALU_DEP_2)
	v_add_nc_u16 v24, v23, v24
	v_and_b32_e32 v28, 0xff, v23
	v_add_nc_u16 v25, v24, v18
	v_and_b32_e32 v18, 0xff, v21
	v_lshlrev_b16 v29, 8, v24
	s_delay_alu instid0(VALU_DEP_3) | instskip(SKIP_1) | instid1(VALU_DEP_4)
	v_add_nc_u16 v26, v25, v26
	v_and_b32_e32 v30, 0xff, v25
	v_or_b32_e32 v18, v18, v19
	s_delay_alu instid0(VALU_DEP_4) | instskip(NEXT) | instid1(VALU_DEP_4)
	v_or_b32_e32 v19, v28, v29
	v_add_nc_u16 v27, v26, v27
	v_lshlrev_b16 v31, 8, v26
	s_delay_alu instid0(VALU_DEP_4) | instskip(NEXT) | instid1(VALU_DEP_4)
	v_and_b32_e32 v18, 0xffff, v18
	v_lshlrev_b32_e32 v19, 16, v19
	s_delay_alu instid0(VALU_DEP_4) | instskip(SKIP_2) | instid1(VALU_DEP_4)
	v_add_nc_u16 v20, v27, v20
	v_and_b32_e32 v32, 0xff, v27
	v_or_b32_e32 v28, v30, v31
	v_or_b32_e32 v19, v18, v19
	s_delay_alu instid0(VALU_DEP_4) | instskip(SKIP_1) | instid1(VALU_DEP_4)
	v_lshlrev_b16 v33, 8, v20
	v_add_nc_u16 v2, v20, v2
	v_and_b32_e32 v28, 0xffff, v28
	s_delay_alu instid0(VALU_DEP_3) | instskip(NEXT) | instid1(VALU_DEP_3)
	v_or_b32_e32 v29, v32, v33
	v_add_nc_u16 v3, v2, v3
	s_delay_alu instid0(VALU_DEP_2) | instskip(NEXT) | instid1(VALU_DEP_2)
	v_lshlrev_b32_e32 v29, 16, v29
	v_add_nc_u16 v1, v3, v1
	s_delay_alu instid0(VALU_DEP_2)
	v_or_b32_e32 v18, v28, v29
	s_cbranch_scc0 .LBB100_8
.LBB100_2:                              ; =>This Inner Loop Header: Depth=1
	s_delay_alu instid0(VALU_DEP_2)
	v_lshrrev_b32_e32 v22, 8, v19
	v_lshrrev_b32_e32 v23, 16, v19
	v_lshrrev_b32_e32 v24, 24, v19
	v_lshrrev_b32_e32 v26, 8, v18
	v_lshrrev_b32_e32 v27, 16, v18
	v_add_nc_u16 v20, v22, v19
	s_delay_alu instid0(VALU_DEP_1) | instskip(NEXT) | instid1(VALU_DEP_1)
	v_add_nc_u16 v20, v20, v23
	v_add_nc_u16 v20, v20, v24
	s_delay_alu instid0(VALU_DEP_1) | instskip(NEXT) | instid1(VALU_DEP_1)
	v_add_nc_u16 v20, v20, v18
	v_add_nc_u16 v20, v20, v26
	s_delay_alu instid0(VALU_DEP_1) | instskip(SKIP_1) | instid1(VALU_DEP_1)
	v_add_nc_u16 v21, v20, v27
	v_lshrrev_b32_e32 v20, 24, v18
	v_add_nc_u16 v21, v21, v20
	s_waitcnt vmcnt(2)
	s_delay_alu instid0(VALU_DEP_1) | instskip(SKIP_1) | instid1(VALU_DEP_1)
	v_add_nc_u16 v21, v21, v2
	s_waitcnt vmcnt(1)
	v_add_nc_u16 v21, v21, v3
	s_waitcnt vmcnt(0)
	s_delay_alu instid0(VALU_DEP_1) | instskip(NEXT) | instid1(VALU_DEP_1)
	v_add_nc_u16 v21, v21, v1
	v_and_b32_e32 v25, 0xff, v21
	s_delay_alu instid0(VALU_DEP_1) | instskip(NEXT) | instid1(VALU_DEP_1)
	v_mov_b32_dpp v25, v25 row_shr:1 row_mask:0xf bank_mask:0xf
	v_cndmask_b32_e64 v25, v25, 0, s3
	s_delay_alu instid0(VALU_DEP_1) | instskip(NEXT) | instid1(VALU_DEP_1)
	v_add_nc_u16 v21, v21, v25
	v_and_b32_e32 v25, 0xff, v21
	s_delay_alu instid0(VALU_DEP_1) | instskip(NEXT) | instid1(VALU_DEP_1)
	v_mov_b32_dpp v25, v25 row_shr:2 row_mask:0xf bank_mask:0xf
	v_cndmask_b32_e64 v25, 0, v25, s4
	;; [unrolled: 6-line block ×4, first 2 shown]
	s_delay_alu instid0(VALU_DEP_1) | instskip(NEXT) | instid1(VALU_DEP_1)
	v_add_nc_u16 v21, v21, v25
	v_and_b32_e32 v25, 0xff, v21
	ds_swizzle_b32 v25, v25 offset:swizzle(BROADCAST,32,15)
	s_waitcnt lgkmcnt(0)
	v_cndmask_b32_e64 v25, v25, 0, s7
	s_delay_alu instid0(VALU_DEP_1)
	v_add_nc_u16 v21, v21, v25
	s_and_saveexec_b32 s13, s8
	s_cbranch_execz .LBB100_4
; %bb.3:                                ;   in Loop: Header=BB100_2 Depth=1
	ds_store_b8 v15, v21
.LBB100_4:                              ;   in Loop: Header=BB100_2 Depth=1
	s_or_b32 exec_lo, exec_lo, s13
	s_waitcnt lgkmcnt(0)
	s_barrier
	buffer_gl0_inv
	s_and_saveexec_b32 s13, vcc_lo
	s_cbranch_execz .LBB100_6
; %bb.5:                                ;   in Loop: Header=BB100_2 Depth=1
	ds_load_u8 v25, v0
	s_waitcnt lgkmcnt(0)
	v_and_b32_e32 v28, 0xff, v25
	s_delay_alu instid0(VALU_DEP_1) | instskip(NEXT) | instid1(VALU_DEP_1)
	v_mov_b32_dpp v28, v28 row_shr:1 row_mask:0xf bank_mask:0xf
	v_cndmask_b32_e64 v28, v28, 0, s9
	s_delay_alu instid0(VALU_DEP_1) | instskip(NEXT) | instid1(VALU_DEP_1)
	v_add_nc_u16 v25, v28, v25
	v_and_b32_e32 v28, 0xff, v25
	s_delay_alu instid0(VALU_DEP_1) | instskip(NEXT) | instid1(VALU_DEP_1)
	v_mov_b32_dpp v28, v28 row_shr:2 row_mask:0xf bank_mask:0xf
	v_cndmask_b32_e64 v28, 0, v28, s10
	s_delay_alu instid0(VALU_DEP_1) | instskip(NEXT) | instid1(VALU_DEP_1)
	v_add_nc_u16 v25, v25, v28
	v_and_b32_e32 v28, 0xff, v25
	s_delay_alu instid0(VALU_DEP_1) | instskip(NEXT) | instid1(VALU_DEP_1)
	v_mov_b32_dpp v28, v28 row_shr:4 row_mask:0xf bank_mask:0xf
	v_cndmask_b32_e64 v28, 0, v28, s11
	s_delay_alu instid0(VALU_DEP_1)
	v_add_nc_u16 v25, v25, v28
	ds_store_b8 v0, v25
.LBB100_6:                              ;   in Loop: Header=BB100_2 Depth=1
	s_or_b32 exec_lo, exec_lo, s13
	s_waitcnt lgkmcnt(0)
	s_barrier
	buffer_gl0_inv
                                        ; implicit-def: $vgpr25
	s_and_saveexec_b32 s13, s0
	s_cbranch_execz .LBB100_1
; %bb.7:                                ;   in Loop: Header=BB100_2 Depth=1
	ds_load_u8 v25, v16
	s_waitcnt lgkmcnt(0)
	v_add_nc_u16 v21, v25, v21
	s_branch .LBB100_1
.LBB100_8:
	v_add_co_u32 v15, s0, s14, v13
	s_delay_alu instid0(VALU_DEP_1) | instskip(SKIP_1) | instid1(VALU_DEP_1)
	v_add_co_ci_u32_e64 v16, null, s15, 0, s0
	v_add_co_u32 v12, s0, s14, v12
	v_add_co_ci_u32_e64 v13, null, s15, 0, s0
	v_add_co_u32 v17, s0, s14, v14
	s_delay_alu instid0(VALU_DEP_1) | instskip(SKIP_1) | instid1(VALU_DEP_1)
	v_add_co_ci_u32_e64 v18, null, s15, 0, s0
	v_add_co_u32 v28, s0, s14, v11
	v_add_co_ci_u32_e64 v29, null, s15, 0, s0
	;; [unrolled: 5-line block ×5, first 2 shown]
	v_add_co_u32 v4, s0, s14, v5
	s_delay_alu instid0(VALU_DEP_1)
	v_add_co_ci_u32_e64 v5, null, s15, 0, s0
	s_clause 0xa
	global_store_b8 v[15:16], v21, off
	global_store_b8 v[12:13], v22, off
	;; [unrolled: 1-line block ×11, first 2 shown]
	s_nop 0
	s_sendmsg sendmsg(MSG_DEALLOC_VGPRS)
	s_endpgm
	.section	.rodata,"a",@progbits
	.p2align	6, 0x0
	.amdhsa_kernel _Z6kernelI14inclusive_scanILN6hipcub18BlockScanAlgorithmE0EEhLj256ELj11ELj100EEvPKT0_PS4_S4_
		.amdhsa_group_segment_fixed_size 8
		.amdhsa_private_segment_fixed_size 0
		.amdhsa_kernarg_size 280
		.amdhsa_user_sgpr_count 15
		.amdhsa_user_sgpr_dispatch_ptr 0
		.amdhsa_user_sgpr_queue_ptr 0
		.amdhsa_user_sgpr_kernarg_segment_ptr 1
		.amdhsa_user_sgpr_dispatch_id 0
		.amdhsa_user_sgpr_private_segment_size 0
		.amdhsa_wavefront_size32 1
		.amdhsa_uses_dynamic_stack 0
		.amdhsa_enable_private_segment 0
		.amdhsa_system_sgpr_workgroup_id_x 1
		.amdhsa_system_sgpr_workgroup_id_y 0
		.amdhsa_system_sgpr_workgroup_id_z 0
		.amdhsa_system_sgpr_workgroup_info 0
		.amdhsa_system_vgpr_workitem_id 0
		.amdhsa_next_free_vgpr 36
		.amdhsa_next_free_sgpr 16
		.amdhsa_reserve_vcc 1
		.amdhsa_float_round_mode_32 0
		.amdhsa_float_round_mode_16_64 0
		.amdhsa_float_denorm_mode_32 3
		.amdhsa_float_denorm_mode_16_64 3
		.amdhsa_dx10_clamp 1
		.amdhsa_ieee_mode 1
		.amdhsa_fp16_overflow 0
		.amdhsa_workgroup_processor_mode 1
		.amdhsa_memory_ordered 1
		.amdhsa_forward_progress 0
		.amdhsa_shared_vgpr_count 0
		.amdhsa_exception_fp_ieee_invalid_op 0
		.amdhsa_exception_fp_denorm_src 0
		.amdhsa_exception_fp_ieee_div_zero 0
		.amdhsa_exception_fp_ieee_overflow 0
		.amdhsa_exception_fp_ieee_underflow 0
		.amdhsa_exception_fp_ieee_inexact 0
		.amdhsa_exception_int_div_zero 0
	.end_amdhsa_kernel
	.section	.text._Z6kernelI14inclusive_scanILN6hipcub18BlockScanAlgorithmE0EEhLj256ELj11ELj100EEvPKT0_PS4_S4_,"axG",@progbits,_Z6kernelI14inclusive_scanILN6hipcub18BlockScanAlgorithmE0EEhLj256ELj11ELj100EEvPKT0_PS4_S4_,comdat
.Lfunc_end100:
	.size	_Z6kernelI14inclusive_scanILN6hipcub18BlockScanAlgorithmE0EEhLj256ELj11ELj100EEvPKT0_PS4_S4_, .Lfunc_end100-_Z6kernelI14inclusive_scanILN6hipcub18BlockScanAlgorithmE0EEhLj256ELj11ELj100EEvPKT0_PS4_S4_
                                        ; -- End function
	.section	.AMDGPU.csdata,"",@progbits
; Kernel info:
; codeLenInByte = 1656
; NumSgprs: 18
; NumVgprs: 36
; ScratchSize: 0
; MemoryBound: 0
; FloatMode: 240
; IeeeMode: 1
; LDSByteSize: 8 bytes/workgroup (compile time only)
; SGPRBlocks: 2
; VGPRBlocks: 4
; NumSGPRsForWavesPerEU: 18
; NumVGPRsForWavesPerEU: 36
; Occupancy: 16
; WaveLimiterHint : 0
; COMPUTE_PGM_RSRC2:SCRATCH_EN: 0
; COMPUTE_PGM_RSRC2:USER_SGPR: 15
; COMPUTE_PGM_RSRC2:TRAP_HANDLER: 0
; COMPUTE_PGM_RSRC2:TGID_X_EN: 1
; COMPUTE_PGM_RSRC2:TGID_Y_EN: 0
; COMPUTE_PGM_RSRC2:TGID_Z_EN: 0
; COMPUTE_PGM_RSRC2:TIDIG_COMP_CNT: 0
	.section	.text._Z6kernelI14inclusive_scanILN6hipcub18BlockScanAlgorithmE0EEhLj256ELj16ELj100EEvPKT0_PS4_S4_,"axG",@progbits,_Z6kernelI14inclusive_scanILN6hipcub18BlockScanAlgorithmE0EEhLj256ELj16ELj100EEvPKT0_PS4_S4_,comdat
	.protected	_Z6kernelI14inclusive_scanILN6hipcub18BlockScanAlgorithmE0EEhLj256ELj16ELj100EEvPKT0_PS4_S4_ ; -- Begin function _Z6kernelI14inclusive_scanILN6hipcub18BlockScanAlgorithmE0EEhLj256ELj16ELj100EEvPKT0_PS4_S4_
	.globl	_Z6kernelI14inclusive_scanILN6hipcub18BlockScanAlgorithmE0EEhLj256ELj16ELj100EEvPKT0_PS4_S4_
	.p2align	8
	.type	_Z6kernelI14inclusive_scanILN6hipcub18BlockScanAlgorithmE0EEhLj256ELj16ELj100EEvPKT0_PS4_S4_,@function
_Z6kernelI14inclusive_scanILN6hipcub18BlockScanAlgorithmE0EEhLj256ELj16ELj100EEvPKT0_PS4_S4_: ; @_Z6kernelI14inclusive_scanILN6hipcub18BlockScanAlgorithmE0EEhLj256ELj16ELj100EEvPKT0_PS4_S4_
; %bb.0:
	s_clause 0x1
	s_load_b32 s2, s[0:1], 0x24
	s_load_b128 s[16:19], s[0:1], 0x0
	v_mbcnt_lo_u32_b32 v8, -1, 0
	v_or_b32_e32 v10, 31, v0
	v_cmp_gt_u32_e64 s5, 8, v0
	v_cmp_lt_u32_e64 s6, 31, v0
	v_cmp_eq_u32_e64 s7, 0, v0
	v_add_nc_u32_e32 v9, -1, v8
	v_and_b32_e32 v6, 15, v8
	v_and_b32_e32 v7, 16, v8
	v_cmp_eq_u32_e64 s8, 0, v8
	s_movk_i32 s12, 0x64
	v_cmp_gt_i32_e64 s4, 0, v9
	v_cmp_eq_u32_e32 vcc_lo, 0, v6
	v_cmp_lt_u32_e64 s1, 3, v6
	v_cmp_eq_u32_e64 s3, 0, v7
	s_delay_alu instid0(VALU_DEP_4)
	v_cndmask_b32_e64 v7, v9, v8, s4
	v_and_b32_e32 v9, 7, v8
	v_cmp_eq_u32_e64 s4, v10, v0
	s_waitcnt lgkmcnt(0)
	s_and_b32 s0, s2, 0xffff
	v_cmp_lt_u32_e64 s2, 7, v6
	s_mul_i32 s15, s15, s0
	v_cmp_lt_u32_e64 s0, 1, v6
	v_add_lshl_u32 v5, s15, v0, 4
	v_lshrrev_b32_e32 v6, 5, v0
	v_lshlrev_b32_e32 v7, 2, v7
	v_cmp_eq_u32_e64 s9, 0, v9
	v_cmp_lt_u32_e64 s10, 1, v9
	global_load_b128 v[1:4], v5, s[16:17]
	v_cmp_lt_u32_e64 s11, 3, v9
	v_add_nc_u32_e32 v8, -1, v6
	s_branch .LBB101_2
.LBB101_1:                              ;   in Loop: Header=BB101_2 Depth=1
	s_or_b32 exec_lo, exec_lo, s13
	s_delay_alu instid0(VALU_DEP_1) | instskip(SKIP_1) | instid1(SALU_CYCLE_1)
	v_and_b32_e32 v21, 0xff, v21
	s_add_i32 s12, s12, -1
	s_cmp_lg_u32 s12, 0
	ds_bpermute_b32 v21, v7, v21
	s_waitcnt lgkmcnt(0)
	v_cndmask_b32_e64 v21, v21, v22, s8
	s_delay_alu instid0(VALU_DEP_1) | instskip(NEXT) | instid1(VALU_DEP_1)
	v_cndmask_b32_e64 v21, v21, 0, s7
	v_add_nc_u16 v1, v21, v1
	s_delay_alu instid0(VALU_DEP_1) | instskip(SKIP_1) | instid1(VALU_DEP_2)
	v_add_nc_u16 v12, v1, v12
	v_and_b32_e32 v1, 0xff, v1
	v_add_nc_u16 v13, v12, v13
	v_lshlrev_b16 v12, 8, v12
	s_delay_alu instid0(VALU_DEP_2) | instskip(SKIP_1) | instid1(VALU_DEP_3)
	v_add_nc_u16 v14, v13, v14
	v_and_b32_e32 v13, 0xff, v13
	v_or_b32_e32 v1, v1, v12
	s_delay_alu instid0(VALU_DEP_3) | instskip(SKIP_1) | instid1(VALU_DEP_2)
	v_add_nc_u16 v2, v14, v2
	v_lshlrev_b16 v14, 8, v14
	v_add_nc_u16 v15, v2, v15
	v_and_b32_e32 v2, 0xff, v2
	s_delay_alu instid0(VALU_DEP_3) | instskip(NEXT) | instid1(VALU_DEP_3)
	v_or_b32_e32 v12, v13, v14
	v_add_nc_u16 v16, v15, v16
	v_lshlrev_b16 v15, 8, v15
	s_delay_alu instid0(VALU_DEP_3) | instskip(NEXT) | instid1(VALU_DEP_3)
	v_lshlrev_b32_e32 v12, 16, v12
	v_add_nc_u16 v18, v16, v18
	s_delay_alu instid0(VALU_DEP_3) | instskip(NEXT) | instid1(VALU_DEP_2)
	v_or_b32_e32 v2, v2, v15
	v_add_nc_u16 v3, v18, v3
	s_delay_alu instid0(VALU_DEP_2) | instskip(NEXT) | instid1(VALU_DEP_2)
	v_and_b32_e32 v13, 0xffff, v2
	v_add_nc_u16 v19, v3, v19
	v_and_b32_e32 v3, 0xff, v3
	s_delay_alu instid0(VALU_DEP_2) | instskip(SKIP_1) | instid1(VALU_DEP_2)
	v_add_nc_u16 v20, v19, v20
	v_lshlrev_b16 v15, 8, v19
	v_add_nc_u16 v17, v20, v17
	s_delay_alu instid0(VALU_DEP_2) | instskip(NEXT) | instid1(VALU_DEP_2)
	v_or_b32_e32 v3, v3, v15
	v_add_nc_u16 v4, v17, v4
	v_lshlrev_b16 v17, 8, v17
	s_delay_alu instid0(VALU_DEP_2)
	v_add_nc_u16 v14, v4, v11
	v_and_b32_e32 v11, 0xffff, v1
	v_and_b32_e32 v1, 0xff, v16
	;; [unrolled: 1-line block ×4, first 2 shown]
	v_add_nc_u16 v2, v14, v10
	v_lshlrev_b16 v10, 8, v18
	v_lshlrev_b16 v14, 8, v14
	v_or_b32_e32 v15, v16, v17
	s_delay_alu instid0(VALU_DEP_4)
	v_add_nc_u16 v9, v2, v9
	v_and_b32_e32 v2, 0xff, v2
	v_or_b32_e32 v1, v1, v10
	v_or_b32_e32 v4, v4, v14
	v_and_b32_e32 v10, 0xffff, v3
	v_lshlrev_b16 v9, 8, v9
	v_lshlrev_b32_e32 v14, 16, v15
	s_delay_alu instid0(VALU_DEP_4) | instskip(NEXT) | instid1(VALU_DEP_3)
	v_and_b32_e32 v15, 0xffff, v4
	v_or_b32_e32 v2, v2, v9
	v_lshlrev_b32_e32 v9, 16, v1
	v_or_b32_e32 v1, v11, v12
	v_or_b32_e32 v3, v10, v14
	s_delay_alu instid0(VALU_DEP_4) | instskip(NEXT) | instid1(VALU_DEP_4)
	v_lshlrev_b32_e32 v16, 16, v2
	v_or_b32_e32 v2, v13, v9
	s_delay_alu instid0(VALU_DEP_2)
	v_or_b32_e32 v4, v15, v16
	s_cbranch_scc0 .LBB101_8
.LBB101_2:                              ; =>This Inner Loop Header: Depth=1
	s_waitcnt vmcnt(0)
	v_lshrrev_b32_e32 v12, 8, v1
	v_lshrrev_b32_e32 v13, 16, v1
	;; [unrolled: 1-line block ×5, first 2 shown]
	v_add_nc_u16 v9, v12, v1
	v_lshrrev_b32_e32 v18, 24, v2
	v_lshrrev_b32_e32 v19, 8, v3
	;; [unrolled: 1-line block ×4, first 2 shown]
	v_add_nc_u16 v9, v9, v13
	v_lshrrev_b32_e32 v11, 8, v4
	v_lshrrev_b32_e32 v10, 16, v4
	s_delay_alu instid0(VALU_DEP_3) | instskip(NEXT) | instid1(VALU_DEP_1)
	v_add_nc_u16 v9, v9, v14
	v_add_nc_u16 v9, v9, v2
	s_delay_alu instid0(VALU_DEP_1) | instskip(NEXT) | instid1(VALU_DEP_1)
	v_add_nc_u16 v9, v9, v15
	v_add_nc_u16 v9, v9, v16
	s_delay_alu instid0(VALU_DEP_1) | instskip(NEXT) | instid1(VALU_DEP_1)
	;; [unrolled: 3-line block ×5, first 2 shown]
	v_add_nc_u16 v9, v9, v11
	v_add_nc_u16 v21, v9, v10
	v_lshrrev_b32_e32 v9, 24, v4
	s_delay_alu instid0(VALU_DEP_1) | instskip(NEXT) | instid1(VALU_DEP_1)
	v_add_nc_u16 v21, v21, v9
	v_and_b32_e32 v22, 0xff, v21
	s_delay_alu instid0(VALU_DEP_1) | instskip(NEXT) | instid1(VALU_DEP_1)
	v_mov_b32_dpp v22, v22 row_shr:1 row_mask:0xf bank_mask:0xf
	v_cndmask_b32_e64 v22, v22, 0, vcc_lo
	s_delay_alu instid0(VALU_DEP_1) | instskip(NEXT) | instid1(VALU_DEP_1)
	v_add_nc_u16 v21, v21, v22
	v_and_b32_e32 v22, 0xff, v21
	s_delay_alu instid0(VALU_DEP_1) | instskip(NEXT) | instid1(VALU_DEP_1)
	v_mov_b32_dpp v22, v22 row_shr:2 row_mask:0xf bank_mask:0xf
	v_cndmask_b32_e64 v22, 0, v22, s0
	s_delay_alu instid0(VALU_DEP_1) | instskip(NEXT) | instid1(VALU_DEP_1)
	v_add_nc_u16 v21, v21, v22
	v_and_b32_e32 v22, 0xff, v21
	s_delay_alu instid0(VALU_DEP_1) | instskip(NEXT) | instid1(VALU_DEP_1)
	v_mov_b32_dpp v22, v22 row_shr:4 row_mask:0xf bank_mask:0xf
	v_cndmask_b32_e64 v22, 0, v22, s1
	;; [unrolled: 6-line block ×3, first 2 shown]
	s_delay_alu instid0(VALU_DEP_1) | instskip(NEXT) | instid1(VALU_DEP_1)
	v_add_nc_u16 v21, v21, v22
	v_and_b32_e32 v22, 0xff, v21
	ds_swizzle_b32 v22, v22 offset:swizzle(BROADCAST,32,15)
	s_waitcnt lgkmcnt(0)
	v_cndmask_b32_e64 v22, v22, 0, s3
	s_delay_alu instid0(VALU_DEP_1)
	v_add_nc_u16 v21, v21, v22
	s_and_saveexec_b32 s13, s4
	s_cbranch_execz .LBB101_4
; %bb.3:                                ;   in Loop: Header=BB101_2 Depth=1
	ds_store_b8 v6, v21
.LBB101_4:                              ;   in Loop: Header=BB101_2 Depth=1
	s_or_b32 exec_lo, exec_lo, s13
	s_waitcnt lgkmcnt(0)
	s_barrier
	buffer_gl0_inv
	s_and_saveexec_b32 s13, s5
	s_cbranch_execz .LBB101_6
; %bb.5:                                ;   in Loop: Header=BB101_2 Depth=1
	ds_load_u8 v22, v0
	s_waitcnt lgkmcnt(0)
	v_and_b32_e32 v23, 0xff, v22
	s_delay_alu instid0(VALU_DEP_1) | instskip(NEXT) | instid1(VALU_DEP_1)
	v_mov_b32_dpp v23, v23 row_shr:1 row_mask:0xf bank_mask:0xf
	v_cndmask_b32_e64 v23, v23, 0, s9
	s_delay_alu instid0(VALU_DEP_1) | instskip(NEXT) | instid1(VALU_DEP_1)
	v_add_nc_u16 v22, v23, v22
	v_and_b32_e32 v23, 0xff, v22
	s_delay_alu instid0(VALU_DEP_1) | instskip(NEXT) | instid1(VALU_DEP_1)
	v_mov_b32_dpp v23, v23 row_shr:2 row_mask:0xf bank_mask:0xf
	v_cndmask_b32_e64 v23, 0, v23, s10
	s_delay_alu instid0(VALU_DEP_1) | instskip(NEXT) | instid1(VALU_DEP_1)
	v_add_nc_u16 v22, v22, v23
	v_and_b32_e32 v23, 0xff, v22
	s_delay_alu instid0(VALU_DEP_1) | instskip(NEXT) | instid1(VALU_DEP_1)
	v_mov_b32_dpp v23, v23 row_shr:4 row_mask:0xf bank_mask:0xf
	v_cndmask_b32_e64 v23, 0, v23, s11
	s_delay_alu instid0(VALU_DEP_1)
	v_add_nc_u16 v22, v22, v23
	ds_store_b8 v0, v22
.LBB101_6:                              ;   in Loop: Header=BB101_2 Depth=1
	s_or_b32 exec_lo, exec_lo, s13
	s_waitcnt lgkmcnt(0)
	s_barrier
	buffer_gl0_inv
                                        ; implicit-def: $vgpr22
	s_and_saveexec_b32 s13, s6
	s_cbranch_execz .LBB101_1
; %bb.7:                                ;   in Loop: Header=BB101_2 Depth=1
	ds_load_u8 v22, v8
	s_waitcnt lgkmcnt(0)
	v_add_nc_u16 v21, v22, v21
	s_branch .LBB101_1
.LBB101_8:
	v_add_co_u32 v4, s0, s18, v5
	s_delay_alu instid0(VALU_DEP_1)
	v_add_co_ci_u32_e64 v5, null, s19, 0, s0
	v_or_b32_e32 v3, v15, v16
	v_or_b32_e32 v2, v10, v14
	;; [unrolled: 1-line block ×4, first 2 shown]
	global_store_b128 v[4:5], v[0:3], off
	s_nop 0
	s_sendmsg sendmsg(MSG_DEALLOC_VGPRS)
	s_endpgm
	.section	.rodata,"a",@progbits
	.p2align	6, 0x0
	.amdhsa_kernel _Z6kernelI14inclusive_scanILN6hipcub18BlockScanAlgorithmE0EEhLj256ELj16ELj100EEvPKT0_PS4_S4_
		.amdhsa_group_segment_fixed_size 8
		.amdhsa_private_segment_fixed_size 0
		.amdhsa_kernarg_size 280
		.amdhsa_user_sgpr_count 15
		.amdhsa_user_sgpr_dispatch_ptr 0
		.amdhsa_user_sgpr_queue_ptr 0
		.amdhsa_user_sgpr_kernarg_segment_ptr 1
		.amdhsa_user_sgpr_dispatch_id 0
		.amdhsa_user_sgpr_private_segment_size 0
		.amdhsa_wavefront_size32 1
		.amdhsa_uses_dynamic_stack 0
		.amdhsa_enable_private_segment 0
		.amdhsa_system_sgpr_workgroup_id_x 1
		.amdhsa_system_sgpr_workgroup_id_y 0
		.amdhsa_system_sgpr_workgroup_id_z 0
		.amdhsa_system_sgpr_workgroup_info 0
		.amdhsa_system_vgpr_workitem_id 0
		.amdhsa_next_free_vgpr 24
		.amdhsa_next_free_sgpr 20
		.amdhsa_reserve_vcc 1
		.amdhsa_float_round_mode_32 0
		.amdhsa_float_round_mode_16_64 0
		.amdhsa_float_denorm_mode_32 3
		.amdhsa_float_denorm_mode_16_64 3
		.amdhsa_dx10_clamp 1
		.amdhsa_ieee_mode 1
		.amdhsa_fp16_overflow 0
		.amdhsa_workgroup_processor_mode 1
		.amdhsa_memory_ordered 1
		.amdhsa_forward_progress 0
		.amdhsa_shared_vgpr_count 0
		.amdhsa_exception_fp_ieee_invalid_op 0
		.amdhsa_exception_fp_denorm_src 0
		.amdhsa_exception_fp_ieee_div_zero 0
		.amdhsa_exception_fp_ieee_overflow 0
		.amdhsa_exception_fp_ieee_underflow 0
		.amdhsa_exception_fp_ieee_inexact 0
		.amdhsa_exception_int_div_zero 0
	.end_amdhsa_kernel
	.section	.text._Z6kernelI14inclusive_scanILN6hipcub18BlockScanAlgorithmE0EEhLj256ELj16ELj100EEvPKT0_PS4_S4_,"axG",@progbits,_Z6kernelI14inclusive_scanILN6hipcub18BlockScanAlgorithmE0EEhLj256ELj16ELj100EEvPKT0_PS4_S4_,comdat
.Lfunc_end101:
	.size	_Z6kernelI14inclusive_scanILN6hipcub18BlockScanAlgorithmE0EEhLj256ELj16ELj100EEvPKT0_PS4_S4_, .Lfunc_end101-_Z6kernelI14inclusive_scanILN6hipcub18BlockScanAlgorithmE0EEhLj256ELj16ELj100EEvPKT0_PS4_S4_
                                        ; -- End function
	.section	.AMDGPU.csdata,"",@progbits
; Kernel info:
; codeLenInByte = 1380
; NumSgprs: 22
; NumVgprs: 24
; ScratchSize: 0
; MemoryBound: 0
; FloatMode: 240
; IeeeMode: 1
; LDSByteSize: 8 bytes/workgroup (compile time only)
; SGPRBlocks: 2
; VGPRBlocks: 2
; NumSGPRsForWavesPerEU: 22
; NumVGPRsForWavesPerEU: 24
; Occupancy: 16
; WaveLimiterHint : 0
; COMPUTE_PGM_RSRC2:SCRATCH_EN: 0
; COMPUTE_PGM_RSRC2:USER_SGPR: 15
; COMPUTE_PGM_RSRC2:TRAP_HANDLER: 0
; COMPUTE_PGM_RSRC2:TGID_X_EN: 1
; COMPUTE_PGM_RSRC2:TGID_Y_EN: 0
; COMPUTE_PGM_RSRC2:TGID_Z_EN: 0
; COMPUTE_PGM_RSRC2:TIDIG_COMP_CNT: 0
	.section	.text._Z6kernelI14inclusive_scanILN6hipcub18BlockScanAlgorithmE0EEN15benchmark_utils11custom_typeIffEELj256ELj1ELj100EEvPKT0_PS7_S7_,"axG",@progbits,_Z6kernelI14inclusive_scanILN6hipcub18BlockScanAlgorithmE0EEN15benchmark_utils11custom_typeIffEELj256ELj1ELj100EEvPKT0_PS7_S7_,comdat
	.protected	_Z6kernelI14inclusive_scanILN6hipcub18BlockScanAlgorithmE0EEN15benchmark_utils11custom_typeIffEELj256ELj1ELj100EEvPKT0_PS7_S7_ ; -- Begin function _Z6kernelI14inclusive_scanILN6hipcub18BlockScanAlgorithmE0EEN15benchmark_utils11custom_typeIffEELj256ELj1ELj100EEvPKT0_PS7_S7_
	.globl	_Z6kernelI14inclusive_scanILN6hipcub18BlockScanAlgorithmE0EEN15benchmark_utils11custom_typeIffEELj256ELj1ELj100EEvPKT0_PS7_S7_
	.p2align	8
	.type	_Z6kernelI14inclusive_scanILN6hipcub18BlockScanAlgorithmE0EEN15benchmark_utils11custom_typeIffEELj256ELj1ELj100EEvPKT0_PS7_S7_,@function
_Z6kernelI14inclusive_scanILN6hipcub18BlockScanAlgorithmE0EEN15benchmark_utils11custom_typeIffEELj256ELj1ELj100EEvPKT0_PS7_S7_: ; @_Z6kernelI14inclusive_scanILN6hipcub18BlockScanAlgorithmE0EEN15benchmark_utils11custom_typeIffEELj256ELj1ELj100EEvPKT0_PS7_S7_
; %bb.0:
	s_clause 0x1
	s_load_b32 s2, s[0:1], 0x24
	s_load_b128 s[8:11], s[0:1], 0x0
	v_mbcnt_lo_u32_b32 v5, -1, 0
	v_or_b32_e32 v8, 31, v0
	v_cmp_gt_u32_e64 s5, 8, v0
	v_cmp_lt_u32_e64 s6, 31, v0
	s_movk_i32 s12, 0x64
	v_and_b32_e32 v6, 15, v5
	v_cmp_eq_u32_e64 s4, v8, v0
	v_and_b32_e32 v7, 16, v5
	v_and_b32_e32 v5, 7, v5
	s_delay_alu instid0(VALU_DEP_4) | instskip(NEXT) | instid1(VALU_DEP_3)
	v_cmp_lt_u32_e64 s1, 3, v6
	v_cmp_ne_u32_e64 s3, 0, v7
	s_delay_alu instid0(VALU_DEP_3)
	v_cmp_ne_u32_e64 s7, 0, v5
	s_waitcnt lgkmcnt(0)
	s_and_b32 s0, s2, 0xffff
	v_cmp_lt_u32_e64 s2, 7, v6
	v_mad_u64_u32 v[1:2], null, s15, s0, v[0:1]
	v_mov_b32_e32 v2, 0
	v_cmp_lt_u32_e64 s0, 1, v6
	s_delay_alu instid0(VALU_DEP_2) | instskip(NEXT) | instid1(VALU_DEP_1)
	v_lshlrev_b64 v[1:2], 3, v[1:2]
	v_add_co_u32 v3, vcc_lo, s8, v1
	s_delay_alu instid0(VALU_DEP_2)
	v_add_co_ci_u32_e32 v4, vcc_lo, s9, v2, vcc_lo
	v_cmp_ne_u32_e32 vcc_lo, 0, v6
	v_lshrrev_b32_e32 v6, 2, v0
	v_lshlrev_b32_e32 v0, 3, v0
	global_load_b64 v[3:4], v[3:4], off
	v_cmp_lt_u32_e64 s8, 1, v5
	v_cmp_lt_u32_e64 s9, 3, v5
	v_and_b32_e32 v7, 56, v6
	s_delay_alu instid0(VALU_DEP_1)
	v_add_nc_u32_e32 v8, -8, v7
	s_branch .LBB102_2
.LBB102_1:                              ;   in Loop: Header=BB102_2 Depth=1
	s_or_b32 exec_lo, exec_lo, s13
	s_add_i32 s12, s12, -1
	s_delay_alu instid0(SALU_CYCLE_1)
	s_cmp_lg_u32 s12, 0
	s_cbranch_scc0 .LBB102_22
.LBB102_2:                              ; =>This Inner Loop Header: Depth=1
	s_waitcnt vmcnt(0)
	v_mov_b32_dpp v5, v3 row_shr:1 row_mask:0xf bank_mask:0xf
	v_mov_b32_dpp v6, v4 row_shr:1 row_mask:0xf bank_mask:0xf
	s_and_saveexec_b32 s13, vcc_lo
; %bb.3:                                ;   in Loop: Header=BB102_2 Depth=1
	s_delay_alu instid0(VALU_DEP_1)
	v_dual_add_f32 v4, v4, v6 :: v_dual_add_f32 v3, v3, v5
; %bb.4:                                ;   in Loop: Header=BB102_2 Depth=1
	s_or_b32 exec_lo, exec_lo, s13
	s_delay_alu instid0(VALU_DEP_1) | instskip(NEXT) | instid1(VALU_DEP_2)
	v_mov_b32_dpp v5, v3 row_shr:2 row_mask:0xf bank_mask:0xf
	v_mov_b32_dpp v6, v4 row_shr:2 row_mask:0xf bank_mask:0xf
	s_and_saveexec_b32 s13, s0
; %bb.5:                                ;   in Loop: Header=BB102_2 Depth=1
	s_delay_alu instid0(VALU_DEP_1)
	v_dual_add_f32 v4, v4, v6 :: v_dual_add_f32 v3, v3, v5
; %bb.6:                                ;   in Loop: Header=BB102_2 Depth=1
	s_or_b32 exec_lo, exec_lo, s13
	s_delay_alu instid0(VALU_DEP_1) | instskip(NEXT) | instid1(VALU_DEP_2)
	v_mov_b32_dpp v5, v3 row_shr:4 row_mask:0xf bank_mask:0xf
	v_mov_b32_dpp v6, v4 row_shr:4 row_mask:0xf bank_mask:0xf
	s_and_saveexec_b32 s13, s1
; %bb.7:                                ;   in Loop: Header=BB102_2 Depth=1
	s_delay_alu instid0(VALU_DEP_1)
	v_dual_add_f32 v4, v4, v6 :: v_dual_add_f32 v3, v3, v5
; %bb.8:                                ;   in Loop: Header=BB102_2 Depth=1
	s_or_b32 exec_lo, exec_lo, s13
	s_delay_alu instid0(VALU_DEP_1) | instskip(NEXT) | instid1(VALU_DEP_2)
	v_mov_b32_dpp v5, v3 row_shr:8 row_mask:0xf bank_mask:0xf
	v_mov_b32_dpp v6, v4 row_shr:8 row_mask:0xf bank_mask:0xf
	s_and_saveexec_b32 s13, s2
; %bb.9:                                ;   in Loop: Header=BB102_2 Depth=1
	s_delay_alu instid0(VALU_DEP_1)
	v_dual_add_f32 v4, v4, v6 :: v_dual_add_f32 v3, v3, v5
; %bb.10:                               ;   in Loop: Header=BB102_2 Depth=1
	s_or_b32 exec_lo, exec_lo, s13
	ds_swizzle_b32 v6, v3 offset:swizzle(BROADCAST,32,15)
	ds_swizzle_b32 v5, v4 offset:swizzle(BROADCAST,32,15)
	s_and_saveexec_b32 s13, s3
	s_cbranch_execz .LBB102_12
; %bb.11:                               ;   in Loop: Header=BB102_2 Depth=1
	s_waitcnt lgkmcnt(0)
	v_dual_add_f32 v3, v3, v6 :: v_dual_add_f32 v4, v4, v5
.LBB102_12:                             ;   in Loop: Header=BB102_2 Depth=1
	s_or_b32 exec_lo, exec_lo, s13
	s_and_saveexec_b32 s13, s4
	s_cbranch_execz .LBB102_14
; %bb.13:                               ;   in Loop: Header=BB102_2 Depth=1
	ds_store_b64 v7, v[3:4]
.LBB102_14:                             ;   in Loop: Header=BB102_2 Depth=1
	s_or_b32 exec_lo, exec_lo, s13
	s_waitcnt lgkmcnt(0)
	s_barrier
	buffer_gl0_inv
	s_and_saveexec_b32 s13, s5
	s_cbranch_execz .LBB102_20
; %bb.15:                               ;   in Loop: Header=BB102_2 Depth=1
	ds_load_b64 v[5:6], v0
	s_waitcnt lgkmcnt(0)
	v_mov_b32_dpp v9, v5 row_shr:1 row_mask:0xf bank_mask:0xf
	v_mov_b32_dpp v10, v6 row_shr:1 row_mask:0xf bank_mask:0xf
	s_and_saveexec_b32 s14, s7
; %bb.16:                               ;   in Loop: Header=BB102_2 Depth=1
	s_delay_alu instid0(VALU_DEP_1)
	v_dual_add_f32 v6, v6, v10 :: v_dual_add_f32 v5, v5, v9
; %bb.17:                               ;   in Loop: Header=BB102_2 Depth=1
	s_or_b32 exec_lo, exec_lo, s14
	s_delay_alu instid0(VALU_DEP_1) | instskip(NEXT) | instid1(VALU_DEP_2)
	v_mov_b32_dpp v9, v5 row_shr:2 row_mask:0xf bank_mask:0xf
	v_mov_b32_dpp v10, v6 row_shr:2 row_mask:0xf bank_mask:0xf
	s_and_saveexec_b32 s14, s8
; %bb.18:                               ;   in Loop: Header=BB102_2 Depth=1
	s_delay_alu instid0(VALU_DEP_1)
	v_dual_add_f32 v6, v6, v10 :: v_dual_add_f32 v5, v5, v9
; %bb.19:                               ;   in Loop: Header=BB102_2 Depth=1
	s_or_b32 exec_lo, exec_lo, s14
	s_delay_alu instid0(VALU_DEP_1) | instskip(NEXT) | instid1(VALU_DEP_2)
	v_mov_b32_dpp v9, v5 row_shr:4 row_mask:0xf bank_mask:0xf
	v_mov_b32_dpp v10, v6 row_shr:4 row_mask:0xf bank_mask:0xf
	s_delay_alu instid0(VALU_DEP_1) | instskip(NEXT) | instid1(VALU_DEP_1)
	v_dual_add_f32 v9, v5, v9 :: v_dual_add_f32 v10, v6, v10
	v_cndmask_b32_e64 v5, v5, v9, s9
	s_delay_alu instid0(VALU_DEP_2)
	v_cndmask_b32_e64 v6, v6, v10, s9
	ds_store_b64 v0, v[5:6]
.LBB102_20:                             ;   in Loop: Header=BB102_2 Depth=1
	s_or_b32 exec_lo, exec_lo, s13
	s_waitcnt lgkmcnt(0)
	s_barrier
	buffer_gl0_inv
	s_and_saveexec_b32 s13, s6
	s_cbranch_execz .LBB102_1
; %bb.21:                               ;   in Loop: Header=BB102_2 Depth=1
	ds_load_b64 v[5:6], v8
	s_waitcnt lgkmcnt(0)
	v_dual_add_f32 v3, v3, v5 :: v_dual_add_f32 v4, v4, v6
	s_branch .LBB102_1
.LBB102_22:
	v_add_co_u32 v0, vcc_lo, s10, v1
	v_add_co_ci_u32_e32 v1, vcc_lo, s11, v2, vcc_lo
	global_store_b64 v[0:1], v[3:4], off
	s_nop 0
	s_sendmsg sendmsg(MSG_DEALLOC_VGPRS)
	s_endpgm
	.section	.rodata,"a",@progbits
	.p2align	6, 0x0
	.amdhsa_kernel _Z6kernelI14inclusive_scanILN6hipcub18BlockScanAlgorithmE0EEN15benchmark_utils11custom_typeIffEELj256ELj1ELj100EEvPKT0_PS7_S7_
		.amdhsa_group_segment_fixed_size 64
		.amdhsa_private_segment_fixed_size 0
		.amdhsa_kernarg_size 280
		.amdhsa_user_sgpr_count 15
		.amdhsa_user_sgpr_dispatch_ptr 0
		.amdhsa_user_sgpr_queue_ptr 0
		.amdhsa_user_sgpr_kernarg_segment_ptr 1
		.amdhsa_user_sgpr_dispatch_id 0
		.amdhsa_user_sgpr_private_segment_size 0
		.amdhsa_wavefront_size32 1
		.amdhsa_uses_dynamic_stack 0
		.amdhsa_enable_private_segment 0
		.amdhsa_system_sgpr_workgroup_id_x 1
		.amdhsa_system_sgpr_workgroup_id_y 0
		.amdhsa_system_sgpr_workgroup_id_z 0
		.amdhsa_system_sgpr_workgroup_info 0
		.amdhsa_system_vgpr_workitem_id 0
		.amdhsa_next_free_vgpr 11
		.amdhsa_next_free_sgpr 16
		.amdhsa_reserve_vcc 1
		.amdhsa_float_round_mode_32 0
		.amdhsa_float_round_mode_16_64 0
		.amdhsa_float_denorm_mode_32 3
		.amdhsa_float_denorm_mode_16_64 3
		.amdhsa_dx10_clamp 1
		.amdhsa_ieee_mode 1
		.amdhsa_fp16_overflow 0
		.amdhsa_workgroup_processor_mode 1
		.amdhsa_memory_ordered 1
		.amdhsa_forward_progress 0
		.amdhsa_shared_vgpr_count 0
		.amdhsa_exception_fp_ieee_invalid_op 0
		.amdhsa_exception_fp_denorm_src 0
		.amdhsa_exception_fp_ieee_div_zero 0
		.amdhsa_exception_fp_ieee_overflow 0
		.amdhsa_exception_fp_ieee_underflow 0
		.amdhsa_exception_fp_ieee_inexact 0
		.amdhsa_exception_int_div_zero 0
	.end_amdhsa_kernel
	.section	.text._Z6kernelI14inclusive_scanILN6hipcub18BlockScanAlgorithmE0EEN15benchmark_utils11custom_typeIffEELj256ELj1ELj100EEvPKT0_PS7_S7_,"axG",@progbits,_Z6kernelI14inclusive_scanILN6hipcub18BlockScanAlgorithmE0EEN15benchmark_utils11custom_typeIffEELj256ELj1ELj100EEvPKT0_PS7_S7_,comdat
.Lfunc_end102:
	.size	_Z6kernelI14inclusive_scanILN6hipcub18BlockScanAlgorithmE0EEN15benchmark_utils11custom_typeIffEELj256ELj1ELj100EEvPKT0_PS7_S7_, .Lfunc_end102-_Z6kernelI14inclusive_scanILN6hipcub18BlockScanAlgorithmE0EEN15benchmark_utils11custom_typeIffEELj256ELj1ELj100EEvPKT0_PS7_S7_
                                        ; -- End function
	.section	.AMDGPU.csdata,"",@progbits
; Kernel info:
; codeLenInByte = 720
; NumSgprs: 18
; NumVgprs: 11
; ScratchSize: 0
; MemoryBound: 0
; FloatMode: 240
; IeeeMode: 1
; LDSByteSize: 64 bytes/workgroup (compile time only)
; SGPRBlocks: 2
; VGPRBlocks: 1
; NumSGPRsForWavesPerEU: 18
; NumVGPRsForWavesPerEU: 11
; Occupancy: 16
; WaveLimiterHint : 0
; COMPUTE_PGM_RSRC2:SCRATCH_EN: 0
; COMPUTE_PGM_RSRC2:USER_SGPR: 15
; COMPUTE_PGM_RSRC2:TRAP_HANDLER: 0
; COMPUTE_PGM_RSRC2:TGID_X_EN: 1
; COMPUTE_PGM_RSRC2:TGID_Y_EN: 0
; COMPUTE_PGM_RSRC2:TGID_Z_EN: 0
; COMPUTE_PGM_RSRC2:TIDIG_COMP_CNT: 0
	.section	.text._Z6kernelI14inclusive_scanILN6hipcub18BlockScanAlgorithmE0EEN15benchmark_utils11custom_typeIffEELj256ELj4ELj100EEvPKT0_PS7_S7_,"axG",@progbits,_Z6kernelI14inclusive_scanILN6hipcub18BlockScanAlgorithmE0EEN15benchmark_utils11custom_typeIffEELj256ELj4ELj100EEvPKT0_PS7_S7_,comdat
	.protected	_Z6kernelI14inclusive_scanILN6hipcub18BlockScanAlgorithmE0EEN15benchmark_utils11custom_typeIffEELj256ELj4ELj100EEvPKT0_PS7_S7_ ; -- Begin function _Z6kernelI14inclusive_scanILN6hipcub18BlockScanAlgorithmE0EEN15benchmark_utils11custom_typeIffEELj256ELj4ELj100EEvPKT0_PS7_S7_
	.globl	_Z6kernelI14inclusive_scanILN6hipcub18BlockScanAlgorithmE0EEN15benchmark_utils11custom_typeIffEELj256ELj4ELj100EEvPKT0_PS7_S7_
	.p2align	8
	.type	_Z6kernelI14inclusive_scanILN6hipcub18BlockScanAlgorithmE0EEN15benchmark_utils11custom_typeIffEELj256ELj4ELj100EEvPKT0_PS7_S7_,@function
_Z6kernelI14inclusive_scanILN6hipcub18BlockScanAlgorithmE0EEN15benchmark_utils11custom_typeIffEELj256ELj4ELj100EEvPKT0_PS7_S7_: ; @_Z6kernelI14inclusive_scanILN6hipcub18BlockScanAlgorithmE0EEN15benchmark_utils11custom_typeIffEELj256ELj4ELj100EEvPKT0_PS7_S7_
; %bb.0:
	s_clause 0x1
	s_load_b32 s2, s[0:1], 0x24
	s_load_b128 s[16:19], s[0:1], 0x0
	v_mbcnt_lo_u32_b32 v9, -1, 0
	v_mov_b32_e32 v2, 0
	v_or_b32_e32 v12, 31, v0
	v_cmp_lt_u32_e64 s6, 31, v0
	v_cmp_ne_u32_e64 s7, 0, v0
	v_and_b32_e32 v11, 16, v9
	v_add_nc_u32_e32 v15, -1, v9
	v_and_b32_e32 v10, 15, v9
	v_cmp_eq_u32_e64 s4, v12, v0
	v_and_b32_e32 v12, 7, v9
	v_cmp_ne_u32_e64 s3, 0, v11
	v_cmp_gt_i32_e64 s5, 0, v15
	v_lshrrev_b32_e32 v11, 2, v0
	v_cmp_lt_u32_e64 s1, 3, v10
	v_cmp_ne_u32_e64 s8, 0, v12
	v_cmp_lt_u32_e64 s9, 1, v12
	v_cmp_lt_u32_e64 s10, 3, v12
	v_and_b32_e32 v20, 56, v11
	s_waitcnt lgkmcnt(0)
	s_and_b32 s0, s2, 0xffff
	v_cmp_lt_u32_e64 s2, 7, v10
	s_mul_i32 s15, s15, s0
	v_cmp_lt_u32_e64 s0, 1, v10
	v_add_lshl_u32 v1, s15, v0, 2
	v_add_nc_u32_e32 v21, -8, v20
	v_cmp_eq_u32_e64 s11, 0, v9
	s_movk_i32 s12, 0x64
	s_delay_alu instid0(VALU_DEP_3) | instskip(NEXT) | instid1(VALU_DEP_1)
	v_lshlrev_b64 v[13:14], 3, v[1:2]
	v_add_co_u32 v5, vcc_lo, s16, v13
	s_delay_alu instid0(VALU_DEP_2)
	v_add_co_ci_u32_e32 v6, vcc_lo, s17, v14, vcc_lo
	v_cmp_ne_u32_e32 vcc_lo, 0, v10
	v_cndmask_b32_e64 v10, v15, v9, s5
	v_cmp_gt_u32_e64 s5, 8, v0
	s_clause 0x1
	global_load_b128 v[1:4], v[5:6], off
	global_load_b128 v[5:8], v[5:6], off offset:16
	v_lshlrev_b32_e32 v0, 3, v0
	v_lshlrev_b32_e32 v19, 2, v10
.LBB103_1:                              ; =>This Inner Loop Header: Depth=1
	s_waitcnt vmcnt(1)
	s_delay_alu instid0(VALU_DEP_1) | instskip(SKIP_1) | instid1(VALU_DEP_1)
	v_dual_add_f32 v22, v3, v1 :: v_dual_add_f32 v23, v4, v2
	s_waitcnt vmcnt(0)
	v_dual_add_f32 v9, v5, v22 :: v_dual_add_f32 v10, v6, v23
	s_delay_alu instid0(VALU_DEP_1) | instskip(NEXT) | instid1(VALU_DEP_1)
	v_dual_add_f32 v11, v7, v9 :: v_dual_add_f32 v12, v8, v10
	v_mov_b32_dpp v17, v11 row_shr:1 row_mask:0xf bank_mask:0xf
	s_delay_alu instid0(VALU_DEP_2)
	v_mov_b32_dpp v18, v12 row_shr:1 row_mask:0xf bank_mask:0xf
	s_waitcnt lgkmcnt(0)
	v_dual_mov_b32 v15, v11 :: v_dual_mov_b32 v16, v12
	s_and_saveexec_b32 s13, vcc_lo
; %bb.2:                                ;   in Loop: Header=BB103_1 Depth=1
	s_delay_alu instid0(VALU_DEP_2)
	v_dual_add_f32 v16, v12, v18 :: v_dual_add_f32 v15, v11, v17
; %bb.3:                                ;   in Loop: Header=BB103_1 Depth=1
	s_or_b32 exec_lo, exec_lo, s13
	s_delay_alu instid0(VALU_DEP_1) | instskip(NEXT) | instid1(VALU_DEP_2)
	v_mov_b32_dpp v17, v15 row_shr:2 row_mask:0xf bank_mask:0xf
	v_mov_b32_dpp v18, v16 row_shr:2 row_mask:0xf bank_mask:0xf
	s_and_saveexec_b32 s13, s0
; %bb.4:                                ;   in Loop: Header=BB103_1 Depth=1
	s_delay_alu instid0(VALU_DEP_1)
	v_dual_add_f32 v16, v16, v18 :: v_dual_add_f32 v15, v15, v17
; %bb.5:                                ;   in Loop: Header=BB103_1 Depth=1
	s_or_b32 exec_lo, exec_lo, s13
	s_delay_alu instid0(VALU_DEP_1) | instskip(NEXT) | instid1(VALU_DEP_2)
	v_mov_b32_dpp v17, v15 row_shr:4 row_mask:0xf bank_mask:0xf
	v_mov_b32_dpp v18, v16 row_shr:4 row_mask:0xf bank_mask:0xf
	s_and_saveexec_b32 s13, s1
; %bb.6:                                ;   in Loop: Header=BB103_1 Depth=1
	s_delay_alu instid0(VALU_DEP_1)
	v_dual_add_f32 v16, v16, v18 :: v_dual_add_f32 v15, v15, v17
; %bb.7:                                ;   in Loop: Header=BB103_1 Depth=1
	s_or_b32 exec_lo, exec_lo, s13
	s_delay_alu instid0(VALU_DEP_1) | instskip(NEXT) | instid1(VALU_DEP_2)
	v_mov_b32_dpp v17, v15 row_shr:8 row_mask:0xf bank_mask:0xf
	v_mov_b32_dpp v18, v16 row_shr:8 row_mask:0xf bank_mask:0xf
	s_and_saveexec_b32 s13, s2
; %bb.8:                                ;   in Loop: Header=BB103_1 Depth=1
	s_delay_alu instid0(VALU_DEP_1)
	v_dual_add_f32 v16, v16, v18 :: v_dual_add_f32 v15, v15, v17
; %bb.9:                                ;   in Loop: Header=BB103_1 Depth=1
	s_or_b32 exec_lo, exec_lo, s13
	ds_swizzle_b32 v18, v15 offset:swizzle(BROADCAST,32,15)
	ds_swizzle_b32 v17, v16 offset:swizzle(BROADCAST,32,15)
	s_and_saveexec_b32 s13, s3
	s_cbranch_execz .LBB103_11
; %bb.10:                               ;   in Loop: Header=BB103_1 Depth=1
	s_waitcnt lgkmcnt(0)
	v_dual_add_f32 v15, v15, v18 :: v_dual_add_f32 v16, v16, v17
.LBB103_11:                             ;   in Loop: Header=BB103_1 Depth=1
	s_or_b32 exec_lo, exec_lo, s13
	s_and_saveexec_b32 s13, s4
	s_cbranch_execz .LBB103_13
; %bb.12:                               ;   in Loop: Header=BB103_1 Depth=1
	ds_store_b64 v20, v[15:16]
.LBB103_13:                             ;   in Loop: Header=BB103_1 Depth=1
	s_or_b32 exec_lo, exec_lo, s13
	s_waitcnt lgkmcnt(0)
	s_barrier
	buffer_gl0_inv
	s_and_saveexec_b32 s13, s5
	s_cbranch_execz .LBB103_19
; %bb.14:                               ;   in Loop: Header=BB103_1 Depth=1
	ds_load_b64 v[17:18], v0
	s_waitcnt lgkmcnt(0)
	v_mov_b32_dpp v24, v17 row_shr:1 row_mask:0xf bank_mask:0xf
	v_mov_b32_dpp v25, v18 row_shr:1 row_mask:0xf bank_mask:0xf
	s_and_saveexec_b32 s14, s8
; %bb.15:                               ;   in Loop: Header=BB103_1 Depth=1
	s_delay_alu instid0(VALU_DEP_1)
	v_dual_add_f32 v18, v18, v25 :: v_dual_add_f32 v17, v17, v24
; %bb.16:                               ;   in Loop: Header=BB103_1 Depth=1
	s_or_b32 exec_lo, exec_lo, s14
	s_delay_alu instid0(VALU_DEP_1) | instskip(NEXT) | instid1(VALU_DEP_2)
	v_mov_b32_dpp v24, v17 row_shr:2 row_mask:0xf bank_mask:0xf
	v_mov_b32_dpp v25, v18 row_shr:2 row_mask:0xf bank_mask:0xf
	s_and_saveexec_b32 s14, s9
; %bb.17:                               ;   in Loop: Header=BB103_1 Depth=1
	s_delay_alu instid0(VALU_DEP_1)
	v_dual_add_f32 v18, v18, v25 :: v_dual_add_f32 v17, v17, v24
; %bb.18:                               ;   in Loop: Header=BB103_1 Depth=1
	s_or_b32 exec_lo, exec_lo, s14
	s_delay_alu instid0(VALU_DEP_1) | instskip(NEXT) | instid1(VALU_DEP_2)
	v_mov_b32_dpp v24, v17 row_shr:4 row_mask:0xf bank_mask:0xf
	v_mov_b32_dpp v25, v18 row_shr:4 row_mask:0xf bank_mask:0xf
	s_delay_alu instid0(VALU_DEP_1) | instskip(NEXT) | instid1(VALU_DEP_1)
	v_dual_add_f32 v24, v17, v24 :: v_dual_add_f32 v25, v18, v25
	v_cndmask_b32_e64 v17, v17, v24, s10
	s_delay_alu instid0(VALU_DEP_2)
	v_cndmask_b32_e64 v18, v18, v25, s10
	ds_store_b64 v0, v[17:18]
.LBB103_19:                             ;   in Loop: Header=BB103_1 Depth=1
	s_or_b32 exec_lo, exec_lo, s13
	v_dual_mov_b32 v17, 0 :: v_dual_mov_b32 v18, 0
	s_waitcnt lgkmcnt(0)
	s_barrier
	buffer_gl0_inv
	s_and_saveexec_b32 s13, s6
	s_cbranch_execz .LBB103_21
; %bb.20:                               ;   in Loop: Header=BB103_1 Depth=1
	ds_load_b64 v[17:18], v21
	s_waitcnt lgkmcnt(0)
	v_dual_add_f32 v15, v15, v17 :: v_dual_add_f32 v16, v16, v18
.LBB103_21:                             ;   in Loop: Header=BB103_1 Depth=1
	s_or_b32 exec_lo, exec_lo, s13
	ds_bpermute_b32 v15, v19, v15
	ds_bpermute_b32 v16, v19, v16
	s_and_saveexec_b32 s13, s7
	s_cbranch_execz .LBB103_23
; %bb.22:                               ;   in Loop: Header=BB103_1 Depth=1
	s_waitcnt lgkmcnt(1)
	v_cndmask_b32_e64 v9, v15, v17, s11
	s_waitcnt lgkmcnt(0)
	v_cndmask_b32_e64 v10, v16, v18, s11
	s_delay_alu instid0(VALU_DEP_1) | instskip(NEXT) | instid1(VALU_DEP_1)
	v_dual_add_f32 v1, v1, v9 :: v_dual_add_f32 v2, v2, v10
	v_dual_add_f32 v22, v3, v1 :: v_dual_add_f32 v23, v4, v2
	s_delay_alu instid0(VALU_DEP_1) | instskip(NEXT) | instid1(VALU_DEP_1)
	v_dual_add_f32 v9, v5, v22 :: v_dual_add_f32 v10, v6, v23
	v_dual_add_f32 v11, v7, v9 :: v_dual_add_f32 v12, v8, v10
.LBB103_23:                             ;   in Loop: Header=BB103_1 Depth=1
	s_or_b32 exec_lo, exec_lo, s13
	s_add_i32 s12, s12, -1
	s_delay_alu instid0(SALU_CYCLE_1)
	s_cmp_lg_u32 s12, 0
	s_cbranch_scc0 .LBB103_25
; %bb.24:                               ;   in Loop: Header=BB103_1 Depth=1
	v_dual_mov_b32 v8, v12 :: v_dual_mov_b32 v7, v11
	v_dual_mov_b32 v6, v10 :: v_dual_mov_b32 v5, v9
	;; [unrolled: 1-line block ×3, first 2 shown]
	s_branch .LBB103_1
.LBB103_25:
	v_add_co_u32 v5, vcc_lo, s18, v13
	v_add_co_ci_u32_e32 v6, vcc_lo, s19, v14, vcc_lo
	v_dual_mov_b32 v3, v22 :: v_dual_mov_b32 v4, v23
	s_clause 0x1
	global_store_b128 v[5:6], v[1:4], off
	global_store_b128 v[5:6], v[9:12], off offset:16
	s_nop 0
	s_sendmsg sendmsg(MSG_DEALLOC_VGPRS)
	s_endpgm
	.section	.rodata,"a",@progbits
	.p2align	6, 0x0
	.amdhsa_kernel _Z6kernelI14inclusive_scanILN6hipcub18BlockScanAlgorithmE0EEN15benchmark_utils11custom_typeIffEELj256ELj4ELj100EEvPKT0_PS7_S7_
		.amdhsa_group_segment_fixed_size 64
		.amdhsa_private_segment_fixed_size 0
		.amdhsa_kernarg_size 280
		.amdhsa_user_sgpr_count 15
		.amdhsa_user_sgpr_dispatch_ptr 0
		.amdhsa_user_sgpr_queue_ptr 0
		.amdhsa_user_sgpr_kernarg_segment_ptr 1
		.amdhsa_user_sgpr_dispatch_id 0
		.amdhsa_user_sgpr_private_segment_size 0
		.amdhsa_wavefront_size32 1
		.amdhsa_uses_dynamic_stack 0
		.amdhsa_enable_private_segment 0
		.amdhsa_system_sgpr_workgroup_id_x 1
		.amdhsa_system_sgpr_workgroup_id_y 0
		.amdhsa_system_sgpr_workgroup_id_z 0
		.amdhsa_system_sgpr_workgroup_info 0
		.amdhsa_system_vgpr_workitem_id 0
		.amdhsa_next_free_vgpr 26
		.amdhsa_next_free_sgpr 20
		.amdhsa_reserve_vcc 1
		.amdhsa_float_round_mode_32 0
		.amdhsa_float_round_mode_16_64 0
		.amdhsa_float_denorm_mode_32 3
		.amdhsa_float_denorm_mode_16_64 3
		.amdhsa_dx10_clamp 1
		.amdhsa_ieee_mode 1
		.amdhsa_fp16_overflow 0
		.amdhsa_workgroup_processor_mode 1
		.amdhsa_memory_ordered 1
		.amdhsa_forward_progress 0
		.amdhsa_shared_vgpr_count 0
		.amdhsa_exception_fp_ieee_invalid_op 0
		.amdhsa_exception_fp_denorm_src 0
		.amdhsa_exception_fp_ieee_div_zero 0
		.amdhsa_exception_fp_ieee_overflow 0
		.amdhsa_exception_fp_ieee_underflow 0
		.amdhsa_exception_fp_ieee_inexact 0
		.amdhsa_exception_int_div_zero 0
	.end_amdhsa_kernel
	.section	.text._Z6kernelI14inclusive_scanILN6hipcub18BlockScanAlgorithmE0EEN15benchmark_utils11custom_typeIffEELj256ELj4ELj100EEvPKT0_PS7_S7_,"axG",@progbits,_Z6kernelI14inclusive_scanILN6hipcub18BlockScanAlgorithmE0EEN15benchmark_utils11custom_typeIffEELj256ELj4ELj100EEvPKT0_PS7_S7_,comdat
.Lfunc_end103:
	.size	_Z6kernelI14inclusive_scanILN6hipcub18BlockScanAlgorithmE0EEN15benchmark_utils11custom_typeIffEELj256ELj4ELj100EEvPKT0_PS7_S7_, .Lfunc_end103-_Z6kernelI14inclusive_scanILN6hipcub18BlockScanAlgorithmE0EEN15benchmark_utils11custom_typeIffEELj256ELj4ELj100EEvPKT0_PS7_S7_
                                        ; -- End function
	.section	.AMDGPU.csdata,"",@progbits
; Kernel info:
; codeLenInByte = 956
; NumSgprs: 22
; NumVgprs: 26
; ScratchSize: 0
; MemoryBound: 0
; FloatMode: 240
; IeeeMode: 1
; LDSByteSize: 64 bytes/workgroup (compile time only)
; SGPRBlocks: 2
; VGPRBlocks: 3
; NumSGPRsForWavesPerEU: 22
; NumVGPRsForWavesPerEU: 26
; Occupancy: 16
; WaveLimiterHint : 0
; COMPUTE_PGM_RSRC2:SCRATCH_EN: 0
; COMPUTE_PGM_RSRC2:USER_SGPR: 15
; COMPUTE_PGM_RSRC2:TRAP_HANDLER: 0
; COMPUTE_PGM_RSRC2:TGID_X_EN: 1
; COMPUTE_PGM_RSRC2:TGID_Y_EN: 0
; COMPUTE_PGM_RSRC2:TGID_Z_EN: 0
; COMPUTE_PGM_RSRC2:TIDIG_COMP_CNT: 0
	.section	.text._Z6kernelI14inclusive_scanILN6hipcub18BlockScanAlgorithmE0EEN15benchmark_utils11custom_typeIffEELj256ELj8ELj100EEvPKT0_PS7_S7_,"axG",@progbits,_Z6kernelI14inclusive_scanILN6hipcub18BlockScanAlgorithmE0EEN15benchmark_utils11custom_typeIffEELj256ELj8ELj100EEvPKT0_PS7_S7_,comdat
	.protected	_Z6kernelI14inclusive_scanILN6hipcub18BlockScanAlgorithmE0EEN15benchmark_utils11custom_typeIffEELj256ELj8ELj100EEvPKT0_PS7_S7_ ; -- Begin function _Z6kernelI14inclusive_scanILN6hipcub18BlockScanAlgorithmE0EEN15benchmark_utils11custom_typeIffEELj256ELj8ELj100EEvPKT0_PS7_S7_
	.globl	_Z6kernelI14inclusive_scanILN6hipcub18BlockScanAlgorithmE0EEN15benchmark_utils11custom_typeIffEELj256ELj8ELj100EEvPKT0_PS7_S7_
	.p2align	8
	.type	_Z6kernelI14inclusive_scanILN6hipcub18BlockScanAlgorithmE0EEN15benchmark_utils11custom_typeIffEELj256ELj8ELj100EEvPKT0_PS7_S7_,@function
_Z6kernelI14inclusive_scanILN6hipcub18BlockScanAlgorithmE0EEN15benchmark_utils11custom_typeIffEELj256ELj8ELj100EEvPKT0_PS7_S7_: ; @_Z6kernelI14inclusive_scanILN6hipcub18BlockScanAlgorithmE0EEN15benchmark_utils11custom_typeIffEELj256ELj8ELj100EEvPKT0_PS7_S7_
; %bb.0:
	s_clause 0x1
	s_load_b32 s2, s[0:1], 0x24
	s_load_b128 s[16:19], s[0:1], 0x0
	v_mbcnt_lo_u32_b32 v17, -1, 0
	v_mov_b32_e32 v2, 0
	v_or_b32_e32 v20, 31, v0
	v_cmp_lt_u32_e64 s6, 31, v0
	v_cmp_ne_u32_e64 s7, 0, v0
	v_and_b32_e32 v19, 16, v17
	v_add_nc_u32_e32 v21, -1, v17
	v_and_b32_e32 v18, 15, v17
	v_cmp_eq_u32_e64 s4, v20, v0
	v_and_b32_e32 v20, 7, v17
	v_cmp_ne_u32_e64 s3, 0, v19
	v_cmp_gt_i32_e64 s5, 0, v21
	v_lshrrev_b32_e32 v19, 2, v0
	v_cmp_lt_u32_e64 s1, 3, v18
	v_cmp_ne_u32_e64 s8, 0, v20
	v_cmp_lt_u32_e64 s9, 1, v20
	v_cmp_lt_u32_e64 s10, 3, v20
	v_and_b32_e32 v36, 56, v19
	s_waitcnt lgkmcnt(0)
	s_and_b32 s0, s2, 0xffff
	v_cmp_lt_u32_e64 s2, 7, v18
	s_mul_i32 s15, s15, s0
	v_cmp_lt_u32_e64 s0, 1, v18
	v_add_lshl_u32 v1, s15, v0, 3
	v_add_nc_u32_e32 v37, -8, v36
	v_cmp_eq_u32_e64 s11, 0, v17
	s_movk_i32 s12, 0x64
	s_delay_alu instid0(VALU_DEP_3) | instskip(NEXT) | instid1(VALU_DEP_1)
	v_lshlrev_b64 v[29:30], 3, v[1:2]
	v_add_co_u32 v5, vcc_lo, s16, v29
	s_delay_alu instid0(VALU_DEP_2)
	v_add_co_ci_u32_e32 v6, vcc_lo, s17, v30, vcc_lo
	v_cmp_ne_u32_e32 vcc_lo, 0, v18
	v_cndmask_b32_e64 v18, v21, v17, s5
	v_cmp_gt_u32_e64 s5, 8, v0
	s_clause 0x3
	global_load_b128 v[1:4], v[5:6], off
	global_load_b128 v[13:16], v[5:6], off offset:16
	global_load_b128 v[9:12], v[5:6], off offset:32
	;; [unrolled: 1-line block ×3, first 2 shown]
	v_lshlrev_b32_e32 v0, 3, v0
	v_lshlrev_b32_e32 v35, 2, v18
.LBB104_1:                              ; =>This Inner Loop Header: Depth=1
	s_waitcnt vmcnt(3)
	s_delay_alu instid0(VALU_DEP_1) | instskip(SKIP_1) | instid1(VALU_DEP_1)
	v_dual_add_f32 v38, v3, v1 :: v_dual_add_f32 v39, v4, v2
	s_waitcnt vmcnt(2)
	v_dual_add_f32 v17, v13, v38 :: v_dual_add_f32 v18, v14, v39
	s_delay_alu instid0(VALU_DEP_1) | instskip(SKIP_1) | instid1(VALU_DEP_1)
	v_dual_add_f32 v19, v15, v17 :: v_dual_add_f32 v20, v16, v18
	s_waitcnt vmcnt(1)
	v_dual_add_f32 v21, v9, v19 :: v_dual_add_f32 v22, v10, v20
	;; [unrolled: 4-line block ×3, first 2 shown]
	s_delay_alu instid0(VALU_DEP_1) | instskip(NEXT) | instid1(VALU_DEP_1)
	v_dual_add_f32 v27, v7, v25 :: v_dual_add_f32 v28, v8, v26
	v_mov_b32_dpp v33, v27 row_shr:1 row_mask:0xf bank_mask:0xf
	s_delay_alu instid0(VALU_DEP_2)
	v_mov_b32_dpp v34, v28 row_shr:1 row_mask:0xf bank_mask:0xf
	s_waitcnt lgkmcnt(0)
	v_dual_mov_b32 v31, v27 :: v_dual_mov_b32 v32, v28
	s_and_saveexec_b32 s13, vcc_lo
; %bb.2:                                ;   in Loop: Header=BB104_1 Depth=1
	s_delay_alu instid0(VALU_DEP_2)
	v_dual_add_f32 v32, v28, v34 :: v_dual_add_f32 v31, v27, v33
; %bb.3:                                ;   in Loop: Header=BB104_1 Depth=1
	s_or_b32 exec_lo, exec_lo, s13
	s_delay_alu instid0(VALU_DEP_1) | instskip(NEXT) | instid1(VALU_DEP_2)
	v_mov_b32_dpp v33, v31 row_shr:2 row_mask:0xf bank_mask:0xf
	v_mov_b32_dpp v34, v32 row_shr:2 row_mask:0xf bank_mask:0xf
	s_and_saveexec_b32 s13, s0
; %bb.4:                                ;   in Loop: Header=BB104_1 Depth=1
	s_delay_alu instid0(VALU_DEP_1)
	v_dual_add_f32 v32, v32, v34 :: v_dual_add_f32 v31, v31, v33
; %bb.5:                                ;   in Loop: Header=BB104_1 Depth=1
	s_or_b32 exec_lo, exec_lo, s13
	s_delay_alu instid0(VALU_DEP_1) | instskip(NEXT) | instid1(VALU_DEP_2)
	v_mov_b32_dpp v33, v31 row_shr:4 row_mask:0xf bank_mask:0xf
	v_mov_b32_dpp v34, v32 row_shr:4 row_mask:0xf bank_mask:0xf
	s_and_saveexec_b32 s13, s1
; %bb.6:                                ;   in Loop: Header=BB104_1 Depth=1
	s_delay_alu instid0(VALU_DEP_1)
	v_dual_add_f32 v32, v32, v34 :: v_dual_add_f32 v31, v31, v33
; %bb.7:                                ;   in Loop: Header=BB104_1 Depth=1
	s_or_b32 exec_lo, exec_lo, s13
	s_delay_alu instid0(VALU_DEP_1) | instskip(NEXT) | instid1(VALU_DEP_2)
	v_mov_b32_dpp v33, v31 row_shr:8 row_mask:0xf bank_mask:0xf
	v_mov_b32_dpp v34, v32 row_shr:8 row_mask:0xf bank_mask:0xf
	s_and_saveexec_b32 s13, s2
; %bb.8:                                ;   in Loop: Header=BB104_1 Depth=1
	s_delay_alu instid0(VALU_DEP_1)
	v_dual_add_f32 v32, v32, v34 :: v_dual_add_f32 v31, v31, v33
; %bb.9:                                ;   in Loop: Header=BB104_1 Depth=1
	s_or_b32 exec_lo, exec_lo, s13
	ds_swizzle_b32 v34, v31 offset:swizzle(BROADCAST,32,15)
	ds_swizzle_b32 v33, v32 offset:swizzle(BROADCAST,32,15)
	s_and_saveexec_b32 s13, s3
	s_cbranch_execz .LBB104_11
; %bb.10:                               ;   in Loop: Header=BB104_1 Depth=1
	s_waitcnt lgkmcnt(0)
	v_dual_add_f32 v31, v31, v34 :: v_dual_add_f32 v32, v32, v33
.LBB104_11:                             ;   in Loop: Header=BB104_1 Depth=1
	s_or_b32 exec_lo, exec_lo, s13
	s_and_saveexec_b32 s13, s4
	s_cbranch_execz .LBB104_13
; %bb.12:                               ;   in Loop: Header=BB104_1 Depth=1
	ds_store_b64 v36, v[31:32]
.LBB104_13:                             ;   in Loop: Header=BB104_1 Depth=1
	s_or_b32 exec_lo, exec_lo, s13
	s_waitcnt lgkmcnt(0)
	s_barrier
	buffer_gl0_inv
	s_and_saveexec_b32 s13, s5
	s_cbranch_execz .LBB104_19
; %bb.14:                               ;   in Loop: Header=BB104_1 Depth=1
	ds_load_b64 v[33:34], v0
	s_waitcnt lgkmcnt(0)
	v_mov_b32_dpp v40, v33 row_shr:1 row_mask:0xf bank_mask:0xf
	v_mov_b32_dpp v41, v34 row_shr:1 row_mask:0xf bank_mask:0xf
	s_and_saveexec_b32 s14, s8
; %bb.15:                               ;   in Loop: Header=BB104_1 Depth=1
	s_delay_alu instid0(VALU_DEP_1)
	v_dual_add_f32 v34, v34, v41 :: v_dual_add_f32 v33, v33, v40
; %bb.16:                               ;   in Loop: Header=BB104_1 Depth=1
	s_or_b32 exec_lo, exec_lo, s14
	s_delay_alu instid0(VALU_DEP_1) | instskip(NEXT) | instid1(VALU_DEP_2)
	v_mov_b32_dpp v40, v33 row_shr:2 row_mask:0xf bank_mask:0xf
	v_mov_b32_dpp v41, v34 row_shr:2 row_mask:0xf bank_mask:0xf
	s_and_saveexec_b32 s14, s9
; %bb.17:                               ;   in Loop: Header=BB104_1 Depth=1
	s_delay_alu instid0(VALU_DEP_1)
	v_dual_add_f32 v34, v34, v41 :: v_dual_add_f32 v33, v33, v40
; %bb.18:                               ;   in Loop: Header=BB104_1 Depth=1
	s_or_b32 exec_lo, exec_lo, s14
	s_delay_alu instid0(VALU_DEP_1) | instskip(NEXT) | instid1(VALU_DEP_2)
	v_mov_b32_dpp v40, v33 row_shr:4 row_mask:0xf bank_mask:0xf
	v_mov_b32_dpp v41, v34 row_shr:4 row_mask:0xf bank_mask:0xf
	s_delay_alu instid0(VALU_DEP_1) | instskip(NEXT) | instid1(VALU_DEP_1)
	v_dual_add_f32 v40, v33, v40 :: v_dual_add_f32 v41, v34, v41
	v_cndmask_b32_e64 v33, v33, v40, s10
	s_delay_alu instid0(VALU_DEP_2)
	v_cndmask_b32_e64 v34, v34, v41, s10
	ds_store_b64 v0, v[33:34]
.LBB104_19:                             ;   in Loop: Header=BB104_1 Depth=1
	s_or_b32 exec_lo, exec_lo, s13
	v_dual_mov_b32 v33, 0 :: v_dual_mov_b32 v34, 0
	s_waitcnt lgkmcnt(0)
	s_barrier
	buffer_gl0_inv
	s_and_saveexec_b32 s13, s6
	s_cbranch_execz .LBB104_21
; %bb.20:                               ;   in Loop: Header=BB104_1 Depth=1
	ds_load_b64 v[33:34], v37
	s_waitcnt lgkmcnt(0)
	v_dual_add_f32 v31, v31, v33 :: v_dual_add_f32 v32, v32, v34
.LBB104_21:                             ;   in Loop: Header=BB104_1 Depth=1
	s_or_b32 exec_lo, exec_lo, s13
	ds_bpermute_b32 v31, v35, v31
	ds_bpermute_b32 v32, v35, v32
	s_and_saveexec_b32 s13, s7
	s_cbranch_execz .LBB104_23
; %bb.22:                               ;   in Loop: Header=BB104_1 Depth=1
	s_waitcnt lgkmcnt(1)
	v_cndmask_b32_e64 v17, v31, v33, s11
	s_waitcnt lgkmcnt(0)
	v_cndmask_b32_e64 v18, v32, v34, s11
	s_delay_alu instid0(VALU_DEP_1) | instskip(NEXT) | instid1(VALU_DEP_1)
	v_dual_add_f32 v1, v1, v17 :: v_dual_add_f32 v2, v2, v18
	v_dual_add_f32 v38, v3, v1 :: v_dual_add_f32 v39, v4, v2
	s_delay_alu instid0(VALU_DEP_1) | instskip(NEXT) | instid1(VALU_DEP_1)
	v_dual_add_f32 v17, v13, v38 :: v_dual_add_f32 v18, v14, v39
	v_dual_add_f32 v19, v15, v17 :: v_dual_add_f32 v20, v16, v18
	;; [unrolled: 3-line block ×4, first 2 shown]
.LBB104_23:                             ;   in Loop: Header=BB104_1 Depth=1
	s_or_b32 exec_lo, exec_lo, s13
	s_add_i32 s12, s12, -1
	s_delay_alu instid0(SALU_CYCLE_1)
	s_cmp_lg_u32 s12, 0
	s_cbranch_scc0 .LBB104_25
; %bb.24:                               ;   in Loop: Header=BB104_1 Depth=1
	v_dual_mov_b32 v8, v28 :: v_dual_mov_b32 v7, v27
	v_dual_mov_b32 v6, v26 :: v_dual_mov_b32 v5, v25
	;; [unrolled: 1-line block ×7, first 2 shown]
	s_branch .LBB104_1
.LBB104_25:
	v_add_co_u32 v5, vcc_lo, s18, v29
	v_add_co_ci_u32_e32 v6, vcc_lo, s19, v30, vcc_lo
	v_dual_mov_b32 v3, v38 :: v_dual_mov_b32 v4, v39
	s_clause 0x3
	global_store_b128 v[5:6], v[1:4], off
	global_store_b128 v[5:6], v[17:20], off offset:16
	global_store_b128 v[5:6], v[21:24], off offset:32
	;; [unrolled: 1-line block ×3, first 2 shown]
	s_nop 0
	s_sendmsg sendmsg(MSG_DEALLOC_VGPRS)
	s_endpgm
	.section	.rodata,"a",@progbits
	.p2align	6, 0x0
	.amdhsa_kernel _Z6kernelI14inclusive_scanILN6hipcub18BlockScanAlgorithmE0EEN15benchmark_utils11custom_typeIffEELj256ELj8ELj100EEvPKT0_PS7_S7_
		.amdhsa_group_segment_fixed_size 64
		.amdhsa_private_segment_fixed_size 0
		.amdhsa_kernarg_size 280
		.amdhsa_user_sgpr_count 15
		.amdhsa_user_sgpr_dispatch_ptr 0
		.amdhsa_user_sgpr_queue_ptr 0
		.amdhsa_user_sgpr_kernarg_segment_ptr 1
		.amdhsa_user_sgpr_dispatch_id 0
		.amdhsa_user_sgpr_private_segment_size 0
		.amdhsa_wavefront_size32 1
		.amdhsa_uses_dynamic_stack 0
		.amdhsa_enable_private_segment 0
		.amdhsa_system_sgpr_workgroup_id_x 1
		.amdhsa_system_sgpr_workgroup_id_y 0
		.amdhsa_system_sgpr_workgroup_id_z 0
		.amdhsa_system_sgpr_workgroup_info 0
		.amdhsa_system_vgpr_workitem_id 0
		.amdhsa_next_free_vgpr 42
		.amdhsa_next_free_sgpr 20
		.amdhsa_reserve_vcc 1
		.amdhsa_float_round_mode_32 0
		.amdhsa_float_round_mode_16_64 0
		.amdhsa_float_denorm_mode_32 3
		.amdhsa_float_denorm_mode_16_64 3
		.amdhsa_dx10_clamp 1
		.amdhsa_ieee_mode 1
		.amdhsa_fp16_overflow 0
		.amdhsa_workgroup_processor_mode 1
		.amdhsa_memory_ordered 1
		.amdhsa_forward_progress 0
		.amdhsa_shared_vgpr_count 0
		.amdhsa_exception_fp_ieee_invalid_op 0
		.amdhsa_exception_fp_denorm_src 0
		.amdhsa_exception_fp_ieee_div_zero 0
		.amdhsa_exception_fp_ieee_overflow 0
		.amdhsa_exception_fp_ieee_underflow 0
		.amdhsa_exception_fp_ieee_inexact 0
		.amdhsa_exception_int_div_zero 0
	.end_amdhsa_kernel
	.section	.text._Z6kernelI14inclusive_scanILN6hipcub18BlockScanAlgorithmE0EEN15benchmark_utils11custom_typeIffEELj256ELj8ELj100EEvPKT0_PS7_S7_,"axG",@progbits,_Z6kernelI14inclusive_scanILN6hipcub18BlockScanAlgorithmE0EEN15benchmark_utils11custom_typeIffEELj256ELj8ELj100EEvPKT0_PS7_S7_,comdat
.Lfunc_end104:
	.size	_Z6kernelI14inclusive_scanILN6hipcub18BlockScanAlgorithmE0EEN15benchmark_utils11custom_typeIffEELj256ELj8ELj100EEvPKT0_PS7_S7_, .Lfunc_end104-_Z6kernelI14inclusive_scanILN6hipcub18BlockScanAlgorithmE0EEN15benchmark_utils11custom_typeIffEELj256ELj8ELj100EEvPKT0_PS7_S7_
                                        ; -- End function
	.section	.AMDGPU.csdata,"",@progbits
; Kernel info:
; codeLenInByte = 1108
; NumSgprs: 22
; NumVgprs: 42
; ScratchSize: 0
; MemoryBound: 0
; FloatMode: 240
; IeeeMode: 1
; LDSByteSize: 64 bytes/workgroup (compile time only)
; SGPRBlocks: 2
; VGPRBlocks: 5
; NumSGPRsForWavesPerEU: 22
; NumVGPRsForWavesPerEU: 42
; Occupancy: 16
; WaveLimiterHint : 0
; COMPUTE_PGM_RSRC2:SCRATCH_EN: 0
; COMPUTE_PGM_RSRC2:USER_SGPR: 15
; COMPUTE_PGM_RSRC2:TRAP_HANDLER: 0
; COMPUTE_PGM_RSRC2:TGID_X_EN: 1
; COMPUTE_PGM_RSRC2:TGID_Y_EN: 0
; COMPUTE_PGM_RSRC2:TGID_Z_EN: 0
; COMPUTE_PGM_RSRC2:TIDIG_COMP_CNT: 0
	.section	.text._Z6kernelI14inclusive_scanILN6hipcub18BlockScanAlgorithmE0EEN15benchmark_utils11custom_typeIddEELj256ELj1ELj100EEvPKT0_PS7_S7_,"axG",@progbits,_Z6kernelI14inclusive_scanILN6hipcub18BlockScanAlgorithmE0EEN15benchmark_utils11custom_typeIddEELj256ELj1ELj100EEvPKT0_PS7_S7_,comdat
	.protected	_Z6kernelI14inclusive_scanILN6hipcub18BlockScanAlgorithmE0EEN15benchmark_utils11custom_typeIddEELj256ELj1ELj100EEvPKT0_PS7_S7_ ; -- Begin function _Z6kernelI14inclusive_scanILN6hipcub18BlockScanAlgorithmE0EEN15benchmark_utils11custom_typeIddEELj256ELj1ELj100EEvPKT0_PS7_S7_
	.globl	_Z6kernelI14inclusive_scanILN6hipcub18BlockScanAlgorithmE0EEN15benchmark_utils11custom_typeIddEELj256ELj1ELj100EEvPKT0_PS7_S7_
	.p2align	8
	.type	_Z6kernelI14inclusive_scanILN6hipcub18BlockScanAlgorithmE0EEN15benchmark_utils11custom_typeIddEELj256ELj1ELj100EEvPKT0_PS7_S7_,@function
_Z6kernelI14inclusive_scanILN6hipcub18BlockScanAlgorithmE0EEN15benchmark_utils11custom_typeIddEELj256ELj1ELj100EEvPKT0_PS7_S7_: ; @_Z6kernelI14inclusive_scanILN6hipcub18BlockScanAlgorithmE0EEN15benchmark_utils11custom_typeIddEELj256ELj1ELj100EEvPKT0_PS7_S7_
; %bb.0:
	s_clause 0x1
	s_load_b32 s2, s[0:1], 0x2c
	s_load_b128 s[8:11], s[0:1], 0x0
	v_mbcnt_lo_u32_b32 v5, -1, 0
	v_or_b32_e32 v8, 31, v0
	v_cmp_gt_u32_e64 s5, 8, v0
	v_cmp_lt_u32_e64 s6, 31, v0
	s_movk_i32 s12, 0x64
	v_and_b32_e32 v6, 15, v5
	v_cmp_eq_u32_e64 s4, v8, v0
	v_and_b32_e32 v7, 16, v5
	v_and_b32_e32 v5, 7, v5
	s_delay_alu instid0(VALU_DEP_4) | instskip(NEXT) | instid1(VALU_DEP_3)
	v_cmp_lt_u32_e64 s1, 3, v6
	v_cmp_ne_u32_e64 s3, 0, v7
	s_delay_alu instid0(VALU_DEP_3)
	v_cmp_ne_u32_e64 s7, 0, v5
	s_waitcnt lgkmcnt(0)
	s_and_b32 s0, s2, 0xffff
	v_cmp_lt_u32_e64 s2, 7, v6
	v_mad_u64_u32 v[1:2], null, s15, s0, v[0:1]
	v_mov_b32_e32 v2, 0
	v_cmp_lt_u32_e64 s0, 1, v6
	s_delay_alu instid0(VALU_DEP_2) | instskip(NEXT) | instid1(VALU_DEP_1)
	v_lshlrev_b64 v[9:10], 4, v[1:2]
	v_add_co_u32 v1, vcc_lo, s8, v9
	s_delay_alu instid0(VALU_DEP_2)
	v_add_co_ci_u32_e32 v2, vcc_lo, s9, v10, vcc_lo
	v_cmp_ne_u32_e32 vcc_lo, 0, v6
	v_lshrrev_b32_e32 v6, 1, v0
	v_lshlrev_b32_e32 v0, 4, v0
	global_load_b128 v[1:4], v[1:2], off
	v_cmp_lt_u32_e64 s8, 1, v5
	v_cmp_lt_u32_e64 s9, 3, v5
	v_and_b32_e32 v15, 0x70, v6
	s_delay_alu instid0(VALU_DEP_1)
	v_add_nc_u32_e32 v16, -16, v15
	s_branch .LBB105_2
.LBB105_1:                              ;   in Loop: Header=BB105_2 Depth=1
	s_or_b32 exec_lo, exec_lo, s13
	s_add_i32 s12, s12, -1
	s_delay_alu instid0(SALU_CYCLE_1)
	s_cmp_lg_u32 s12, 0
	s_cbranch_scc0 .LBB105_24
.LBB105_2:                              ; =>This Inner Loop Header: Depth=1
	s_waitcnt vmcnt(0)
	s_delay_alu instid0(VALU_DEP_2) | instskip(NEXT) | instid1(VALU_DEP_3)
	v_mov_b32_dpp v5, v1 row_shr:1 row_mask:0xf bank_mask:0xf
	v_mov_b32_dpp v6, v2 row_shr:1 row_mask:0xf bank_mask:0xf
	s_delay_alu instid0(VALU_DEP_3) | instskip(NEXT) | instid1(VALU_DEP_4)
	v_mov_b32_dpp v7, v3 row_shr:1 row_mask:0xf bank_mask:0xf
	v_mov_b32_dpp v8, v4 row_shr:1 row_mask:0xf bank_mask:0xf
	s_and_saveexec_b32 s13, vcc_lo
; %bb.3:                                ;   in Loop: Header=BB105_2 Depth=1
	s_delay_alu instid0(VALU_DEP_1)
	v_add_f64 v[3:4], v[3:4], v[7:8]
	v_add_f64 v[1:2], v[1:2], v[5:6]
; %bb.4:                                ;   in Loop: Header=BB105_2 Depth=1
	s_or_b32 exec_lo, exec_lo, s13
	s_delay_alu instid0(VALU_DEP_1) | instskip(NEXT) | instid1(VALU_DEP_2)
	v_mov_b32_dpp v5, v1 row_shr:2 row_mask:0xf bank_mask:0xf
	v_mov_b32_dpp v6, v2 row_shr:2 row_mask:0xf bank_mask:0xf
	s_delay_alu instid0(VALU_DEP_4)
	v_mov_b32_dpp v7, v3 row_shr:2 row_mask:0xf bank_mask:0xf
	v_mov_b32_dpp v8, v4 row_shr:2 row_mask:0xf bank_mask:0xf
	s_and_saveexec_b32 s13, s0
; %bb.5:                                ;   in Loop: Header=BB105_2 Depth=1
	s_delay_alu instid0(VALU_DEP_1)
	v_add_f64 v[3:4], v[3:4], v[7:8]
	v_add_f64 v[1:2], v[1:2], v[5:6]
; %bb.6:                                ;   in Loop: Header=BB105_2 Depth=1
	s_or_b32 exec_lo, exec_lo, s13
	s_delay_alu instid0(VALU_DEP_1) | instskip(NEXT) | instid1(VALU_DEP_2)
	v_mov_b32_dpp v5, v1 row_shr:4 row_mask:0xf bank_mask:0xf
	v_mov_b32_dpp v6, v2 row_shr:4 row_mask:0xf bank_mask:0xf
	s_delay_alu instid0(VALU_DEP_4)
	v_mov_b32_dpp v7, v3 row_shr:4 row_mask:0xf bank_mask:0xf
	v_mov_b32_dpp v8, v4 row_shr:4 row_mask:0xf bank_mask:0xf
	s_and_saveexec_b32 s13, s1
	;; [unrolled: 13-line block ×3, first 2 shown]
; %bb.9:                                ;   in Loop: Header=BB105_2 Depth=1
	s_delay_alu instid0(VALU_DEP_1)
	v_add_f64 v[3:4], v[3:4], v[7:8]
	v_add_f64 v[1:2], v[1:2], v[5:6]
; %bb.10:                               ;   in Loop: Header=BB105_2 Depth=1
	s_or_b32 exec_lo, exec_lo, s13
	ds_swizzle_b32 v5, v1 offset:swizzle(BROADCAST,32,15)
	ds_swizzle_b32 v6, v2 offset:swizzle(BROADCAST,32,15)
	;; [unrolled: 1-line block ×4, first 2 shown]
	s_and_saveexec_b32 s13, s3
	s_cbranch_execz .LBB105_12
; %bb.11:                               ;   in Loop: Header=BB105_2 Depth=1
	s_waitcnt lgkmcnt(0)
	v_add_f64 v[3:4], v[3:4], v[7:8]
	v_add_f64 v[1:2], v[1:2], v[5:6]
.LBB105_12:                             ;   in Loop: Header=BB105_2 Depth=1
	s_or_b32 exec_lo, exec_lo, s13
	s_and_saveexec_b32 s13, s4
	s_cbranch_execz .LBB105_14
; %bb.13:                               ;   in Loop: Header=BB105_2 Depth=1
	ds_store_2addr_b64 v15, v[1:2], v[3:4] offset1:1
.LBB105_14:                             ;   in Loop: Header=BB105_2 Depth=1
	s_or_b32 exec_lo, exec_lo, s13
	s_waitcnt lgkmcnt(0)
	s_barrier
	buffer_gl0_inv
	s_and_saveexec_b32 s13, s5
	s_cbranch_execz .LBB105_22
; %bb.15:                               ;   in Loop: Header=BB105_2 Depth=1
	ds_load_2addr_b64 v[5:8], v0 offset1:1
	s_waitcnt lgkmcnt(0)
	v_mov_b32_dpp v11, v5 row_shr:1 row_mask:0xf bank_mask:0xf
	v_mov_b32_dpp v12, v6 row_shr:1 row_mask:0xf bank_mask:0xf
	;; [unrolled: 1-line block ×4, first 2 shown]
	s_and_saveexec_b32 s14, s7
; %bb.16:                               ;   in Loop: Header=BB105_2 Depth=1
	s_delay_alu instid0(VALU_DEP_1)
	v_add_f64 v[7:8], v[7:8], v[13:14]
	v_add_f64 v[5:6], v[5:6], v[11:12]
; %bb.17:                               ;   in Loop: Header=BB105_2 Depth=1
	s_or_b32 exec_lo, exec_lo, s14
	s_delay_alu instid0(VALU_DEP_1) | instskip(NEXT) | instid1(VALU_DEP_2)
	v_mov_b32_dpp v11, v5 row_shr:2 row_mask:0xf bank_mask:0xf
	v_mov_b32_dpp v12, v6 row_shr:2 row_mask:0xf bank_mask:0xf
	s_delay_alu instid0(VALU_DEP_4)
	v_mov_b32_dpp v13, v7 row_shr:2 row_mask:0xf bank_mask:0xf
	v_mov_b32_dpp v14, v8 row_shr:2 row_mask:0xf bank_mask:0xf
	s_and_saveexec_b32 s14, s8
; %bb.18:                               ;   in Loop: Header=BB105_2 Depth=1
	s_delay_alu instid0(VALU_DEP_1)
	v_add_f64 v[7:8], v[7:8], v[13:14]
	v_add_f64 v[5:6], v[5:6], v[11:12]
; %bb.19:                               ;   in Loop: Header=BB105_2 Depth=1
	s_or_b32 exec_lo, exec_lo, s14
	s_delay_alu instid0(VALU_DEP_1) | instskip(NEXT) | instid1(VALU_DEP_2)
	v_mov_b32_dpp v11, v5 row_shr:4 row_mask:0xf bank_mask:0xf
	v_mov_b32_dpp v12, v6 row_shr:4 row_mask:0xf bank_mask:0xf
	s_delay_alu instid0(VALU_DEP_4)
	v_mov_b32_dpp v13, v7 row_shr:4 row_mask:0xf bank_mask:0xf
	v_mov_b32_dpp v14, v8 row_shr:4 row_mask:0xf bank_mask:0xf
	s_and_saveexec_b32 s14, s9
; %bb.20:                               ;   in Loop: Header=BB105_2 Depth=1
	s_delay_alu instid0(VALU_DEP_1)
	v_add_f64 v[7:8], v[7:8], v[13:14]
	v_add_f64 v[5:6], v[5:6], v[11:12]
; %bb.21:                               ;   in Loop: Header=BB105_2 Depth=1
	s_or_b32 exec_lo, exec_lo, s14
	ds_store_2addr_b64 v0, v[5:6], v[7:8] offset1:1
.LBB105_22:                             ;   in Loop: Header=BB105_2 Depth=1
	s_or_b32 exec_lo, exec_lo, s13
	s_waitcnt lgkmcnt(0)
	s_barrier
	buffer_gl0_inv
	s_and_saveexec_b32 s13, s6
	s_cbranch_execz .LBB105_1
; %bb.23:                               ;   in Loop: Header=BB105_2 Depth=1
	ds_load_2addr_b64 v[5:8], v16 offset1:1
	s_waitcnt lgkmcnt(0)
	v_add_f64 v[1:2], v[1:2], v[5:6]
	v_add_f64 v[3:4], v[3:4], v[7:8]
	s_branch .LBB105_1
.LBB105_24:
	v_add_co_u32 v5, vcc_lo, s10, v9
	v_add_co_ci_u32_e32 v6, vcc_lo, s11, v10, vcc_lo
	global_store_b128 v[5:6], v[1:4], off
	s_nop 0
	s_sendmsg sendmsg(MSG_DEALLOC_VGPRS)
	s_endpgm
	.section	.rodata,"a",@progbits
	.p2align	6, 0x0
	.amdhsa_kernel _Z6kernelI14inclusive_scanILN6hipcub18BlockScanAlgorithmE0EEN15benchmark_utils11custom_typeIddEELj256ELj1ELj100EEvPKT0_PS7_S7_
		.amdhsa_group_segment_fixed_size 128
		.amdhsa_private_segment_fixed_size 0
		.amdhsa_kernarg_size 288
		.amdhsa_user_sgpr_count 15
		.amdhsa_user_sgpr_dispatch_ptr 0
		.amdhsa_user_sgpr_queue_ptr 0
		.amdhsa_user_sgpr_kernarg_segment_ptr 1
		.amdhsa_user_sgpr_dispatch_id 0
		.amdhsa_user_sgpr_private_segment_size 0
		.amdhsa_wavefront_size32 1
		.amdhsa_uses_dynamic_stack 0
		.amdhsa_enable_private_segment 0
		.amdhsa_system_sgpr_workgroup_id_x 1
		.amdhsa_system_sgpr_workgroup_id_y 0
		.amdhsa_system_sgpr_workgroup_id_z 0
		.amdhsa_system_sgpr_workgroup_info 0
		.amdhsa_system_vgpr_workitem_id 0
		.amdhsa_next_free_vgpr 17
		.amdhsa_next_free_sgpr 16
		.amdhsa_reserve_vcc 1
		.amdhsa_float_round_mode_32 0
		.amdhsa_float_round_mode_16_64 0
		.amdhsa_float_denorm_mode_32 3
		.amdhsa_float_denorm_mode_16_64 3
		.amdhsa_dx10_clamp 1
		.amdhsa_ieee_mode 1
		.amdhsa_fp16_overflow 0
		.amdhsa_workgroup_processor_mode 1
		.amdhsa_memory_ordered 1
		.amdhsa_forward_progress 0
		.amdhsa_shared_vgpr_count 0
		.amdhsa_exception_fp_ieee_invalid_op 0
		.amdhsa_exception_fp_denorm_src 0
		.amdhsa_exception_fp_ieee_div_zero 0
		.amdhsa_exception_fp_ieee_overflow 0
		.amdhsa_exception_fp_ieee_underflow 0
		.amdhsa_exception_fp_ieee_inexact 0
		.amdhsa_exception_int_div_zero 0
	.end_amdhsa_kernel
	.section	.text._Z6kernelI14inclusive_scanILN6hipcub18BlockScanAlgorithmE0EEN15benchmark_utils11custom_typeIddEELj256ELj1ELj100EEvPKT0_PS7_S7_,"axG",@progbits,_Z6kernelI14inclusive_scanILN6hipcub18BlockScanAlgorithmE0EEN15benchmark_utils11custom_typeIddEELj256ELj1ELj100EEvPKT0_PS7_S7_,comdat
.Lfunc_end105:
	.size	_Z6kernelI14inclusive_scanILN6hipcub18BlockScanAlgorithmE0EEN15benchmark_utils11custom_typeIddEELj256ELj1ELj100EEvPKT0_PS7_S7_, .Lfunc_end105-_Z6kernelI14inclusive_scanILN6hipcub18BlockScanAlgorithmE0EEN15benchmark_utils11custom_typeIddEELj256ELj1ELj100EEvPKT0_PS7_S7_
                                        ; -- End function
	.section	.AMDGPU.csdata,"",@progbits
; Kernel info:
; codeLenInByte = 940
; NumSgprs: 18
; NumVgprs: 17
; ScratchSize: 0
; MemoryBound: 0
; FloatMode: 240
; IeeeMode: 1
; LDSByteSize: 128 bytes/workgroup (compile time only)
; SGPRBlocks: 2
; VGPRBlocks: 2
; NumSGPRsForWavesPerEU: 18
; NumVGPRsForWavesPerEU: 17
; Occupancy: 16
; WaveLimiterHint : 0
; COMPUTE_PGM_RSRC2:SCRATCH_EN: 0
; COMPUTE_PGM_RSRC2:USER_SGPR: 15
; COMPUTE_PGM_RSRC2:TRAP_HANDLER: 0
; COMPUTE_PGM_RSRC2:TGID_X_EN: 1
; COMPUTE_PGM_RSRC2:TGID_Y_EN: 0
; COMPUTE_PGM_RSRC2:TGID_Z_EN: 0
; COMPUTE_PGM_RSRC2:TIDIG_COMP_CNT: 0
	.section	.text._Z6kernelI14inclusive_scanILN6hipcub18BlockScanAlgorithmE0EEN15benchmark_utils11custom_typeIddEELj256ELj4ELj100EEvPKT0_PS7_S7_,"axG",@progbits,_Z6kernelI14inclusive_scanILN6hipcub18BlockScanAlgorithmE0EEN15benchmark_utils11custom_typeIddEELj256ELj4ELj100EEvPKT0_PS7_S7_,comdat
	.protected	_Z6kernelI14inclusive_scanILN6hipcub18BlockScanAlgorithmE0EEN15benchmark_utils11custom_typeIddEELj256ELj4ELj100EEvPKT0_PS7_S7_ ; -- Begin function _Z6kernelI14inclusive_scanILN6hipcub18BlockScanAlgorithmE0EEN15benchmark_utils11custom_typeIddEELj256ELj4ELj100EEvPKT0_PS7_S7_
	.globl	_Z6kernelI14inclusive_scanILN6hipcub18BlockScanAlgorithmE0EEN15benchmark_utils11custom_typeIddEELj256ELj4ELj100EEvPKT0_PS7_S7_
	.p2align	8
	.type	_Z6kernelI14inclusive_scanILN6hipcub18BlockScanAlgorithmE0EEN15benchmark_utils11custom_typeIddEELj256ELj4ELj100EEvPKT0_PS7_S7_,@function
_Z6kernelI14inclusive_scanILN6hipcub18BlockScanAlgorithmE0EEN15benchmark_utils11custom_typeIddEELj256ELj4ELj100EEvPKT0_PS7_S7_: ; @_Z6kernelI14inclusive_scanILN6hipcub18BlockScanAlgorithmE0EEN15benchmark_utils11custom_typeIddEELj256ELj4ELj100EEvPKT0_PS7_S7_
; %bb.0:
	s_clause 0x1
	s_load_b32 s2, s[0:1], 0x2c
	s_load_b128 s[16:19], s[0:1], 0x0
	v_mbcnt_lo_u32_b32 v17, -1, 0
	v_mov_b32_e32 v2, 0
	v_or_b32_e32 v20, 31, v0
	v_cmp_lt_u32_e64 s6, 31, v0
	v_cmp_ne_u32_e64 s7, 0, v0
	v_and_b32_e32 v19, 16, v17
	v_add_nc_u32_e32 v21, -1, v17
	v_and_b32_e32 v18, 15, v17
	v_cmp_eq_u32_e64 s4, v20, v0
	v_and_b32_e32 v20, 7, v17
	v_cmp_ne_u32_e64 s3, 0, v19
	v_cmp_gt_i32_e64 s5, 0, v21
	v_lshrrev_b32_e32 v19, 1, v0
	v_cmp_lt_u32_e64 s1, 3, v18
	v_cmp_ne_u32_e64 s8, 0, v20
	v_cmp_lt_u32_e64 s9, 1, v20
	v_cmp_lt_u32_e64 s10, 3, v20
	v_and_b32_e32 v44, 0x70, v19
	s_waitcnt lgkmcnt(0)
	s_and_b32 s0, s2, 0xffff
	v_cmp_lt_u32_e64 s2, 7, v18
	s_mul_i32 s15, s15, s0
	v_cmp_lt_u32_e64 s0, 1, v18
	v_add_lshl_u32 v1, s15, v0, 2
	v_add_nc_u32_e32 v45, -16, v44
	v_cmp_eq_u32_e64 s11, 0, v17
	s_movk_i32 s12, 0x64
	s_delay_alu instid0(VALU_DEP_3) | instskip(NEXT) | instid1(VALU_DEP_1)
	v_lshlrev_b64 v[33:34], 4, v[1:2]
	v_add_co_u32 v1, vcc_lo, s16, v33
	s_delay_alu instid0(VALU_DEP_2)
	v_add_co_ci_u32_e32 v2, vcc_lo, s17, v34, vcc_lo
	v_cmp_ne_u32_e32 vcc_lo, 0, v18
	v_cndmask_b32_e64 v18, v21, v17, s5
	v_cmp_gt_u32_e64 s5, 8, v0
	s_clause 0x3
	global_load_b128 v[5:8], v[1:2], off offset:48
	global_load_b128 v[9:12], v[1:2], off offset:32
	;; [unrolled: 1-line block ×3, first 2 shown]
	global_load_b128 v[1:4], v[1:2], off
	v_lshlrev_b32_e32 v0, 4, v0
	v_lshlrev_b32_e32 v43, 2, v18
.LBB106_1:                              ; =>This Inner Loop Header: Depth=1
	s_waitcnt vmcnt(0)
	s_delay_alu instid0(VALU_DEP_1) | instskip(SKIP_1) | instid1(VALU_DEP_2)
	v_add_f64 v[25:26], v[13:14], v[1:2]
	v_add_f64 v[27:28], v[15:16], v[3:4]
	;; [unrolled: 1-line block ×3, first 2 shown]
	s_delay_alu instid0(VALU_DEP_2) | instskip(NEXT) | instid1(VALU_DEP_2)
	v_add_f64 v[23:24], v[11:12], v[27:28]
	v_add_f64 v[17:18], v[5:6], v[21:22]
	s_delay_alu instid0(VALU_DEP_2) | instskip(NEXT) | instid1(VALU_DEP_2)
	v_add_f64 v[19:20], v[7:8], v[23:24]
	v_mov_b32_dpp v39, v17 row_shr:1 row_mask:0xf bank_mask:0xf
	s_delay_alu instid0(VALU_DEP_3) | instskip(NEXT) | instid1(VALU_DEP_3)
	v_mov_b32_dpp v40, v18 row_shr:1 row_mask:0xf bank_mask:0xf
	v_mov_b32_dpp v41, v19 row_shr:1 row_mask:0xf bank_mask:0xf
	s_delay_alu instid0(VALU_DEP_4)
	v_mov_b32_dpp v42, v20 row_shr:1 row_mask:0xf bank_mask:0xf
	s_waitcnt lgkmcnt(0)
	v_dual_mov_b32 v36, v20 :: v_dual_mov_b32 v35, v19
	v_dual_mov_b32 v38, v18 :: v_dual_mov_b32 v37, v17
	;; [unrolled: 1-line block ×4, first 2 shown]
	s_and_saveexec_b32 s13, vcc_lo
; %bb.2:                                ;   in Loop: Header=BB106_1 Depth=1
	v_add_f64 v[35:36], v[19:20], v[41:42]
	v_add_f64 v[37:38], v[17:18], v[39:40]
	s_delay_alu instid0(VALU_DEP_2) | instskip(NEXT) | instid1(VALU_DEP_2)
	v_dual_mov_b32 v30, v36 :: v_dual_mov_b32 v29, v35
	v_dual_mov_b32 v32, v38 :: v_dual_mov_b32 v31, v37
; %bb.3:                                ;   in Loop: Header=BB106_1 Depth=1
	s_or_b32 exec_lo, exec_lo, s13
	s_delay_alu instid0(VALU_DEP_1) | instskip(NEXT) | instid1(VALU_DEP_2)
	v_mov_b32_dpp v39, v31 row_shr:2 row_mask:0xf bank_mask:0xf
	v_mov_b32_dpp v40, v32 row_shr:2 row_mask:0xf bank_mask:0xf
	;; [unrolled: 1-line block ×4, first 2 shown]
	s_and_saveexec_b32 s13, s0
; %bb.4:                                ;   in Loop: Header=BB106_1 Depth=1
	s_delay_alu instid0(VALU_DEP_3) | instskip(NEXT) | instid1(VALU_DEP_2)
	v_add_f64 v[31:32], v[37:38], v[39:40]
	v_add_f64 v[29:30], v[35:36], v[41:42]
	s_delay_alu instid0(VALU_DEP_2) | instskip(NEXT) | instid1(VALU_DEP_2)
	v_dual_mov_b32 v38, v32 :: v_dual_mov_b32 v37, v31
	v_dual_mov_b32 v36, v30 :: v_dual_mov_b32 v35, v29
; %bb.5:                                ;   in Loop: Header=BB106_1 Depth=1
	s_or_b32 exec_lo, exec_lo, s13
	v_mov_b32_dpp v39, v31 row_shr:4 row_mask:0xf bank_mask:0xf
	v_mov_b32_dpp v40, v32 row_shr:4 row_mask:0xf bank_mask:0xf
	;; [unrolled: 1-line block ×4, first 2 shown]
	s_and_saveexec_b32 s13, s1
; %bb.6:                                ;   in Loop: Header=BB106_1 Depth=1
	s_delay_alu instid0(VALU_DEP_3) | instskip(NEXT) | instid1(VALU_DEP_2)
	v_add_f64 v[31:32], v[37:38], v[39:40]
	v_add_f64 v[29:30], v[35:36], v[41:42]
	s_delay_alu instid0(VALU_DEP_2) | instskip(NEXT) | instid1(VALU_DEP_2)
	v_dual_mov_b32 v38, v32 :: v_dual_mov_b32 v37, v31
	v_dual_mov_b32 v36, v30 :: v_dual_mov_b32 v35, v29
; %bb.7:                                ;   in Loop: Header=BB106_1 Depth=1
	s_or_b32 exec_lo, exec_lo, s13
	v_mov_b32_dpp v39, v31 row_shr:8 row_mask:0xf bank_mask:0xf
	v_mov_b32_dpp v40, v32 row_shr:8 row_mask:0xf bank_mask:0xf
	;; [unrolled: 1-line block ×4, first 2 shown]
	s_and_saveexec_b32 s13, s2
; %bb.8:                                ;   in Loop: Header=BB106_1 Depth=1
	s_delay_alu instid0(VALU_DEP_1) | instskip(SKIP_1) | instid1(VALU_DEP_2)
	v_add_f64 v[35:36], v[35:36], v[41:42]
	v_add_f64 v[37:38], v[37:38], v[39:40]
	v_dual_mov_b32 v30, v36 :: v_dual_mov_b32 v29, v35
	s_delay_alu instid0(VALU_DEP_2)
	v_dual_mov_b32 v32, v38 :: v_dual_mov_b32 v31, v37
; %bb.9:                                ;   in Loop: Header=BB106_1 Depth=1
	s_or_b32 exec_lo, exec_lo, s13
	ds_swizzle_b32 v31, v31 offset:swizzle(BROADCAST,32,15)
	ds_swizzle_b32 v32, v32 offset:swizzle(BROADCAST,32,15)
	;; [unrolled: 1-line block ×4, first 2 shown]
	s_and_saveexec_b32 s13, s3
	s_cbranch_execz .LBB106_11
; %bb.10:                               ;   in Loop: Header=BB106_1 Depth=1
	s_waitcnt lgkmcnt(0)
	v_add_f64 v[35:36], v[35:36], v[29:30]
	v_add_f64 v[37:38], v[37:38], v[31:32]
.LBB106_11:                             ;   in Loop: Header=BB106_1 Depth=1
	s_or_b32 exec_lo, exec_lo, s13
	s_and_saveexec_b32 s13, s4
	s_cbranch_execz .LBB106_13
; %bb.12:                               ;   in Loop: Header=BB106_1 Depth=1
	ds_store_2addr_b64 v44, v[37:38], v[35:36] offset1:1
.LBB106_13:                             ;   in Loop: Header=BB106_1 Depth=1
	s_or_b32 exec_lo, exec_lo, s13
	s_waitcnt lgkmcnt(0)
	s_barrier
	buffer_gl0_inv
	s_and_saveexec_b32 s13, s5
	s_cbranch_execz .LBB106_21
; %bb.14:                               ;   in Loop: Header=BB106_1 Depth=1
	ds_load_2addr_b64 v[29:32], v0 offset1:1
	s_waitcnt lgkmcnt(0)
	v_mov_b32_dpp v39, v29 row_shr:1 row_mask:0xf bank_mask:0xf
	v_mov_b32_dpp v40, v30 row_shr:1 row_mask:0xf bank_mask:0xf
	;; [unrolled: 1-line block ×4, first 2 shown]
	s_and_saveexec_b32 s14, s8
; %bb.15:                               ;   in Loop: Header=BB106_1 Depth=1
	s_delay_alu instid0(VALU_DEP_1)
	v_add_f64 v[31:32], v[31:32], v[41:42]
	v_add_f64 v[29:30], v[29:30], v[39:40]
; %bb.16:                               ;   in Loop: Header=BB106_1 Depth=1
	s_or_b32 exec_lo, exec_lo, s14
	s_delay_alu instid0(VALU_DEP_1) | instskip(NEXT) | instid1(VALU_DEP_2)
	v_mov_b32_dpp v39, v29 row_shr:2 row_mask:0xf bank_mask:0xf
	v_mov_b32_dpp v40, v30 row_shr:2 row_mask:0xf bank_mask:0xf
	s_delay_alu instid0(VALU_DEP_4)
	v_mov_b32_dpp v41, v31 row_shr:2 row_mask:0xf bank_mask:0xf
	v_mov_b32_dpp v42, v32 row_shr:2 row_mask:0xf bank_mask:0xf
	s_and_saveexec_b32 s14, s9
; %bb.17:                               ;   in Loop: Header=BB106_1 Depth=1
	s_delay_alu instid0(VALU_DEP_1)
	v_add_f64 v[31:32], v[31:32], v[41:42]
	v_add_f64 v[29:30], v[29:30], v[39:40]
; %bb.18:                               ;   in Loop: Header=BB106_1 Depth=1
	s_or_b32 exec_lo, exec_lo, s14
	s_delay_alu instid0(VALU_DEP_1) | instskip(NEXT) | instid1(VALU_DEP_2)
	v_mov_b32_dpp v39, v29 row_shr:4 row_mask:0xf bank_mask:0xf
	v_mov_b32_dpp v40, v30 row_shr:4 row_mask:0xf bank_mask:0xf
	s_delay_alu instid0(VALU_DEP_4)
	v_mov_b32_dpp v41, v31 row_shr:4 row_mask:0xf bank_mask:0xf
	v_mov_b32_dpp v42, v32 row_shr:4 row_mask:0xf bank_mask:0xf
	s_and_saveexec_b32 s14, s10
; %bb.19:                               ;   in Loop: Header=BB106_1 Depth=1
	s_delay_alu instid0(VALU_DEP_1)
	v_add_f64 v[31:32], v[31:32], v[41:42]
	v_add_f64 v[29:30], v[29:30], v[39:40]
; %bb.20:                               ;   in Loop: Header=BB106_1 Depth=1
	s_or_b32 exec_lo, exec_lo, s14
	ds_store_2addr_b64 v0, v[29:30], v[31:32] offset1:1
.LBB106_21:                             ;   in Loop: Header=BB106_1 Depth=1
	s_or_b32 exec_lo, exec_lo, s13
	v_mov_b32_e32 v29, 0
	v_mov_b32_e32 v30, 0
	s_waitcnt lgkmcnt(0)
	s_barrier
	buffer_gl0_inv
	v_dual_mov_b32 v32, v30 :: v_dual_mov_b32 v31, v29
	s_and_saveexec_b32 s13, s6
	s_cbranch_execz .LBB106_23
; %bb.22:                               ;   in Loop: Header=BB106_1 Depth=1
	ds_load_2addr_b64 v[29:32], v45 offset1:1
	s_waitcnt lgkmcnt(0)
	v_add_f64 v[37:38], v[37:38], v[29:30]
	v_add_f64 v[35:36], v[35:36], v[31:32]
.LBB106_23:                             ;   in Loop: Header=BB106_1 Depth=1
	s_or_b32 exec_lo, exec_lo, s13
	ds_bpermute_b32 v37, v43, v37
	ds_bpermute_b32 v38, v43, v38
	;; [unrolled: 1-line block ×4, first 2 shown]
	s_and_saveexec_b32 s13, s7
	s_cbranch_execz .LBB106_25
; %bb.24:                               ;   in Loop: Header=BB106_1 Depth=1
	s_waitcnt lgkmcnt(2)
	v_cndmask_b32_e64 v18, v38, v30, s11
	v_cndmask_b32_e64 v17, v37, v29, s11
	s_waitcnt lgkmcnt(0)
	v_cndmask_b32_e64 v20, v36, v32, s11
	v_cndmask_b32_e64 v19, v35, v31, s11
	s_delay_alu instid0(VALU_DEP_3) | instskip(NEXT) | instid1(VALU_DEP_2)
	v_add_f64 v[1:2], v[1:2], v[17:18]
	v_add_f64 v[3:4], v[3:4], v[19:20]
	s_delay_alu instid0(VALU_DEP_2) | instskip(NEXT) | instid1(VALU_DEP_2)
	v_add_f64 v[25:26], v[13:14], v[1:2]
	v_add_f64 v[27:28], v[15:16], v[3:4]
	s_delay_alu instid0(VALU_DEP_2) | instskip(NEXT) | instid1(VALU_DEP_2)
	;; [unrolled: 3-line block ×3, first 2 shown]
	v_add_f64 v[17:18], v[5:6], v[21:22]
	v_add_f64 v[19:20], v[7:8], v[23:24]
.LBB106_25:                             ;   in Loop: Header=BB106_1 Depth=1
	s_or_b32 exec_lo, exec_lo, s13
	s_add_i32 s12, s12, -1
	s_delay_alu instid0(SALU_CYCLE_1)
	s_cmp_lg_u32 s12, 0
	s_cbranch_scc0 .LBB106_27
; %bb.26:                               ;   in Loop: Header=BB106_1 Depth=1
	s_delay_alu instid0(VALU_DEP_1) | instskip(NEXT) | instid1(VALU_DEP_3)
	v_dual_mov_b32 v7, v19 :: v_dual_mov_b32 v8, v20
	v_dual_mov_b32 v5, v17 :: v_dual_mov_b32 v6, v18
	;; [unrolled: 1-line block ×6, first 2 shown]
	s_branch .LBB106_1
.LBB106_27:
	v_add_co_u32 v5, vcc_lo, s18, v33
	v_add_co_ci_u32_e32 v6, vcc_lo, s19, v34, vcc_lo
	s_clause 0x3
	global_store_b128 v[5:6], v[1:4], off
	global_store_b128 v[5:6], v[25:28], off offset:16
	global_store_b128 v[5:6], v[21:24], off offset:32
	;; [unrolled: 1-line block ×3, first 2 shown]
	s_nop 0
	s_sendmsg sendmsg(MSG_DEALLOC_VGPRS)
	s_endpgm
	.section	.rodata,"a",@progbits
	.p2align	6, 0x0
	.amdhsa_kernel _Z6kernelI14inclusive_scanILN6hipcub18BlockScanAlgorithmE0EEN15benchmark_utils11custom_typeIddEELj256ELj4ELj100EEvPKT0_PS7_S7_
		.amdhsa_group_segment_fixed_size 128
		.amdhsa_private_segment_fixed_size 0
		.amdhsa_kernarg_size 288
		.amdhsa_user_sgpr_count 15
		.amdhsa_user_sgpr_dispatch_ptr 0
		.amdhsa_user_sgpr_queue_ptr 0
		.amdhsa_user_sgpr_kernarg_segment_ptr 1
		.amdhsa_user_sgpr_dispatch_id 0
		.amdhsa_user_sgpr_private_segment_size 0
		.amdhsa_wavefront_size32 1
		.amdhsa_uses_dynamic_stack 0
		.amdhsa_enable_private_segment 0
		.amdhsa_system_sgpr_workgroup_id_x 1
		.amdhsa_system_sgpr_workgroup_id_y 0
		.amdhsa_system_sgpr_workgroup_id_z 0
		.amdhsa_system_sgpr_workgroup_info 0
		.amdhsa_system_vgpr_workitem_id 0
		.amdhsa_next_free_vgpr 46
		.amdhsa_next_free_sgpr 20
		.amdhsa_reserve_vcc 1
		.amdhsa_float_round_mode_32 0
		.amdhsa_float_round_mode_16_64 0
		.amdhsa_float_denorm_mode_32 3
		.amdhsa_float_denorm_mode_16_64 3
		.amdhsa_dx10_clamp 1
		.amdhsa_ieee_mode 1
		.amdhsa_fp16_overflow 0
		.amdhsa_workgroup_processor_mode 1
		.amdhsa_memory_ordered 1
		.amdhsa_forward_progress 0
		.amdhsa_shared_vgpr_count 0
		.amdhsa_exception_fp_ieee_invalid_op 0
		.amdhsa_exception_fp_denorm_src 0
		.amdhsa_exception_fp_ieee_div_zero 0
		.amdhsa_exception_fp_ieee_overflow 0
		.amdhsa_exception_fp_ieee_underflow 0
		.amdhsa_exception_fp_ieee_inexact 0
		.amdhsa_exception_int_div_zero 0
	.end_amdhsa_kernel
	.section	.text._Z6kernelI14inclusive_scanILN6hipcub18BlockScanAlgorithmE0EEN15benchmark_utils11custom_typeIddEELj256ELj4ELj100EEvPKT0_PS7_S7_,"axG",@progbits,_Z6kernelI14inclusive_scanILN6hipcub18BlockScanAlgorithmE0EEN15benchmark_utils11custom_typeIddEELj256ELj4ELj100EEvPKT0_PS7_S7_,comdat
.Lfunc_end106:
	.size	_Z6kernelI14inclusive_scanILN6hipcub18BlockScanAlgorithmE0EEN15benchmark_utils11custom_typeIddEELj256ELj4ELj100EEvPKT0_PS7_S7_, .Lfunc_end106-_Z6kernelI14inclusive_scanILN6hipcub18BlockScanAlgorithmE0EEN15benchmark_utils11custom_typeIddEELj256ELj4ELj100EEvPKT0_PS7_S7_
                                        ; -- End function
	.section	.AMDGPU.csdata,"",@progbits
; Kernel info:
; codeLenInByte = 1408
; NumSgprs: 22
; NumVgprs: 46
; ScratchSize: 0
; MemoryBound: 0
; FloatMode: 240
; IeeeMode: 1
; LDSByteSize: 128 bytes/workgroup (compile time only)
; SGPRBlocks: 2
; VGPRBlocks: 5
; NumSGPRsForWavesPerEU: 22
; NumVGPRsForWavesPerEU: 46
; Occupancy: 16
; WaveLimiterHint : 0
; COMPUTE_PGM_RSRC2:SCRATCH_EN: 0
; COMPUTE_PGM_RSRC2:USER_SGPR: 15
; COMPUTE_PGM_RSRC2:TRAP_HANDLER: 0
; COMPUTE_PGM_RSRC2:TGID_X_EN: 1
; COMPUTE_PGM_RSRC2:TGID_Y_EN: 0
; COMPUTE_PGM_RSRC2:TGID_Z_EN: 0
; COMPUTE_PGM_RSRC2:TIDIG_COMP_CNT: 0
	.section	.text._Z6kernelI14inclusive_scanILN6hipcub18BlockScanAlgorithmE0EEN15benchmark_utils11custom_typeIddEELj256ELj8ELj100EEvPKT0_PS7_S7_,"axG",@progbits,_Z6kernelI14inclusive_scanILN6hipcub18BlockScanAlgorithmE0EEN15benchmark_utils11custom_typeIddEELj256ELj8ELj100EEvPKT0_PS7_S7_,comdat
	.protected	_Z6kernelI14inclusive_scanILN6hipcub18BlockScanAlgorithmE0EEN15benchmark_utils11custom_typeIddEELj256ELj8ELj100EEvPKT0_PS7_S7_ ; -- Begin function _Z6kernelI14inclusive_scanILN6hipcub18BlockScanAlgorithmE0EEN15benchmark_utils11custom_typeIddEELj256ELj8ELj100EEvPKT0_PS7_S7_
	.globl	_Z6kernelI14inclusive_scanILN6hipcub18BlockScanAlgorithmE0EEN15benchmark_utils11custom_typeIddEELj256ELj8ELj100EEvPKT0_PS7_S7_
	.p2align	8
	.type	_Z6kernelI14inclusive_scanILN6hipcub18BlockScanAlgorithmE0EEN15benchmark_utils11custom_typeIddEELj256ELj8ELj100EEvPKT0_PS7_S7_,@function
_Z6kernelI14inclusive_scanILN6hipcub18BlockScanAlgorithmE0EEN15benchmark_utils11custom_typeIddEELj256ELj8ELj100EEvPKT0_PS7_S7_: ; @_Z6kernelI14inclusive_scanILN6hipcub18BlockScanAlgorithmE0EEN15benchmark_utils11custom_typeIddEELj256ELj8ELj100EEvPKT0_PS7_S7_
; %bb.0:
	s_clause 0x1
	s_load_b32 s2, s[0:1], 0x2c
	s_load_b128 s[16:19], s[0:1], 0x0
	v_mbcnt_lo_u32_b32 v33, -1, 0
	v_mov_b32_e32 v2, 0
	v_or_b32_e32 v36, 31, v0
	v_cmp_lt_u32_e64 s6, 31, v0
	v_cmp_ne_u32_e64 s7, 0, v0
	v_and_b32_e32 v35, 16, v33
	v_add_nc_u32_e32 v37, -1, v33
	v_and_b32_e32 v34, 15, v33
	v_cmp_eq_u32_e64 s4, v36, v0
	v_and_b32_e32 v36, 7, v33
	v_cmp_ne_u32_e64 s3, 0, v35
	v_cmp_gt_i32_e64 s5, 0, v37
	v_lshrrev_b32_e32 v35, 1, v0
	v_cmp_lt_u32_e64 s1, 3, v34
	v_cmp_ne_u32_e64 s8, 0, v36
	v_cmp_lt_u32_e64 s9, 1, v36
	v_cmp_lt_u32_e64 s10, 3, v36
	v_and_b32_e32 v76, 0x70, v35
	s_waitcnt lgkmcnt(0)
	s_and_b32 s0, s2, 0xffff
	v_cmp_lt_u32_e64 s2, 7, v34
	s_mul_i32 s15, s15, s0
	v_cmp_lt_u32_e64 s0, 1, v34
	v_add_lshl_u32 v1, s15, v0, 3
	v_add_nc_u32_e32 v77, -16, v76
	v_cmp_eq_u32_e64 s11, 0, v33
	s_movk_i32 s12, 0x64
	s_delay_alu instid0(VALU_DEP_3) | instskip(NEXT) | instid1(VALU_DEP_1)
	v_lshlrev_b64 v[65:66], 4, v[1:2]
	v_add_co_u32 v29, vcc_lo, s16, v65
	s_delay_alu instid0(VALU_DEP_2)
	v_add_co_ci_u32_e32 v30, vcc_lo, s17, v66, vcc_lo
	v_cmp_ne_u32_e32 vcc_lo, 0, v34
	v_cndmask_b32_e64 v34, v37, v33, s5
	v_cmp_gt_u32_e64 s5, 8, v0
	s_clause 0x7
	global_load_b128 v[5:8], v[29:30], off offset:48
	global_load_b128 v[9:12], v[29:30], off offset:32
	;; [unrolled: 1-line block ×3, first 2 shown]
	global_load_b128 v[1:4], v[29:30], off
	global_load_b128 v[17:20], v[29:30], off offset:112
	global_load_b128 v[21:24], v[29:30], off offset:96
	global_load_b128 v[25:28], v[29:30], off offset:80
	global_load_b128 v[29:32], v[29:30], off offset:64
	v_lshlrev_b32_e32 v0, 4, v0
	v_lshlrev_b32_e32 v75, 2, v34
.LBB107_1:                              ; =>This Inner Loop Header: Depth=1
	s_waitcnt vmcnt(4)
	s_delay_alu instid0(VALU_DEP_1) | instskip(SKIP_1) | instid1(VALU_DEP_2)
	v_add_f64 v[57:58], v[13:14], v[1:2]
	v_add_f64 v[59:60], v[15:16], v[3:4]
	;; [unrolled: 1-line block ×3, first 2 shown]
	s_delay_alu instid0(VALU_DEP_2) | instskip(NEXT) | instid1(VALU_DEP_2)
	v_add_f64 v[55:56], v[11:12], v[59:60]
	v_add_f64 v[49:50], v[5:6], v[53:54]
	s_delay_alu instid0(VALU_DEP_2) | instskip(SKIP_1) | instid1(VALU_DEP_2)
	v_add_f64 v[51:52], v[7:8], v[55:56]
	s_waitcnt vmcnt(0)
	v_add_f64 v[45:46], v[29:30], v[49:50]
	s_delay_alu instid0(VALU_DEP_2) | instskip(NEXT) | instid1(VALU_DEP_2)
	v_add_f64 v[47:48], v[31:32], v[51:52]
	v_add_f64 v[41:42], v[25:26], v[45:46]
	s_delay_alu instid0(VALU_DEP_2) | instskip(NEXT) | instid1(VALU_DEP_2)
	v_add_f64 v[43:44], v[27:28], v[47:48]
	v_add_f64 v[37:38], v[21:22], v[41:42]
	s_delay_alu instid0(VALU_DEP_2) | instskip(NEXT) | instid1(VALU_DEP_2)
	v_add_f64 v[39:40], v[23:24], v[43:44]
	v_add_f64 v[33:34], v[17:18], v[37:38]
	s_delay_alu instid0(VALU_DEP_2) | instskip(NEXT) | instid1(VALU_DEP_2)
	v_add_f64 v[35:36], v[19:20], v[39:40]
	v_mov_b32_dpp v71, v33 row_shr:1 row_mask:0xf bank_mask:0xf
	s_delay_alu instid0(VALU_DEP_3) | instskip(NEXT) | instid1(VALU_DEP_3)
	v_mov_b32_dpp v72, v34 row_shr:1 row_mask:0xf bank_mask:0xf
	v_mov_b32_dpp v73, v35 row_shr:1 row_mask:0xf bank_mask:0xf
	s_delay_alu instid0(VALU_DEP_4)
	v_mov_b32_dpp v74, v36 row_shr:1 row_mask:0xf bank_mask:0xf
	s_waitcnt lgkmcnt(0)
	v_dual_mov_b32 v68, v36 :: v_dual_mov_b32 v67, v35
	v_dual_mov_b32 v70, v34 :: v_dual_mov_b32 v69, v33
	;; [unrolled: 1-line block ×4, first 2 shown]
	s_and_saveexec_b32 s13, vcc_lo
; %bb.2:                                ;   in Loop: Header=BB107_1 Depth=1
	v_add_f64 v[67:68], v[35:36], v[73:74]
	v_add_f64 v[69:70], v[33:34], v[71:72]
	s_delay_alu instid0(VALU_DEP_2) | instskip(NEXT) | instid1(VALU_DEP_2)
	v_dual_mov_b32 v62, v68 :: v_dual_mov_b32 v61, v67
	v_dual_mov_b32 v64, v70 :: v_dual_mov_b32 v63, v69
; %bb.3:                                ;   in Loop: Header=BB107_1 Depth=1
	s_or_b32 exec_lo, exec_lo, s13
	s_delay_alu instid0(VALU_DEP_1) | instskip(NEXT) | instid1(VALU_DEP_2)
	v_mov_b32_dpp v71, v63 row_shr:2 row_mask:0xf bank_mask:0xf
	v_mov_b32_dpp v72, v64 row_shr:2 row_mask:0xf bank_mask:0xf
	;; [unrolled: 1-line block ×4, first 2 shown]
	s_and_saveexec_b32 s13, s0
; %bb.4:                                ;   in Loop: Header=BB107_1 Depth=1
	s_delay_alu instid0(VALU_DEP_3) | instskip(NEXT) | instid1(VALU_DEP_2)
	v_add_f64 v[63:64], v[69:70], v[71:72]
	v_add_f64 v[61:62], v[67:68], v[73:74]
	s_delay_alu instid0(VALU_DEP_2) | instskip(NEXT) | instid1(VALU_DEP_2)
	v_dual_mov_b32 v70, v64 :: v_dual_mov_b32 v69, v63
	v_dual_mov_b32 v68, v62 :: v_dual_mov_b32 v67, v61
; %bb.5:                                ;   in Loop: Header=BB107_1 Depth=1
	s_or_b32 exec_lo, exec_lo, s13
	v_mov_b32_dpp v71, v63 row_shr:4 row_mask:0xf bank_mask:0xf
	v_mov_b32_dpp v72, v64 row_shr:4 row_mask:0xf bank_mask:0xf
	;; [unrolled: 1-line block ×4, first 2 shown]
	s_and_saveexec_b32 s13, s1
; %bb.6:                                ;   in Loop: Header=BB107_1 Depth=1
	s_delay_alu instid0(VALU_DEP_3) | instskip(NEXT) | instid1(VALU_DEP_2)
	v_add_f64 v[63:64], v[69:70], v[71:72]
	v_add_f64 v[61:62], v[67:68], v[73:74]
	s_delay_alu instid0(VALU_DEP_2) | instskip(NEXT) | instid1(VALU_DEP_2)
	v_dual_mov_b32 v70, v64 :: v_dual_mov_b32 v69, v63
	v_dual_mov_b32 v68, v62 :: v_dual_mov_b32 v67, v61
; %bb.7:                                ;   in Loop: Header=BB107_1 Depth=1
	s_or_b32 exec_lo, exec_lo, s13
	v_mov_b32_dpp v71, v63 row_shr:8 row_mask:0xf bank_mask:0xf
	v_mov_b32_dpp v72, v64 row_shr:8 row_mask:0xf bank_mask:0xf
	;; [unrolled: 1-line block ×4, first 2 shown]
	s_and_saveexec_b32 s13, s2
; %bb.8:                                ;   in Loop: Header=BB107_1 Depth=1
	s_delay_alu instid0(VALU_DEP_1) | instskip(SKIP_1) | instid1(VALU_DEP_2)
	v_add_f64 v[67:68], v[67:68], v[73:74]
	v_add_f64 v[69:70], v[69:70], v[71:72]
	v_dual_mov_b32 v62, v68 :: v_dual_mov_b32 v61, v67
	s_delay_alu instid0(VALU_DEP_2)
	v_dual_mov_b32 v64, v70 :: v_dual_mov_b32 v63, v69
; %bb.9:                                ;   in Loop: Header=BB107_1 Depth=1
	s_or_b32 exec_lo, exec_lo, s13
	ds_swizzle_b32 v63, v63 offset:swizzle(BROADCAST,32,15)
	ds_swizzle_b32 v64, v64 offset:swizzle(BROADCAST,32,15)
	;; [unrolled: 1-line block ×4, first 2 shown]
	s_and_saveexec_b32 s13, s3
	s_cbranch_execz .LBB107_11
; %bb.10:                               ;   in Loop: Header=BB107_1 Depth=1
	s_waitcnt lgkmcnt(0)
	v_add_f64 v[67:68], v[67:68], v[61:62]
	v_add_f64 v[69:70], v[69:70], v[63:64]
.LBB107_11:                             ;   in Loop: Header=BB107_1 Depth=1
	s_or_b32 exec_lo, exec_lo, s13
	s_and_saveexec_b32 s13, s4
	s_cbranch_execz .LBB107_13
; %bb.12:                               ;   in Loop: Header=BB107_1 Depth=1
	ds_store_2addr_b64 v76, v[69:70], v[67:68] offset1:1
.LBB107_13:                             ;   in Loop: Header=BB107_1 Depth=1
	s_or_b32 exec_lo, exec_lo, s13
	s_waitcnt lgkmcnt(0)
	s_barrier
	buffer_gl0_inv
	s_and_saveexec_b32 s13, s5
	s_cbranch_execz .LBB107_21
; %bb.14:                               ;   in Loop: Header=BB107_1 Depth=1
	ds_load_2addr_b64 v[61:64], v0 offset1:1
	s_waitcnt lgkmcnt(0)
	v_mov_b32_dpp v71, v61 row_shr:1 row_mask:0xf bank_mask:0xf
	v_mov_b32_dpp v72, v62 row_shr:1 row_mask:0xf bank_mask:0xf
	;; [unrolled: 1-line block ×4, first 2 shown]
	s_and_saveexec_b32 s14, s8
; %bb.15:                               ;   in Loop: Header=BB107_1 Depth=1
	s_delay_alu instid0(VALU_DEP_1)
	v_add_f64 v[63:64], v[63:64], v[73:74]
	v_add_f64 v[61:62], v[61:62], v[71:72]
; %bb.16:                               ;   in Loop: Header=BB107_1 Depth=1
	s_or_b32 exec_lo, exec_lo, s14
	s_delay_alu instid0(VALU_DEP_1) | instskip(NEXT) | instid1(VALU_DEP_2)
	v_mov_b32_dpp v71, v61 row_shr:2 row_mask:0xf bank_mask:0xf
	v_mov_b32_dpp v72, v62 row_shr:2 row_mask:0xf bank_mask:0xf
	s_delay_alu instid0(VALU_DEP_4)
	v_mov_b32_dpp v73, v63 row_shr:2 row_mask:0xf bank_mask:0xf
	v_mov_b32_dpp v74, v64 row_shr:2 row_mask:0xf bank_mask:0xf
	s_and_saveexec_b32 s14, s9
; %bb.17:                               ;   in Loop: Header=BB107_1 Depth=1
	s_delay_alu instid0(VALU_DEP_1)
	v_add_f64 v[63:64], v[63:64], v[73:74]
	v_add_f64 v[61:62], v[61:62], v[71:72]
; %bb.18:                               ;   in Loop: Header=BB107_1 Depth=1
	s_or_b32 exec_lo, exec_lo, s14
	s_delay_alu instid0(VALU_DEP_1) | instskip(NEXT) | instid1(VALU_DEP_2)
	v_mov_b32_dpp v71, v61 row_shr:4 row_mask:0xf bank_mask:0xf
	v_mov_b32_dpp v72, v62 row_shr:4 row_mask:0xf bank_mask:0xf
	s_delay_alu instid0(VALU_DEP_4)
	v_mov_b32_dpp v73, v63 row_shr:4 row_mask:0xf bank_mask:0xf
	v_mov_b32_dpp v74, v64 row_shr:4 row_mask:0xf bank_mask:0xf
	s_and_saveexec_b32 s14, s10
; %bb.19:                               ;   in Loop: Header=BB107_1 Depth=1
	s_delay_alu instid0(VALU_DEP_1)
	v_add_f64 v[63:64], v[63:64], v[73:74]
	v_add_f64 v[61:62], v[61:62], v[71:72]
; %bb.20:                               ;   in Loop: Header=BB107_1 Depth=1
	s_or_b32 exec_lo, exec_lo, s14
	ds_store_2addr_b64 v0, v[61:62], v[63:64] offset1:1
.LBB107_21:                             ;   in Loop: Header=BB107_1 Depth=1
	s_or_b32 exec_lo, exec_lo, s13
	v_mov_b32_e32 v61, 0
	v_mov_b32_e32 v62, 0
	s_waitcnt lgkmcnt(0)
	s_barrier
	buffer_gl0_inv
	v_dual_mov_b32 v64, v62 :: v_dual_mov_b32 v63, v61
	s_and_saveexec_b32 s13, s6
	s_cbranch_execz .LBB107_23
; %bb.22:                               ;   in Loop: Header=BB107_1 Depth=1
	ds_load_2addr_b64 v[61:64], v77 offset1:1
	s_waitcnt lgkmcnt(0)
	v_add_f64 v[69:70], v[69:70], v[61:62]
	v_add_f64 v[67:68], v[67:68], v[63:64]
.LBB107_23:                             ;   in Loop: Header=BB107_1 Depth=1
	s_or_b32 exec_lo, exec_lo, s13
	ds_bpermute_b32 v69, v75, v69
	ds_bpermute_b32 v70, v75, v70
	;; [unrolled: 1-line block ×4, first 2 shown]
	s_and_saveexec_b32 s13, s7
	s_cbranch_execz .LBB107_25
; %bb.24:                               ;   in Loop: Header=BB107_1 Depth=1
	s_waitcnt lgkmcnt(2)
	v_cndmask_b32_e64 v34, v70, v62, s11
	v_cndmask_b32_e64 v33, v69, v61, s11
	s_waitcnt lgkmcnt(0)
	v_cndmask_b32_e64 v36, v68, v64, s11
	v_cndmask_b32_e64 v35, v67, v63, s11
	s_delay_alu instid0(VALU_DEP_3) | instskip(NEXT) | instid1(VALU_DEP_2)
	v_add_f64 v[1:2], v[1:2], v[33:34]
	v_add_f64 v[3:4], v[3:4], v[35:36]
	s_delay_alu instid0(VALU_DEP_2) | instskip(NEXT) | instid1(VALU_DEP_2)
	v_add_f64 v[57:58], v[13:14], v[1:2]
	v_add_f64 v[59:60], v[15:16], v[3:4]
	s_delay_alu instid0(VALU_DEP_2) | instskip(NEXT) | instid1(VALU_DEP_2)
	;; [unrolled: 3-line block ×7, first 2 shown]
	v_add_f64 v[33:34], v[17:18], v[37:38]
	v_add_f64 v[35:36], v[19:20], v[39:40]
.LBB107_25:                             ;   in Loop: Header=BB107_1 Depth=1
	s_or_b32 exec_lo, exec_lo, s13
	s_add_i32 s12, s12, -1
	s_delay_alu instid0(SALU_CYCLE_1)
	s_cmp_lg_u32 s12, 0
	s_cbranch_scc0 .LBB107_27
; %bb.26:                               ;   in Loop: Header=BB107_1 Depth=1
	s_delay_alu instid0(VALU_DEP_1) | instskip(NEXT) | instid1(VALU_DEP_3)
	v_dual_mov_b32 v19, v35 :: v_dual_mov_b32 v20, v36
	v_dual_mov_b32 v17, v33 :: v_dual_mov_b32 v18, v34
	;; [unrolled: 1-line block ×14, first 2 shown]
	s_branch .LBB107_1
.LBB107_27:
	v_add_co_u32 v5, vcc_lo, s18, v65
	v_add_co_ci_u32_e32 v6, vcc_lo, s19, v66, vcc_lo
	s_clause 0x7
	global_store_b128 v[5:6], v[1:4], off
	global_store_b128 v[5:6], v[57:60], off offset:16
	global_store_b128 v[5:6], v[53:56], off offset:32
	;; [unrolled: 1-line block ×7, first 2 shown]
	s_nop 0
	s_sendmsg sendmsg(MSG_DEALLOC_VGPRS)
	s_endpgm
	.section	.rodata,"a",@progbits
	.p2align	6, 0x0
	.amdhsa_kernel _Z6kernelI14inclusive_scanILN6hipcub18BlockScanAlgorithmE0EEN15benchmark_utils11custom_typeIddEELj256ELj8ELj100EEvPKT0_PS7_S7_
		.amdhsa_group_segment_fixed_size 128
		.amdhsa_private_segment_fixed_size 0
		.amdhsa_kernarg_size 288
		.amdhsa_user_sgpr_count 15
		.amdhsa_user_sgpr_dispatch_ptr 0
		.amdhsa_user_sgpr_queue_ptr 0
		.amdhsa_user_sgpr_kernarg_segment_ptr 1
		.amdhsa_user_sgpr_dispatch_id 0
		.amdhsa_user_sgpr_private_segment_size 0
		.amdhsa_wavefront_size32 1
		.amdhsa_uses_dynamic_stack 0
		.amdhsa_enable_private_segment 0
		.amdhsa_system_sgpr_workgroup_id_x 1
		.amdhsa_system_sgpr_workgroup_id_y 0
		.amdhsa_system_sgpr_workgroup_id_z 0
		.amdhsa_system_sgpr_workgroup_info 0
		.amdhsa_system_vgpr_workitem_id 0
		.amdhsa_next_free_vgpr 78
		.amdhsa_next_free_sgpr 20
		.amdhsa_reserve_vcc 1
		.amdhsa_float_round_mode_32 0
		.amdhsa_float_round_mode_16_64 0
		.amdhsa_float_denorm_mode_32 3
		.amdhsa_float_denorm_mode_16_64 3
		.amdhsa_dx10_clamp 1
		.amdhsa_ieee_mode 1
		.amdhsa_fp16_overflow 0
		.amdhsa_workgroup_processor_mode 1
		.amdhsa_memory_ordered 1
		.amdhsa_forward_progress 0
		.amdhsa_shared_vgpr_count 0
		.amdhsa_exception_fp_ieee_invalid_op 0
		.amdhsa_exception_fp_denorm_src 0
		.amdhsa_exception_fp_ieee_div_zero 0
		.amdhsa_exception_fp_ieee_overflow 0
		.amdhsa_exception_fp_ieee_underflow 0
		.amdhsa_exception_fp_ieee_inexact 0
		.amdhsa_exception_int_div_zero 0
	.end_amdhsa_kernel
	.section	.text._Z6kernelI14inclusive_scanILN6hipcub18BlockScanAlgorithmE0EEN15benchmark_utils11custom_typeIddEELj256ELj8ELj100EEvPKT0_PS7_S7_,"axG",@progbits,_Z6kernelI14inclusive_scanILN6hipcub18BlockScanAlgorithmE0EEN15benchmark_utils11custom_typeIddEELj256ELj8ELj100EEvPKT0_PS7_S7_,comdat
.Lfunc_end107:
	.size	_Z6kernelI14inclusive_scanILN6hipcub18BlockScanAlgorithmE0EEN15benchmark_utils11custom_typeIddEELj256ELj8ELj100EEvPKT0_PS7_S7_, .Lfunc_end107-_Z6kernelI14inclusive_scanILN6hipcub18BlockScanAlgorithmE0EEN15benchmark_utils11custom_typeIddEELj256ELj8ELj100EEvPKT0_PS7_S7_
                                        ; -- End function
	.section	.AMDGPU.csdata,"",@progbits
; Kernel info:
; codeLenInByte = 1700
; NumSgprs: 22
; NumVgprs: 78
; ScratchSize: 0
; MemoryBound: 0
; FloatMode: 240
; IeeeMode: 1
; LDSByteSize: 128 bytes/workgroup (compile time only)
; SGPRBlocks: 2
; VGPRBlocks: 9
; NumSGPRsForWavesPerEU: 22
; NumVGPRsForWavesPerEU: 78
; Occupancy: 16
; WaveLimiterHint : 0
; COMPUTE_PGM_RSRC2:SCRATCH_EN: 0
; COMPUTE_PGM_RSRC2:USER_SGPR: 15
; COMPUTE_PGM_RSRC2:TRAP_HANDLER: 0
; COMPUTE_PGM_RSRC2:TGID_X_EN: 1
; COMPUTE_PGM_RSRC2:TGID_Y_EN: 0
; COMPUTE_PGM_RSRC2:TGID_Z_EN: 0
; COMPUTE_PGM_RSRC2:TIDIG_COMP_CNT: 0
	.section	.text._Z6kernelI14exclusive_scanILN6hipcub18BlockScanAlgorithmE1EEiLj64ELj1ELj100EEvPKT0_PS4_S4_,"axG",@progbits,_Z6kernelI14exclusive_scanILN6hipcub18BlockScanAlgorithmE1EEiLj64ELj1ELj100EEvPKT0_PS4_S4_,comdat
	.protected	_Z6kernelI14exclusive_scanILN6hipcub18BlockScanAlgorithmE1EEiLj64ELj1ELj100EEvPKT0_PS4_S4_ ; -- Begin function _Z6kernelI14exclusive_scanILN6hipcub18BlockScanAlgorithmE1EEiLj64ELj1ELj100EEvPKT0_PS4_S4_
	.globl	_Z6kernelI14exclusive_scanILN6hipcub18BlockScanAlgorithmE1EEiLj64ELj1ELj100EEvPKT0_PS4_S4_
	.p2align	8
	.type	_Z6kernelI14exclusive_scanILN6hipcub18BlockScanAlgorithmE1EEiLj64ELj1ELj100EEvPKT0_PS4_S4_,@function
_Z6kernelI14exclusive_scanILN6hipcub18BlockScanAlgorithmE1EEiLj64ELj1ELj100EEvPKT0_PS4_S4_: ; @_Z6kernelI14exclusive_scanILN6hipcub18BlockScanAlgorithmE1EEiLj64ELj1ELj100EEvPKT0_PS4_S4_
; %bb.0:
	s_clause 0x2
	s_load_b32 s2, s[0:1], 0x24
	s_load_b128 s[4:7], s[0:1], 0x0
	s_load_b32 s3, s[0:1], 0x10
	v_add_nc_u32_e32 v6, -1, v0
	v_lshrrev_b32_e32 v8, 4, v0
	v_mbcnt_lo_u32_b32 v5, -1, 0
	v_cmp_eq_u32_e64 s0, 0, v0
	v_cmp_ne_u32_e64 s1, 0, v0
	v_lshrrev_b32_e32 v9, 5, v6
	v_lshlrev_b32_e32 v7, 1, v0
	s_delay_alu instid0(VALU_DEP_2) | instskip(SKIP_3) | instid1(SALU_CYCLE_1)
	v_add_lshl_u32 v6, v9, v6, 2
	v_add_nc_u32_e32 v9, -1, v5
	s_waitcnt lgkmcnt(0)
	s_and_b32 s2, s2, 0xffff
	v_mad_u64_u32 v[1:2], null, s15, s2, v[0:1]
	v_mov_b32_e32 v2, 0
	s_delay_alu instid0(VALU_DEP_1) | instskip(NEXT) | instid1(VALU_DEP_1)
	v_lshlrev_b64 v[1:2], 2, v[1:2]
	v_add_co_u32 v3, vcc_lo, s4, v1
	s_delay_alu instid0(VALU_DEP_2) | instskip(SKIP_4) | instid1(VALU_DEP_1)
	v_add_co_ci_u32_e32 v4, vcc_lo, s5, v2, vcc_lo
	v_cmp_gt_u32_e32 vcc_lo, 32, v0
	s_movk_i32 s4, 0x64
	global_load_b32 v3, v[3:4], off
	v_lshrrev_b32_e32 v4, 5, v0
	v_add_lshl_u32 v4, v4, v0, 2
	v_add_lshl_u32 v0, v8, v7, 2
	v_and_b32_e32 v7, 15, v5
	v_bfe_i32 v8, v5, 4, 1
	s_branch .LBB108_2
.LBB108_1:                              ;   in Loop: Header=BB108_2 Depth=1
	s_or_b32 exec_lo, exec_lo, s2
	s_add_i32 s4, s4, -1
	s_delay_alu instid0(SALU_CYCLE_1)
	s_cmp_lg_u32 s4, 0
	s_cbranch_scc0 .LBB108_6
.LBB108_2:                              ; =>This Inner Loop Header: Depth=1
	s_waitcnt vmcnt(0)
	ds_store_b32 v4, v3
	s_waitcnt lgkmcnt(0)
	s_barrier
	buffer_gl0_inv
	s_and_saveexec_b32 s5, vcc_lo
	s_cbranch_execz .LBB108_4
; %bb.3:                                ;   in Loop: Header=BB108_2 Depth=1
	ds_load_2addr_b32 v[10:11], v0 offset1:1
	v_cmp_ne_u32_e64 s2, 0, v7
	s_waitcnt lgkmcnt(0)
	v_add_nc_u32_e32 v12, v11, v10
	s_delay_alu instid0(VALU_DEP_1) | instskip(NEXT) | instid1(VALU_DEP_1)
	v_mov_b32_dpp v13, v12 row_shr:1 row_mask:0xf bank_mask:0xf
	v_cndmask_b32_e64 v13, 0, v13, s2
	v_cmp_lt_u32_e64 s2, 1, v7
	s_delay_alu instid0(VALU_DEP_2) | instskip(NEXT) | instid1(VALU_DEP_1)
	v_add_nc_u32_e32 v12, v13, v12
	v_mov_b32_dpp v13, v12 row_shr:2 row_mask:0xf bank_mask:0xf
	s_delay_alu instid0(VALU_DEP_1) | instskip(SKIP_1) | instid1(VALU_DEP_2)
	v_cndmask_b32_e64 v13, 0, v13, s2
	v_cmp_lt_u32_e64 s2, 3, v7
	v_add_nc_u32_e32 v12, v12, v13
	s_delay_alu instid0(VALU_DEP_1) | instskip(NEXT) | instid1(VALU_DEP_1)
	v_mov_b32_dpp v13, v12 row_shr:4 row_mask:0xf bank_mask:0xf
	v_cndmask_b32_e64 v13, 0, v13, s2
	v_cmp_lt_u32_e64 s2, 7, v7
	s_delay_alu instid0(VALU_DEP_2) | instskip(NEXT) | instid1(VALU_DEP_1)
	v_add_nc_u32_e32 v12, v12, v13
	v_mov_b32_dpp v13, v12 row_shr:8 row_mask:0xf bank_mask:0xf
	s_delay_alu instid0(VALU_DEP_1) | instskip(SKIP_1) | instid1(VALU_DEP_2)
	v_cndmask_b32_e64 v13, 0, v13, s2
	v_cmp_gt_i32_e64 s2, 0, v9
	v_add_nc_u32_e32 v12, v12, v13
	s_delay_alu instid0(VALU_DEP_2) | instskip(SKIP_3) | instid1(VALU_DEP_1)
	v_cndmask_b32_e64 v14, v9, v5, s2
	ds_swizzle_b32 v13, v12 offset:swizzle(BROADCAST,32,15)
	s_waitcnt lgkmcnt(0)
	v_and_b32_e32 v13, v8, v13
	v_add_nc_u32_e32 v12, v12, v13
	v_lshlrev_b32_e32 v13, 2, v14
	ds_bpermute_b32 v12, v13, v12
	s_waitcnt lgkmcnt(0)
	v_add_nc_u32_e32 v10, v12, v10
	s_delay_alu instid0(VALU_DEP_1) | instskip(NEXT) | instid1(VALU_DEP_1)
	v_cndmask_b32_e64 v3, v10, v3, s0
	v_add_nc_u32_e32 v10, v3, v11
	ds_store_2addr_b32 v0, v3, v10 offset1:1
.LBB108_4:                              ;   in Loop: Header=BB108_2 Depth=1
	s_or_b32 exec_lo, exec_lo, s5
	v_mov_b32_e32 v3, s3
	s_waitcnt lgkmcnt(0)
	s_barrier
	buffer_gl0_inv
	s_and_saveexec_b32 s2, s1
	s_cbranch_execz .LBB108_1
; %bb.5:                                ;   in Loop: Header=BB108_2 Depth=1
	ds_load_b32 v3, v6
	s_waitcnt lgkmcnt(0)
	v_add_nc_u32_e32 v3, s3, v3
	s_branch .LBB108_1
.LBB108_6:
	v_add_co_u32 v0, vcc_lo, s6, v1
	v_add_co_ci_u32_e32 v1, vcc_lo, s7, v2, vcc_lo
	global_store_b32 v[0:1], v3, off
	s_nop 0
	s_sendmsg sendmsg(MSG_DEALLOC_VGPRS)
	s_endpgm
	.section	.rodata,"a",@progbits
	.p2align	6, 0x0
	.amdhsa_kernel _Z6kernelI14exclusive_scanILN6hipcub18BlockScanAlgorithmE1EEiLj64ELj1ELj100EEvPKT0_PS4_S4_
		.amdhsa_group_segment_fixed_size 264
		.amdhsa_private_segment_fixed_size 0
		.amdhsa_kernarg_size 280
		.amdhsa_user_sgpr_count 15
		.amdhsa_user_sgpr_dispatch_ptr 0
		.amdhsa_user_sgpr_queue_ptr 0
		.amdhsa_user_sgpr_kernarg_segment_ptr 1
		.amdhsa_user_sgpr_dispatch_id 0
		.amdhsa_user_sgpr_private_segment_size 0
		.amdhsa_wavefront_size32 1
		.amdhsa_uses_dynamic_stack 0
		.amdhsa_enable_private_segment 0
		.amdhsa_system_sgpr_workgroup_id_x 1
		.amdhsa_system_sgpr_workgroup_id_y 0
		.amdhsa_system_sgpr_workgroup_id_z 0
		.amdhsa_system_sgpr_workgroup_info 0
		.amdhsa_system_vgpr_workitem_id 0
		.amdhsa_next_free_vgpr 15
		.amdhsa_next_free_sgpr 16
		.amdhsa_reserve_vcc 1
		.amdhsa_float_round_mode_32 0
		.amdhsa_float_round_mode_16_64 0
		.amdhsa_float_denorm_mode_32 3
		.amdhsa_float_denorm_mode_16_64 3
		.amdhsa_dx10_clamp 1
		.amdhsa_ieee_mode 1
		.amdhsa_fp16_overflow 0
		.amdhsa_workgroup_processor_mode 1
		.amdhsa_memory_ordered 1
		.amdhsa_forward_progress 0
		.amdhsa_shared_vgpr_count 0
		.amdhsa_exception_fp_ieee_invalid_op 0
		.amdhsa_exception_fp_denorm_src 0
		.amdhsa_exception_fp_ieee_div_zero 0
		.amdhsa_exception_fp_ieee_overflow 0
		.amdhsa_exception_fp_ieee_underflow 0
		.amdhsa_exception_fp_ieee_inexact 0
		.amdhsa_exception_int_div_zero 0
	.end_amdhsa_kernel
	.section	.text._Z6kernelI14exclusive_scanILN6hipcub18BlockScanAlgorithmE1EEiLj64ELj1ELj100EEvPKT0_PS4_S4_,"axG",@progbits,_Z6kernelI14exclusive_scanILN6hipcub18BlockScanAlgorithmE1EEiLj64ELj1ELj100EEvPKT0_PS4_S4_,comdat
.Lfunc_end108:
	.size	_Z6kernelI14exclusive_scanILN6hipcub18BlockScanAlgorithmE1EEiLj64ELj1ELj100EEvPKT0_PS4_S4_, .Lfunc_end108-_Z6kernelI14exclusive_scanILN6hipcub18BlockScanAlgorithmE1EEiLj64ELj1ELj100EEvPKT0_PS4_S4_
                                        ; -- End function
	.section	.AMDGPU.csdata,"",@progbits
; Kernel info:
; codeLenInByte = 564
; NumSgprs: 18
; NumVgprs: 15
; ScratchSize: 0
; MemoryBound: 0
; FloatMode: 240
; IeeeMode: 1
; LDSByteSize: 264 bytes/workgroup (compile time only)
; SGPRBlocks: 2
; VGPRBlocks: 1
; NumSGPRsForWavesPerEU: 18
; NumVGPRsForWavesPerEU: 15
; Occupancy: 16
; WaveLimiterHint : 0
; COMPUTE_PGM_RSRC2:SCRATCH_EN: 0
; COMPUTE_PGM_RSRC2:USER_SGPR: 15
; COMPUTE_PGM_RSRC2:TRAP_HANDLER: 0
; COMPUTE_PGM_RSRC2:TGID_X_EN: 1
; COMPUTE_PGM_RSRC2:TGID_Y_EN: 0
; COMPUTE_PGM_RSRC2:TGID_Z_EN: 0
; COMPUTE_PGM_RSRC2:TIDIG_COMP_CNT: 0
	.section	.text._Z6kernelI14exclusive_scanILN6hipcub18BlockScanAlgorithmE1EEiLj64ELj3ELj100EEvPKT0_PS4_S4_,"axG",@progbits,_Z6kernelI14exclusive_scanILN6hipcub18BlockScanAlgorithmE1EEiLj64ELj3ELj100EEvPKT0_PS4_S4_,comdat
	.protected	_Z6kernelI14exclusive_scanILN6hipcub18BlockScanAlgorithmE1EEiLj64ELj3ELj100EEvPKT0_PS4_S4_ ; -- Begin function _Z6kernelI14exclusive_scanILN6hipcub18BlockScanAlgorithmE1EEiLj64ELj3ELj100EEvPKT0_PS4_S4_
	.globl	_Z6kernelI14exclusive_scanILN6hipcub18BlockScanAlgorithmE1EEiLj64ELj3ELj100EEvPKT0_PS4_S4_
	.p2align	8
	.type	_Z6kernelI14exclusive_scanILN6hipcub18BlockScanAlgorithmE1EEiLj64ELj3ELj100EEvPKT0_PS4_S4_,@function
_Z6kernelI14exclusive_scanILN6hipcub18BlockScanAlgorithmE1EEiLj64ELj3ELj100EEvPKT0_PS4_S4_: ; @_Z6kernelI14exclusive_scanILN6hipcub18BlockScanAlgorithmE1EEiLj64ELj3ELj100EEvPKT0_PS4_S4_
; %bb.0:
	s_clause 0x2
	s_load_b32 s2, s[0:1], 0x24
	s_load_b32 s3, s[0:1], 0x10
	s_load_b128 s[4:7], s[0:1], 0x0
	v_lshrrev_b32_e32 v13, 4, v0
	v_cmp_eq_u32_e64 s0, 0, v0
	v_cmp_ne_u32_e64 s1, 0, v0
	s_waitcnt lgkmcnt(0)
	s_and_b32 s2, s2, 0xffff
	s_delay_alu instid0(SALU_CYCLE_1) | instskip(NEXT) | instid1(VALU_DEP_1)
	v_mad_u64_u32 v[1:2], null, s15, s2, v[0:1]
	v_lshl_add_u32 v3, v1, 1, v1
	s_delay_alu instid0(VALU_DEP_1) | instskip(NEXT) | instid1(VALU_DEP_1)
	v_dual_mov_b32 v4, 0 :: v_dual_add_nc_u32 v5, 1, v3
	v_mov_b32_e32 v6, v4
	v_lshlrev_b64 v[1:2], 2, v[3:4]
	v_add_nc_u32_e32 v3, 2, v3
	s_delay_alu instid0(VALU_DEP_3) | instskip(NEXT) | instid1(VALU_DEP_2)
	v_lshlrev_b64 v[5:6], 2, v[5:6]
	v_lshlrev_b64 v[3:4], 2, v[3:4]
	s_delay_alu instid0(VALU_DEP_4) | instskip(SKIP_1) | instid1(VALU_DEP_4)
	v_add_co_u32 v7, vcc_lo, s4, v1
	v_add_co_ci_u32_e32 v8, vcc_lo, s5, v2, vcc_lo
	v_add_co_u32 v9, vcc_lo, s4, v5
	v_add_co_ci_u32_e32 v10, vcc_lo, s5, v6, vcc_lo
	;; [unrolled: 2-line block ×3, first 2 shown]
	s_clause 0x2
	global_load_b32 v7, v[7:8], off
	global_load_b32 v8, v[9:10], off
	;; [unrolled: 1-line block ×3, first 2 shown]
	v_add_nc_u32_e32 v11, -1, v0
	v_lshrrev_b32_e32 v9, 5, v0
	v_lshlrev_b32_e32 v12, 1, v0
	v_mbcnt_lo_u32_b32 v10, -1, 0
	v_cmp_gt_u32_e32 vcc_lo, 32, v0
	v_lshrrev_b32_e32 v14, 5, v11
	v_add_lshl_u32 v9, v9, v0, 2
	v_add_lshl_u32 v0, v13, v12, 2
	v_and_b32_e32 v12, 15, v10
	v_bfe_i32 v13, v10, 4, 1
	v_add_lshl_u32 v11, v14, v11, 2
	v_add_nc_u32_e32 v14, -1, v10
	s_movk_i32 s4, 0x64
.LBB109_1:                              ; =>This Inner Loop Header: Depth=1
	s_waitcnt vmcnt(0)
	s_delay_alu instid0(VALU_DEP_1)
	v_add3_u32 v15, v8, v7, v15
	ds_store_b32 v9, v15
	s_waitcnt lgkmcnt(0)
	s_barrier
	buffer_gl0_inv
	s_and_saveexec_b32 s5, vcc_lo
	s_cbranch_execz .LBB109_3
; %bb.2:                                ;   in Loop: Header=BB109_1 Depth=1
	ds_load_2addr_b32 v[16:17], v0 offset1:1
	v_cmp_ne_u32_e64 s2, 0, v12
	s_waitcnt lgkmcnt(0)
	v_add_nc_u32_e32 v18, v17, v16
	s_delay_alu instid0(VALU_DEP_1) | instskip(NEXT) | instid1(VALU_DEP_1)
	v_mov_b32_dpp v19, v18 row_shr:1 row_mask:0xf bank_mask:0xf
	v_cndmask_b32_e64 v19, 0, v19, s2
	v_cmp_lt_u32_e64 s2, 1, v12
	s_delay_alu instid0(VALU_DEP_2) | instskip(NEXT) | instid1(VALU_DEP_1)
	v_add_nc_u32_e32 v18, v19, v18
	v_mov_b32_dpp v19, v18 row_shr:2 row_mask:0xf bank_mask:0xf
	s_delay_alu instid0(VALU_DEP_1) | instskip(SKIP_1) | instid1(VALU_DEP_2)
	v_cndmask_b32_e64 v19, 0, v19, s2
	v_cmp_lt_u32_e64 s2, 3, v12
	v_add_nc_u32_e32 v18, v18, v19
	s_delay_alu instid0(VALU_DEP_1) | instskip(NEXT) | instid1(VALU_DEP_1)
	v_mov_b32_dpp v19, v18 row_shr:4 row_mask:0xf bank_mask:0xf
	v_cndmask_b32_e64 v19, 0, v19, s2
	v_cmp_lt_u32_e64 s2, 7, v12
	s_delay_alu instid0(VALU_DEP_2) | instskip(NEXT) | instid1(VALU_DEP_1)
	v_add_nc_u32_e32 v18, v18, v19
	v_mov_b32_dpp v19, v18 row_shr:8 row_mask:0xf bank_mask:0xf
	s_delay_alu instid0(VALU_DEP_1) | instskip(SKIP_1) | instid1(VALU_DEP_2)
	v_cndmask_b32_e64 v19, 0, v19, s2
	v_cmp_gt_i32_e64 s2, 0, v14
	v_add_nc_u32_e32 v18, v18, v19
	s_delay_alu instid0(VALU_DEP_2) | instskip(SKIP_3) | instid1(VALU_DEP_1)
	v_cndmask_b32_e64 v20, v14, v10, s2
	ds_swizzle_b32 v19, v18 offset:swizzle(BROADCAST,32,15)
	s_waitcnt lgkmcnt(0)
	v_and_b32_e32 v19, v13, v19
	v_add_nc_u32_e32 v18, v18, v19
	v_lshlrev_b32_e32 v19, 2, v20
	ds_bpermute_b32 v18, v19, v18
	s_waitcnt lgkmcnt(0)
	v_add_nc_u32_e32 v16, v18, v16
	s_delay_alu instid0(VALU_DEP_1) | instskip(NEXT) | instid1(VALU_DEP_1)
	v_cndmask_b32_e64 v15, v16, v15, s0
	v_add_nc_u32_e32 v16, v15, v17
	ds_store_2addr_b32 v0, v15, v16 offset1:1
.LBB109_3:                              ;   in Loop: Header=BB109_1 Depth=1
	s_or_b32 exec_lo, exec_lo, s5
	v_mov_b32_e32 v16, s3
	s_waitcnt lgkmcnt(0)
	s_barrier
	buffer_gl0_inv
	s_and_saveexec_b32 s2, s1
	s_cbranch_execz .LBB109_5
; %bb.4:                                ;   in Loop: Header=BB109_1 Depth=1
	ds_load_b32 v15, v11
	s_waitcnt lgkmcnt(0)
	v_add_nc_u32_e32 v16, s3, v15
.LBB109_5:                              ;   in Loop: Header=BB109_1 Depth=1
	s_or_b32 exec_lo, exec_lo, s2
	s_delay_alu instid0(VALU_DEP_1) | instskip(SKIP_1) | instid1(SALU_CYCLE_1)
	v_add_nc_u32_e32 v17, v16, v7
	s_add_i32 s4, s4, -1
	s_cmp_lg_u32 s4, 0
	s_delay_alu instid0(VALU_DEP_1)
	v_add_nc_u32_e32 v15, v17, v8
	s_cbranch_scc0 .LBB109_7
; %bb.6:                                ;   in Loop: Header=BB109_1 Depth=1
	v_dual_mov_b32 v7, v16 :: v_dual_mov_b32 v8, v17
	s_branch .LBB109_1
.LBB109_7:
	v_add_co_u32 v0, vcc_lo, s6, v1
	v_add_co_ci_u32_e32 v1, vcc_lo, s7, v2, vcc_lo
	v_add_co_u32 v5, vcc_lo, s6, v5
	v_add_co_ci_u32_e32 v6, vcc_lo, s7, v6, vcc_lo
	;; [unrolled: 2-line block ×3, first 2 shown]
	s_clause 0x2
	global_store_b32 v[0:1], v16, off
	global_store_b32 v[5:6], v17, off
	;; [unrolled: 1-line block ×3, first 2 shown]
	s_nop 0
	s_sendmsg sendmsg(MSG_DEALLOC_VGPRS)
	s_endpgm
	.section	.rodata,"a",@progbits
	.p2align	6, 0x0
	.amdhsa_kernel _Z6kernelI14exclusive_scanILN6hipcub18BlockScanAlgorithmE1EEiLj64ELj3ELj100EEvPKT0_PS4_S4_
		.amdhsa_group_segment_fixed_size 264
		.amdhsa_private_segment_fixed_size 0
		.amdhsa_kernarg_size 280
		.amdhsa_user_sgpr_count 15
		.amdhsa_user_sgpr_dispatch_ptr 0
		.amdhsa_user_sgpr_queue_ptr 0
		.amdhsa_user_sgpr_kernarg_segment_ptr 1
		.amdhsa_user_sgpr_dispatch_id 0
		.amdhsa_user_sgpr_private_segment_size 0
		.amdhsa_wavefront_size32 1
		.amdhsa_uses_dynamic_stack 0
		.amdhsa_enable_private_segment 0
		.amdhsa_system_sgpr_workgroup_id_x 1
		.amdhsa_system_sgpr_workgroup_id_y 0
		.amdhsa_system_sgpr_workgroup_id_z 0
		.amdhsa_system_sgpr_workgroup_info 0
		.amdhsa_system_vgpr_workitem_id 0
		.amdhsa_next_free_vgpr 21
		.amdhsa_next_free_sgpr 16
		.amdhsa_reserve_vcc 1
		.amdhsa_float_round_mode_32 0
		.amdhsa_float_round_mode_16_64 0
		.amdhsa_float_denorm_mode_32 3
		.amdhsa_float_denorm_mode_16_64 3
		.amdhsa_dx10_clamp 1
		.amdhsa_ieee_mode 1
		.amdhsa_fp16_overflow 0
		.amdhsa_workgroup_processor_mode 1
		.amdhsa_memory_ordered 1
		.amdhsa_forward_progress 0
		.amdhsa_shared_vgpr_count 0
		.amdhsa_exception_fp_ieee_invalid_op 0
		.amdhsa_exception_fp_denorm_src 0
		.amdhsa_exception_fp_ieee_div_zero 0
		.amdhsa_exception_fp_ieee_overflow 0
		.amdhsa_exception_fp_ieee_underflow 0
		.amdhsa_exception_fp_ieee_inexact 0
		.amdhsa_exception_int_div_zero 0
	.end_amdhsa_kernel
	.section	.text._Z6kernelI14exclusive_scanILN6hipcub18BlockScanAlgorithmE1EEiLj64ELj3ELj100EEvPKT0_PS4_S4_,"axG",@progbits,_Z6kernelI14exclusive_scanILN6hipcub18BlockScanAlgorithmE1EEiLj64ELj3ELj100EEvPKT0_PS4_S4_,comdat
.Lfunc_end109:
	.size	_Z6kernelI14exclusive_scanILN6hipcub18BlockScanAlgorithmE1EEiLj64ELj3ELj100EEvPKT0_PS4_S4_, .Lfunc_end109-_Z6kernelI14exclusive_scanILN6hipcub18BlockScanAlgorithmE1EEiLj64ELj3ELj100EEvPKT0_PS4_S4_
                                        ; -- End function
	.section	.AMDGPU.csdata,"",@progbits
; Kernel info:
; codeLenInByte = 720
; NumSgprs: 18
; NumVgprs: 21
; ScratchSize: 0
; MemoryBound: 0
; FloatMode: 240
; IeeeMode: 1
; LDSByteSize: 264 bytes/workgroup (compile time only)
; SGPRBlocks: 2
; VGPRBlocks: 2
; NumSGPRsForWavesPerEU: 18
; NumVGPRsForWavesPerEU: 21
; Occupancy: 16
; WaveLimiterHint : 0
; COMPUTE_PGM_RSRC2:SCRATCH_EN: 0
; COMPUTE_PGM_RSRC2:USER_SGPR: 15
; COMPUTE_PGM_RSRC2:TRAP_HANDLER: 0
; COMPUTE_PGM_RSRC2:TGID_X_EN: 1
; COMPUTE_PGM_RSRC2:TGID_Y_EN: 0
; COMPUTE_PGM_RSRC2:TGID_Z_EN: 0
; COMPUTE_PGM_RSRC2:TIDIG_COMP_CNT: 0
	.section	.text._Z6kernelI14exclusive_scanILN6hipcub18BlockScanAlgorithmE1EEiLj64ELj4ELj100EEvPKT0_PS4_S4_,"axG",@progbits,_Z6kernelI14exclusive_scanILN6hipcub18BlockScanAlgorithmE1EEiLj64ELj4ELj100EEvPKT0_PS4_S4_,comdat
	.protected	_Z6kernelI14exclusive_scanILN6hipcub18BlockScanAlgorithmE1EEiLj64ELj4ELj100EEvPKT0_PS4_S4_ ; -- Begin function _Z6kernelI14exclusive_scanILN6hipcub18BlockScanAlgorithmE1EEiLj64ELj4ELj100EEvPKT0_PS4_S4_
	.globl	_Z6kernelI14exclusive_scanILN6hipcub18BlockScanAlgorithmE1EEiLj64ELj4ELj100EEvPKT0_PS4_S4_
	.p2align	8
	.type	_Z6kernelI14exclusive_scanILN6hipcub18BlockScanAlgorithmE1EEiLj64ELj4ELj100EEvPKT0_PS4_S4_,@function
_Z6kernelI14exclusive_scanILN6hipcub18BlockScanAlgorithmE1EEiLj64ELj4ELj100EEvPKT0_PS4_S4_: ; @_Z6kernelI14exclusive_scanILN6hipcub18BlockScanAlgorithmE1EEiLj64ELj4ELj100EEvPKT0_PS4_S4_
; %bb.0:
	s_clause 0x1
	s_load_b32 s2, s[0:1], 0x24
	s_load_b128 s[4:7], s[0:1], 0x0
	v_mov_b32_e32 v2, 0
	v_lshrrev_b32_e32 v5, 5, v0
	s_load_b32 s3, s[0:1], 0x10
	v_add_nc_u32_e32 v6, -1, v0
	v_lshrrev_b32_e32 v7, 4, v0
	v_mbcnt_lo_u32_b32 v11, -1, 0
	v_add_lshl_u32 v10, v5, v0, 2
	v_lshlrev_b32_e32 v5, 1, v0
	v_lshrrev_b32_e32 v12, 5, v6
	v_cmp_eq_u32_e64 s0, 0, v0
	v_cmp_ne_u32_e64 s1, 0, v0
	v_and_b32_e32 v13, 15, v11
	v_bfe_i32 v14, v11, 4, 1
	v_add_lshl_u32 v12, v12, v6, 2
	v_add_nc_u32_e32 v15, -1, v11
	s_waitcnt lgkmcnt(0)
	s_and_b32 s2, s2, 0xffff
	s_delay_alu instid0(SALU_CYCLE_1) | instskip(NEXT) | instid1(SALU_CYCLE_1)
	s_mul_i32 s15, s15, s2
	v_add_lshl_u32 v1, s15, v0, 2
	s_delay_alu instid0(VALU_DEP_1) | instskip(NEXT) | instid1(VALU_DEP_1)
	v_lshlrev_b64 v[8:9], 2, v[1:2]
	v_add_co_u32 v1, vcc_lo, s4, v8
	s_delay_alu instid0(VALU_DEP_2)
	v_add_co_ci_u32_e32 v2, vcc_lo, s5, v9, vcc_lo
	v_cmp_gt_u32_e32 vcc_lo, 32, v0
	v_add_lshl_u32 v0, v7, v5, 2
	s_movk_i32 s4, 0x64
	global_load_b128 v[1:4], v[1:2], off
.LBB110_1:                              ; =>This Inner Loop Header: Depth=1
	s_waitcnt vmcnt(0)
	s_delay_alu instid0(VALU_DEP_2) | instskip(NEXT) | instid1(VALU_DEP_1)
	v_add_nc_u32_e32 v5, v2, v1
	v_add3_u32 v4, v5, v3, v4
	ds_store_b32 v10, v4
	s_waitcnt lgkmcnt(0)
	s_barrier
	buffer_gl0_inv
	s_and_saveexec_b32 s5, vcc_lo
	s_cbranch_execz .LBB110_3
; %bb.2:                                ;   in Loop: Header=BB110_1 Depth=1
	ds_load_2addr_b32 v[5:6], v0 offset1:1
	v_cmp_ne_u32_e64 s2, 0, v13
	s_waitcnt lgkmcnt(0)
	v_add_nc_u32_e32 v7, v6, v5
	s_delay_alu instid0(VALU_DEP_1) | instskip(NEXT) | instid1(VALU_DEP_1)
	v_mov_b32_dpp v16, v7 row_shr:1 row_mask:0xf bank_mask:0xf
	v_cndmask_b32_e64 v16, 0, v16, s2
	v_cmp_lt_u32_e64 s2, 1, v13
	s_delay_alu instid0(VALU_DEP_2) | instskip(NEXT) | instid1(VALU_DEP_1)
	v_add_nc_u32_e32 v7, v16, v7
	v_mov_b32_dpp v16, v7 row_shr:2 row_mask:0xf bank_mask:0xf
	s_delay_alu instid0(VALU_DEP_1) | instskip(SKIP_1) | instid1(VALU_DEP_2)
	v_cndmask_b32_e64 v16, 0, v16, s2
	v_cmp_lt_u32_e64 s2, 3, v13
	v_add_nc_u32_e32 v7, v7, v16
	s_delay_alu instid0(VALU_DEP_1) | instskip(NEXT) | instid1(VALU_DEP_1)
	v_mov_b32_dpp v16, v7 row_shr:4 row_mask:0xf bank_mask:0xf
	v_cndmask_b32_e64 v16, 0, v16, s2
	v_cmp_lt_u32_e64 s2, 7, v13
	s_delay_alu instid0(VALU_DEP_2) | instskip(NEXT) | instid1(VALU_DEP_1)
	v_add_nc_u32_e32 v7, v7, v16
	v_mov_b32_dpp v16, v7 row_shr:8 row_mask:0xf bank_mask:0xf
	s_delay_alu instid0(VALU_DEP_1) | instskip(SKIP_1) | instid1(VALU_DEP_2)
	v_cndmask_b32_e64 v16, 0, v16, s2
	v_cmp_gt_i32_e64 s2, 0, v15
	v_add_nc_u32_e32 v7, v7, v16
	s_delay_alu instid0(VALU_DEP_2) | instskip(SKIP_3) | instid1(VALU_DEP_1)
	v_cndmask_b32_e64 v17, v15, v11, s2
	ds_swizzle_b32 v16, v7 offset:swizzle(BROADCAST,32,15)
	s_waitcnt lgkmcnt(0)
	v_and_b32_e32 v16, v14, v16
	v_add_nc_u32_e32 v7, v7, v16
	v_lshlrev_b32_e32 v16, 2, v17
	ds_bpermute_b32 v7, v16, v7
	s_waitcnt lgkmcnt(0)
	v_add_nc_u32_e32 v5, v7, v5
	s_delay_alu instid0(VALU_DEP_1) | instskip(NEXT) | instid1(VALU_DEP_1)
	v_cndmask_b32_e64 v4, v5, v4, s0
	v_add_nc_u32_e32 v5, v4, v6
	ds_store_2addr_b32 v0, v4, v5 offset1:1
.LBB110_3:                              ;   in Loop: Header=BB110_1 Depth=1
	s_or_b32 exec_lo, exec_lo, s5
	v_mov_b32_e32 v5, s3
	s_waitcnt lgkmcnt(0)
	s_barrier
	buffer_gl0_inv
	s_and_saveexec_b32 s2, s1
	s_cbranch_execz .LBB110_5
; %bb.4:                                ;   in Loop: Header=BB110_1 Depth=1
	ds_load_b32 v4, v12
	s_waitcnt lgkmcnt(0)
	v_add_nc_u32_e32 v5, s3, v4
.LBB110_5:                              ;   in Loop: Header=BB110_1 Depth=1
	s_or_b32 exec_lo, exec_lo, s2
	s_delay_alu instid0(VALU_DEP_1) | instskip(SKIP_1) | instid1(SALU_CYCLE_1)
	v_add_nc_u32_e32 v6, v5, v1
	s_add_i32 s4, s4, -1
	s_cmp_lg_u32 s4, 0
	s_delay_alu instid0(VALU_DEP_1) | instskip(NEXT) | instid1(VALU_DEP_1)
	v_add_nc_u32_e32 v7, v6, v2
	v_add_nc_u32_e32 v4, v7, v3
	s_cbranch_scc0 .LBB110_7
; %bb.6:                                ;   in Loop: Header=BB110_1 Depth=1
	v_dual_mov_b32 v1, v5 :: v_dual_mov_b32 v2, v6
	v_mov_b32_e32 v3, v7
	s_branch .LBB110_1
.LBB110_7:
	v_add_co_u32 v0, vcc_lo, s6, v8
	v_add_co_ci_u32_e32 v1, vcc_lo, s7, v9, vcc_lo
	s_delay_alu instid0(VALU_DEP_3)
	v_mov_b32_e32 v8, v4
	global_store_b128 v[0:1], v[5:8], off
	s_nop 0
	s_sendmsg sendmsg(MSG_DEALLOC_VGPRS)
	s_endpgm
	.section	.rodata,"a",@progbits
	.p2align	6, 0x0
	.amdhsa_kernel _Z6kernelI14exclusive_scanILN6hipcub18BlockScanAlgorithmE1EEiLj64ELj4ELj100EEvPKT0_PS4_S4_
		.amdhsa_group_segment_fixed_size 264
		.amdhsa_private_segment_fixed_size 0
		.amdhsa_kernarg_size 280
		.amdhsa_user_sgpr_count 15
		.amdhsa_user_sgpr_dispatch_ptr 0
		.amdhsa_user_sgpr_queue_ptr 0
		.amdhsa_user_sgpr_kernarg_segment_ptr 1
		.amdhsa_user_sgpr_dispatch_id 0
		.amdhsa_user_sgpr_private_segment_size 0
		.amdhsa_wavefront_size32 1
		.amdhsa_uses_dynamic_stack 0
		.amdhsa_enable_private_segment 0
		.amdhsa_system_sgpr_workgroup_id_x 1
		.amdhsa_system_sgpr_workgroup_id_y 0
		.amdhsa_system_sgpr_workgroup_id_z 0
		.amdhsa_system_sgpr_workgroup_info 0
		.amdhsa_system_vgpr_workitem_id 0
		.amdhsa_next_free_vgpr 18
		.amdhsa_next_free_sgpr 16
		.amdhsa_reserve_vcc 1
		.amdhsa_float_round_mode_32 0
		.amdhsa_float_round_mode_16_64 0
		.amdhsa_float_denorm_mode_32 3
		.amdhsa_float_denorm_mode_16_64 3
		.amdhsa_dx10_clamp 1
		.amdhsa_ieee_mode 1
		.amdhsa_fp16_overflow 0
		.amdhsa_workgroup_processor_mode 1
		.amdhsa_memory_ordered 1
		.amdhsa_forward_progress 0
		.amdhsa_shared_vgpr_count 0
		.amdhsa_exception_fp_ieee_invalid_op 0
		.amdhsa_exception_fp_denorm_src 0
		.amdhsa_exception_fp_ieee_div_zero 0
		.amdhsa_exception_fp_ieee_overflow 0
		.amdhsa_exception_fp_ieee_underflow 0
		.amdhsa_exception_fp_ieee_inexact 0
		.amdhsa_exception_int_div_zero 0
	.end_amdhsa_kernel
	.section	.text._Z6kernelI14exclusive_scanILN6hipcub18BlockScanAlgorithmE1EEiLj64ELj4ELj100EEvPKT0_PS4_S4_,"axG",@progbits,_Z6kernelI14exclusive_scanILN6hipcub18BlockScanAlgorithmE1EEiLj64ELj4ELj100EEvPKT0_PS4_S4_,comdat
.Lfunc_end110:
	.size	_Z6kernelI14exclusive_scanILN6hipcub18BlockScanAlgorithmE1EEiLj64ELj4ELj100EEvPKT0_PS4_S4_, .Lfunc_end110-_Z6kernelI14exclusive_scanILN6hipcub18BlockScanAlgorithmE1EEiLj64ELj4ELj100EEvPKT0_PS4_S4_
                                        ; -- End function
	.section	.AMDGPU.csdata,"",@progbits
; Kernel info:
; codeLenInByte = 616
; NumSgprs: 18
; NumVgprs: 18
; ScratchSize: 0
; MemoryBound: 0
; FloatMode: 240
; IeeeMode: 1
; LDSByteSize: 264 bytes/workgroup (compile time only)
; SGPRBlocks: 2
; VGPRBlocks: 2
; NumSGPRsForWavesPerEU: 18
; NumVGPRsForWavesPerEU: 18
; Occupancy: 16
; WaveLimiterHint : 0
; COMPUTE_PGM_RSRC2:SCRATCH_EN: 0
; COMPUTE_PGM_RSRC2:USER_SGPR: 15
; COMPUTE_PGM_RSRC2:TRAP_HANDLER: 0
; COMPUTE_PGM_RSRC2:TGID_X_EN: 1
; COMPUTE_PGM_RSRC2:TGID_Y_EN: 0
; COMPUTE_PGM_RSRC2:TGID_Z_EN: 0
; COMPUTE_PGM_RSRC2:TIDIG_COMP_CNT: 0
	.section	.text._Z6kernelI14exclusive_scanILN6hipcub18BlockScanAlgorithmE1EEiLj64ELj8ELj100EEvPKT0_PS4_S4_,"axG",@progbits,_Z6kernelI14exclusive_scanILN6hipcub18BlockScanAlgorithmE1EEiLj64ELj8ELj100EEvPKT0_PS4_S4_,comdat
	.protected	_Z6kernelI14exclusive_scanILN6hipcub18BlockScanAlgorithmE1EEiLj64ELj8ELj100EEvPKT0_PS4_S4_ ; -- Begin function _Z6kernelI14exclusive_scanILN6hipcub18BlockScanAlgorithmE1EEiLj64ELj8ELj100EEvPKT0_PS4_S4_
	.globl	_Z6kernelI14exclusive_scanILN6hipcub18BlockScanAlgorithmE1EEiLj64ELj8ELj100EEvPKT0_PS4_S4_
	.p2align	8
	.type	_Z6kernelI14exclusive_scanILN6hipcub18BlockScanAlgorithmE1EEiLj64ELj8ELj100EEvPKT0_PS4_S4_,@function
_Z6kernelI14exclusive_scanILN6hipcub18BlockScanAlgorithmE1EEiLj64ELj8ELj100EEvPKT0_PS4_S4_: ; @_Z6kernelI14exclusive_scanILN6hipcub18BlockScanAlgorithmE1EEiLj64ELj8ELj100EEvPKT0_PS4_S4_
; %bb.0:
	s_clause 0x1
	s_load_b32 s2, s[0:1], 0x24
	s_load_b128 s[4:7], s[0:1], 0x0
	v_mov_b32_e32 v2, 0
	v_lshrrev_b32_e32 v9, 5, v0
	s_load_b32 s3, s[0:1], 0x10
	v_add_nc_u32_e32 v10, -1, v0
	v_lshrrev_b32_e32 v11, 4, v0
	v_mbcnt_lo_u32_b32 v19, -1, 0
	v_add_lshl_u32 v18, v9, v0, 2
	v_lshlrev_b32_e32 v9, 1, v0
	v_lshrrev_b32_e32 v12, 5, v10
	v_cmp_eq_u32_e64 s0, 0, v0
	v_cmp_ne_u32_e64 s1, 0, v0
	v_and_b32_e32 v21, 15, v19
	v_bfe_i32 v22, v19, 4, 1
	v_add_lshl_u32 v20, v12, v10, 2
	v_add_nc_u32_e32 v23, -1, v19
	s_waitcnt lgkmcnt(0)
	s_and_b32 s2, s2, 0xffff
	s_delay_alu instid0(SALU_CYCLE_1) | instskip(NEXT) | instid1(SALU_CYCLE_1)
	s_mul_i32 s15, s15, s2
	v_add_lshl_u32 v1, s15, v0, 3
	s_delay_alu instid0(VALU_DEP_1) | instskip(NEXT) | instid1(VALU_DEP_1)
	v_lshlrev_b64 v[16:17], 2, v[1:2]
	v_add_co_u32 v1, vcc_lo, s4, v16
	s_delay_alu instid0(VALU_DEP_2)
	v_add_co_ci_u32_e32 v2, vcc_lo, s5, v17, vcc_lo
	v_cmp_gt_u32_e32 vcc_lo, 32, v0
	v_add_lshl_u32 v0, v11, v9, 2
	s_movk_i32 s4, 0x64
	s_clause 0x1
	global_load_b128 v[5:8], v[1:2], off
	global_load_b128 v[1:4], v[1:2], off offset:16
.LBB111_1:                              ; =>This Inner Loop Header: Depth=1
	s_waitcnt vmcnt(1)
	v_add_nc_u32_e32 v9, v6, v5
	s_delay_alu instid0(VALU_DEP_1) | instskip(SKIP_1) | instid1(VALU_DEP_1)
	v_add3_u32 v9, v9, v7, v8
	s_waitcnt vmcnt(0)
	v_add3_u32 v9, v9, v1, v2
	s_delay_alu instid0(VALU_DEP_1)
	v_add3_u32 v4, v9, v3, v4
	ds_store_b32 v18, v4
	s_waitcnt lgkmcnt(0)
	s_barrier
	buffer_gl0_inv
	s_and_saveexec_b32 s5, vcc_lo
	s_cbranch_execz .LBB111_3
; %bb.2:                                ;   in Loop: Header=BB111_1 Depth=1
	ds_load_2addr_b32 v[9:10], v0 offset1:1
	v_cmp_ne_u32_e64 s2, 0, v21
	s_waitcnt lgkmcnt(0)
	v_add_nc_u32_e32 v11, v10, v9
	s_delay_alu instid0(VALU_DEP_1) | instskip(NEXT) | instid1(VALU_DEP_1)
	v_mov_b32_dpp v12, v11 row_shr:1 row_mask:0xf bank_mask:0xf
	v_cndmask_b32_e64 v12, 0, v12, s2
	v_cmp_lt_u32_e64 s2, 1, v21
	s_delay_alu instid0(VALU_DEP_2) | instskip(NEXT) | instid1(VALU_DEP_1)
	v_add_nc_u32_e32 v11, v12, v11
	v_mov_b32_dpp v12, v11 row_shr:2 row_mask:0xf bank_mask:0xf
	s_delay_alu instid0(VALU_DEP_1) | instskip(SKIP_1) | instid1(VALU_DEP_2)
	v_cndmask_b32_e64 v12, 0, v12, s2
	v_cmp_lt_u32_e64 s2, 3, v21
	v_add_nc_u32_e32 v11, v11, v12
	s_delay_alu instid0(VALU_DEP_1) | instskip(NEXT) | instid1(VALU_DEP_1)
	v_mov_b32_dpp v12, v11 row_shr:4 row_mask:0xf bank_mask:0xf
	v_cndmask_b32_e64 v12, 0, v12, s2
	v_cmp_lt_u32_e64 s2, 7, v21
	s_delay_alu instid0(VALU_DEP_2) | instskip(NEXT) | instid1(VALU_DEP_1)
	v_add_nc_u32_e32 v11, v11, v12
	v_mov_b32_dpp v12, v11 row_shr:8 row_mask:0xf bank_mask:0xf
	s_delay_alu instid0(VALU_DEP_1) | instskip(SKIP_1) | instid1(VALU_DEP_2)
	v_cndmask_b32_e64 v12, 0, v12, s2
	v_cmp_gt_i32_e64 s2, 0, v23
	v_add_nc_u32_e32 v11, v11, v12
	s_delay_alu instid0(VALU_DEP_2) | instskip(SKIP_3) | instid1(VALU_DEP_1)
	v_cndmask_b32_e64 v13, v23, v19, s2
	ds_swizzle_b32 v12, v11 offset:swizzle(BROADCAST,32,15)
	s_waitcnt lgkmcnt(0)
	v_and_b32_e32 v12, v22, v12
	v_add_nc_u32_e32 v11, v11, v12
	v_lshlrev_b32_e32 v12, 2, v13
	ds_bpermute_b32 v11, v12, v11
	s_waitcnt lgkmcnt(0)
	v_add_nc_u32_e32 v9, v11, v9
	s_delay_alu instid0(VALU_DEP_1) | instskip(NEXT) | instid1(VALU_DEP_1)
	v_cndmask_b32_e64 v4, v9, v4, s0
	v_add_nc_u32_e32 v9, v4, v10
	ds_store_2addr_b32 v0, v4, v9 offset1:1
.LBB111_3:                              ;   in Loop: Header=BB111_1 Depth=1
	s_or_b32 exec_lo, exec_lo, s5
	v_mov_b32_e32 v9, s3
	s_waitcnt lgkmcnt(0)
	s_barrier
	buffer_gl0_inv
	s_and_saveexec_b32 s2, s1
	s_cbranch_execz .LBB111_5
; %bb.4:                                ;   in Loop: Header=BB111_1 Depth=1
	ds_load_b32 v4, v20
	s_waitcnt lgkmcnt(0)
	v_add_nc_u32_e32 v9, s3, v4
.LBB111_5:                              ;   in Loop: Header=BB111_1 Depth=1
	s_or_b32 exec_lo, exec_lo, s2
	s_delay_alu instid0(VALU_DEP_1) | instskip(SKIP_1) | instid1(SALU_CYCLE_1)
	v_add_nc_u32_e32 v10, v9, v5
	s_add_i32 s4, s4, -1
	s_cmp_lg_u32 s4, 0
	s_delay_alu instid0(VALU_DEP_1) | instskip(NEXT) | instid1(VALU_DEP_1)
	v_add_nc_u32_e32 v11, v10, v6
	v_add_nc_u32_e32 v12, v11, v7
	s_delay_alu instid0(VALU_DEP_1) | instskip(NEXT) | instid1(VALU_DEP_1)
	v_add_nc_u32_e32 v13, v12, v8
	v_add_nc_u32_e32 v14, v13, v1
	;; [unrolled: 3-line block ×3, first 2 shown]
	s_cbranch_scc0 .LBB111_7
; %bb.6:                                ;   in Loop: Header=BB111_1 Depth=1
	v_dual_mov_b32 v5, v9 :: v_dual_mov_b32 v6, v10
	v_dual_mov_b32 v7, v11 :: v_dual_mov_b32 v8, v12
	;; [unrolled: 1-line block ×3, first 2 shown]
	v_mov_b32_e32 v3, v15
	s_branch .LBB111_1
.LBB111_7:
	v_add_co_u32 v0, vcc_lo, s6, v16
	v_add_co_ci_u32_e32 v1, vcc_lo, s7, v17, vcc_lo
	s_delay_alu instid0(VALU_DEP_3)
	v_mov_b32_e32 v16, v4
	s_clause 0x1
	global_store_b128 v[0:1], v[9:12], off
	global_store_b128 v[0:1], v[13:16], off offset:16
	s_nop 0
	s_sendmsg sendmsg(MSG_DEALLOC_VGPRS)
	s_endpgm
	.section	.rodata,"a",@progbits
	.p2align	6, 0x0
	.amdhsa_kernel _Z6kernelI14exclusive_scanILN6hipcub18BlockScanAlgorithmE1EEiLj64ELj8ELj100EEvPKT0_PS4_S4_
		.amdhsa_group_segment_fixed_size 264
		.amdhsa_private_segment_fixed_size 0
		.amdhsa_kernarg_size 280
		.amdhsa_user_sgpr_count 15
		.amdhsa_user_sgpr_dispatch_ptr 0
		.amdhsa_user_sgpr_queue_ptr 0
		.amdhsa_user_sgpr_kernarg_segment_ptr 1
		.amdhsa_user_sgpr_dispatch_id 0
		.amdhsa_user_sgpr_private_segment_size 0
		.amdhsa_wavefront_size32 1
		.amdhsa_uses_dynamic_stack 0
		.amdhsa_enable_private_segment 0
		.amdhsa_system_sgpr_workgroup_id_x 1
		.amdhsa_system_sgpr_workgroup_id_y 0
		.amdhsa_system_sgpr_workgroup_id_z 0
		.amdhsa_system_sgpr_workgroup_info 0
		.amdhsa_system_vgpr_workitem_id 0
		.amdhsa_next_free_vgpr 24
		.amdhsa_next_free_sgpr 16
		.amdhsa_reserve_vcc 1
		.amdhsa_float_round_mode_32 0
		.amdhsa_float_round_mode_16_64 0
		.amdhsa_float_denorm_mode_32 3
		.amdhsa_float_denorm_mode_16_64 3
		.amdhsa_dx10_clamp 1
		.amdhsa_ieee_mode 1
		.amdhsa_fp16_overflow 0
		.amdhsa_workgroup_processor_mode 1
		.amdhsa_memory_ordered 1
		.amdhsa_forward_progress 0
		.amdhsa_shared_vgpr_count 0
		.amdhsa_exception_fp_ieee_invalid_op 0
		.amdhsa_exception_fp_denorm_src 0
		.amdhsa_exception_fp_ieee_div_zero 0
		.amdhsa_exception_fp_ieee_overflow 0
		.amdhsa_exception_fp_ieee_underflow 0
		.amdhsa_exception_fp_ieee_inexact 0
		.amdhsa_exception_int_div_zero 0
	.end_amdhsa_kernel
	.section	.text._Z6kernelI14exclusive_scanILN6hipcub18BlockScanAlgorithmE1EEiLj64ELj8ELj100EEvPKT0_PS4_S4_,"axG",@progbits,_Z6kernelI14exclusive_scanILN6hipcub18BlockScanAlgorithmE1EEiLj64ELj8ELj100EEvPKT0_PS4_S4_,comdat
.Lfunc_end111:
	.size	_Z6kernelI14exclusive_scanILN6hipcub18BlockScanAlgorithmE1EEiLj64ELj8ELj100EEvPKT0_PS4_S4_, .Lfunc_end111-_Z6kernelI14exclusive_scanILN6hipcub18BlockScanAlgorithmE1EEiLj64ELj8ELj100EEvPKT0_PS4_S4_
                                        ; -- End function
	.section	.AMDGPU.csdata,"",@progbits
; Kernel info:
; codeLenInByte = 704
; NumSgprs: 18
; NumVgprs: 24
; ScratchSize: 0
; MemoryBound: 0
; FloatMode: 240
; IeeeMode: 1
; LDSByteSize: 264 bytes/workgroup (compile time only)
; SGPRBlocks: 2
; VGPRBlocks: 2
; NumSGPRsForWavesPerEU: 18
; NumVGPRsForWavesPerEU: 24
; Occupancy: 16
; WaveLimiterHint : 0
; COMPUTE_PGM_RSRC2:SCRATCH_EN: 0
; COMPUTE_PGM_RSRC2:USER_SGPR: 15
; COMPUTE_PGM_RSRC2:TRAP_HANDLER: 0
; COMPUTE_PGM_RSRC2:TGID_X_EN: 1
; COMPUTE_PGM_RSRC2:TGID_Y_EN: 0
; COMPUTE_PGM_RSRC2:TGID_Z_EN: 0
; COMPUTE_PGM_RSRC2:TIDIG_COMP_CNT: 0
	.section	.text._Z6kernelI14exclusive_scanILN6hipcub18BlockScanAlgorithmE1EEiLj64ELj11ELj100EEvPKT0_PS4_S4_,"axG",@progbits,_Z6kernelI14exclusive_scanILN6hipcub18BlockScanAlgorithmE1EEiLj64ELj11ELj100EEvPKT0_PS4_S4_,comdat
	.protected	_Z6kernelI14exclusive_scanILN6hipcub18BlockScanAlgorithmE1EEiLj64ELj11ELj100EEvPKT0_PS4_S4_ ; -- Begin function _Z6kernelI14exclusive_scanILN6hipcub18BlockScanAlgorithmE1EEiLj64ELj11ELj100EEvPKT0_PS4_S4_
	.globl	_Z6kernelI14exclusive_scanILN6hipcub18BlockScanAlgorithmE1EEiLj64ELj11ELj100EEvPKT0_PS4_S4_
	.p2align	8
	.type	_Z6kernelI14exclusive_scanILN6hipcub18BlockScanAlgorithmE1EEiLj64ELj11ELj100EEvPKT0_PS4_S4_,@function
_Z6kernelI14exclusive_scanILN6hipcub18BlockScanAlgorithmE1EEiLj64ELj11ELj100EEvPKT0_PS4_S4_: ; @_Z6kernelI14exclusive_scanILN6hipcub18BlockScanAlgorithmE1EEiLj64ELj11ELj100EEvPKT0_PS4_S4_
; %bb.0:
	s_clause 0x2
	s_load_b32 s2, s[0:1], 0x24
	s_load_b128 s[4:7], s[0:1], 0x0
	s_load_b32 s3, s[0:1], 0x10
	v_cmp_eq_u32_e64 s0, 0, v0
	v_cmp_ne_u32_e64 s1, 0, v0
	s_waitcnt lgkmcnt(0)
	s_and_b32 s2, s2, 0xffff
	s_delay_alu instid0(SALU_CYCLE_1) | instskip(NEXT) | instid1(VALU_DEP_1)
	v_mad_u64_u32 v[1:2], null, s15, s2, v[0:1]
	v_mul_lo_u32 v21, v1, 11
	s_delay_alu instid0(VALU_DEP_1) | instskip(NEXT) | instid1(VALU_DEP_1)
	v_dual_mov_b32 v22, 0 :: v_dual_add_nc_u32 v1, 1, v21
	v_dual_mov_b32 v2, v22 :: v_dual_add_nc_u32 v3, 2, v21
	v_lshlrev_b64 v[15:16], 2, v[21:22]
	v_dual_mov_b32 v4, v22 :: v_dual_add_nc_u32 v5, 3, v21
	s_delay_alu instid0(VALU_DEP_3) | instskip(SKIP_1) | instid1(VALU_DEP_3)
	v_lshlrev_b64 v[17:18], 2, v[1:2]
	v_dual_mov_b32 v6, v22 :: v_dual_add_nc_u32 v7, 4, v21
	v_lshlrev_b64 v[13:14], 2, v[3:4]
	v_add_co_u32 v25, vcc_lo, s4, v15
	v_dual_mov_b32 v8, v22 :: v_dual_add_nc_u32 v11, 5, v21
	v_add_co_ci_u32_e32 v26, vcc_lo, s5, v16, vcc_lo
	v_lshlrev_b64 v[9:10], 2, v[5:6]
	v_add_co_u32 v27, vcc_lo, s4, v17
	v_dual_mov_b32 v12, v22 :: v_dual_add_nc_u32 v19, 6, v21
	v_add_co_ci_u32_e32 v28, vcc_lo, s5, v18, vcc_lo
	;; [unrolled: 4-line block ×4, first 2 shown]
	v_lshlrev_b64 v[1:2], 2, v[19:20]
	v_add_co_u32 v37, vcc_lo, s4, v5
	v_add_co_ci_u32_e32 v38, vcc_lo, s5, v6, vcc_lo
	v_add_co_u32 v39, vcc_lo, s4, v3
	v_lshlrev_b64 v[7:8], 2, v[23:24]
	v_add_nc_u32_e32 v19, 9, v21
	v_add_co_ci_u32_e32 v40, vcc_lo, s5, v4, vcc_lo
	v_add_co_u32 v23, vcc_lo, s4, v1
	v_lshlrev_b64 v[11:12], 2, v[11:12]
	v_add_nc_u32_e32 v21, 10, v21
	v_add_co_ci_u32_e32 v24, vcc_lo, s5, v2, vcc_lo
	v_add_co_u32 v41, vcc_lo, s4, v7
	v_lshlrev_b64 v[19:20], 2, v[19:20]
	v_add_co_ci_u32_e32 v42, vcc_lo, s5, v8, vcc_lo
	v_add_co_u32 v43, vcc_lo, s4, v11
	v_lshlrev_b64 v[21:22], 2, v[21:22]
	v_add_co_ci_u32_e32 v44, vcc_lo, s5, v12, vcc_lo
	v_add_co_u32 v45, vcc_lo, s4, v19
	v_add_co_ci_u32_e32 v46, vcc_lo, s5, v20, vcc_lo
	s_delay_alu instid0(VALU_DEP_4)
	v_add_co_u32 v47, vcc_lo, s4, v21
	v_add_co_ci_u32_e32 v48, vcc_lo, s5, v22, vcc_lo
	s_clause 0xa
	global_load_b32 v34, v[25:26], off
	global_load_b32 v33, v[27:28], off
	;; [unrolled: 1-line block ×11, first 2 shown]
	v_add_nc_u32_e32 v36, -1, v0
	v_lshrrev_b32_e32 v29, 5, v0
	v_lshlrev_b32_e32 v37, 1, v0
	v_lshrrev_b32_e32 v38, 4, v0
	v_mbcnt_lo_u32_b32 v35, -1, 0
	v_lshrrev_b32_e32 v39, 5, v36
	v_add_lshl_u32 v29, v29, v0, 2
	v_cmp_gt_u32_e32 vcc_lo, 32, v0
	v_add_lshl_u32 v0, v38, v37, 2
	v_and_b32_e32 v37, 15, v35
	v_add_lshl_u32 v36, v39, v36, 2
	v_bfe_i32 v38, v35, 4, 1
	v_add_nc_u32_e32 v39, -1, v35
	s_movk_i32 s4, 0x64
.LBB112_1:                              ; =>This Inner Loop Header: Depth=1
	s_waitcnt vmcnt(0)
	v_add3_u32 v32, v23, v32, v24
	s_delay_alu instid0(VALU_DEP_1) | instskip(NEXT) | instid1(VALU_DEP_1)
	v_add3_u32 v32, v32, v25, v26
	v_add3_u32 v32, v32, v27, v28
	s_delay_alu instid0(VALU_DEP_1) | instskip(NEXT) | instid1(VALU_DEP_1)
	v_add3_u32 v32, v32, v30, v31
	v_add3_u32 v32, v32, v33, v34
	ds_store_b32 v29, v32
	s_waitcnt lgkmcnt(0)
	s_barrier
	buffer_gl0_inv
	s_and_saveexec_b32 s5, vcc_lo
	s_cbranch_execz .LBB112_3
; %bb.2:                                ;   in Loop: Header=BB112_1 Depth=1
	ds_load_2addr_b32 v[40:41], v0 offset1:1
	v_cmp_ne_u32_e64 s2, 0, v37
	s_waitcnt lgkmcnt(0)
	v_add_nc_u32_e32 v42, v41, v40
	s_delay_alu instid0(VALU_DEP_1) | instskip(NEXT) | instid1(VALU_DEP_1)
	v_mov_b32_dpp v43, v42 row_shr:1 row_mask:0xf bank_mask:0xf
	v_cndmask_b32_e64 v43, 0, v43, s2
	v_cmp_lt_u32_e64 s2, 1, v37
	s_delay_alu instid0(VALU_DEP_2) | instskip(NEXT) | instid1(VALU_DEP_1)
	v_add_nc_u32_e32 v42, v43, v42
	v_mov_b32_dpp v43, v42 row_shr:2 row_mask:0xf bank_mask:0xf
	s_delay_alu instid0(VALU_DEP_1) | instskip(SKIP_1) | instid1(VALU_DEP_2)
	v_cndmask_b32_e64 v43, 0, v43, s2
	v_cmp_lt_u32_e64 s2, 3, v37
	v_add_nc_u32_e32 v42, v42, v43
	s_delay_alu instid0(VALU_DEP_1) | instskip(NEXT) | instid1(VALU_DEP_1)
	v_mov_b32_dpp v43, v42 row_shr:4 row_mask:0xf bank_mask:0xf
	v_cndmask_b32_e64 v43, 0, v43, s2
	v_cmp_lt_u32_e64 s2, 7, v37
	s_delay_alu instid0(VALU_DEP_2) | instskip(NEXT) | instid1(VALU_DEP_1)
	v_add_nc_u32_e32 v42, v42, v43
	v_mov_b32_dpp v43, v42 row_shr:8 row_mask:0xf bank_mask:0xf
	s_delay_alu instid0(VALU_DEP_1) | instskip(SKIP_1) | instid1(VALU_DEP_2)
	v_cndmask_b32_e64 v43, 0, v43, s2
	v_cmp_gt_i32_e64 s2, 0, v39
	v_add_nc_u32_e32 v42, v42, v43
	s_delay_alu instid0(VALU_DEP_2) | instskip(SKIP_3) | instid1(VALU_DEP_1)
	v_cndmask_b32_e64 v44, v39, v35, s2
	ds_swizzle_b32 v43, v42 offset:swizzle(BROADCAST,32,15)
	s_waitcnt lgkmcnt(0)
	v_and_b32_e32 v43, v38, v43
	v_add_nc_u32_e32 v42, v42, v43
	v_lshlrev_b32_e32 v43, 2, v44
	ds_bpermute_b32 v42, v43, v42
	s_waitcnt lgkmcnt(0)
	v_add_nc_u32_e32 v40, v42, v40
	s_delay_alu instid0(VALU_DEP_1) | instskip(NEXT) | instid1(VALU_DEP_1)
	v_cndmask_b32_e64 v32, v40, v32, s0
	v_add_nc_u32_e32 v40, v32, v41
	ds_store_2addr_b32 v0, v32, v40 offset1:1
.LBB112_3:                              ;   in Loop: Header=BB112_1 Depth=1
	s_or_b32 exec_lo, exec_lo, s5
	v_mov_b32_e32 v40, s3
	s_waitcnt lgkmcnt(0)
	s_barrier
	buffer_gl0_inv
	s_and_saveexec_b32 s2, s1
	s_cbranch_execz .LBB112_5
; %bb.4:                                ;   in Loop: Header=BB112_1 Depth=1
	ds_load_b32 v32, v36
	s_waitcnt lgkmcnt(0)
	v_add_nc_u32_e32 v40, s3, v32
.LBB112_5:                              ;   in Loop: Header=BB112_1 Depth=1
	s_or_b32 exec_lo, exec_lo, s2
	s_delay_alu instid0(VALU_DEP_1) | instskip(SKIP_1) | instid1(SALU_CYCLE_1)
	v_add_nc_u32_e32 v34, v40, v34
	s_add_i32 s4, s4, -1
	s_cmp_lg_u32 s4, 0
	s_delay_alu instid0(VALU_DEP_1) | instskip(NEXT) | instid1(VALU_DEP_1)
	v_add_nc_u32_e32 v33, v34, v33
	v_add_nc_u32_e32 v31, v33, v31
	s_delay_alu instid0(VALU_DEP_1) | instskip(NEXT) | instid1(VALU_DEP_1)
	v_add_nc_u32_e32 v30, v31, v30
	v_add_nc_u32_e32 v28, v30, v28
	;; [unrolled: 3-line block ×4, first 2 shown]
	s_delay_alu instid0(VALU_DEP_1)
	v_add_nc_u32_e32 v32, v24, v23
	s_cbranch_scc0 .LBB112_7
; %bb.6:                                ;   in Loop: Header=BB112_1 Depth=1
	v_dual_mov_b32 v23, v24 :: v_dual_mov_b32 v24, v25
	v_dual_mov_b32 v25, v26 :: v_dual_mov_b32 v26, v27
	;; [unrolled: 1-line block ×5, first 2 shown]
	s_branch .LBB112_1
.LBB112_7:
	v_add_co_u32 v15, vcc_lo, s6, v15
	v_add_co_ci_u32_e32 v16, vcc_lo, s7, v16, vcc_lo
	v_add_co_u32 v17, vcc_lo, s6, v17
	v_add_co_ci_u32_e32 v18, vcc_lo, s7, v18, vcc_lo
	;; [unrolled: 2-line block ×11, first 2 shown]
	s_clause 0xa
	global_store_b32 v[15:16], v40, off
	global_store_b32 v[17:18], v34, off
	;; [unrolled: 1-line block ×11, first 2 shown]
	s_nop 0
	s_sendmsg sendmsg(MSG_DEALLOC_VGPRS)
	s_endpgm
	.section	.rodata,"a",@progbits
	.p2align	6, 0x0
	.amdhsa_kernel _Z6kernelI14exclusive_scanILN6hipcub18BlockScanAlgorithmE1EEiLj64ELj11ELj100EEvPKT0_PS4_S4_
		.amdhsa_group_segment_fixed_size 264
		.amdhsa_private_segment_fixed_size 0
		.amdhsa_kernarg_size 280
		.amdhsa_user_sgpr_count 15
		.amdhsa_user_sgpr_dispatch_ptr 0
		.amdhsa_user_sgpr_queue_ptr 0
		.amdhsa_user_sgpr_kernarg_segment_ptr 1
		.amdhsa_user_sgpr_dispatch_id 0
		.amdhsa_user_sgpr_private_segment_size 0
		.amdhsa_wavefront_size32 1
		.amdhsa_uses_dynamic_stack 0
		.amdhsa_enable_private_segment 0
		.amdhsa_system_sgpr_workgroup_id_x 1
		.amdhsa_system_sgpr_workgroup_id_y 0
		.amdhsa_system_sgpr_workgroup_id_z 0
		.amdhsa_system_sgpr_workgroup_info 0
		.amdhsa_system_vgpr_workitem_id 0
		.amdhsa_next_free_vgpr 49
		.amdhsa_next_free_sgpr 16
		.amdhsa_reserve_vcc 1
		.amdhsa_float_round_mode_32 0
		.amdhsa_float_round_mode_16_64 0
		.amdhsa_float_denorm_mode_32 3
		.amdhsa_float_denorm_mode_16_64 3
		.amdhsa_dx10_clamp 1
		.amdhsa_ieee_mode 1
		.amdhsa_fp16_overflow 0
		.amdhsa_workgroup_processor_mode 1
		.amdhsa_memory_ordered 1
		.amdhsa_forward_progress 0
		.amdhsa_shared_vgpr_count 0
		.amdhsa_exception_fp_ieee_invalid_op 0
		.amdhsa_exception_fp_denorm_src 0
		.amdhsa_exception_fp_ieee_div_zero 0
		.amdhsa_exception_fp_ieee_overflow 0
		.amdhsa_exception_fp_ieee_underflow 0
		.amdhsa_exception_fp_ieee_inexact 0
		.amdhsa_exception_int_div_zero 0
	.end_amdhsa_kernel
	.section	.text._Z6kernelI14exclusive_scanILN6hipcub18BlockScanAlgorithmE1EEiLj64ELj11ELj100EEvPKT0_PS4_S4_,"axG",@progbits,_Z6kernelI14exclusive_scanILN6hipcub18BlockScanAlgorithmE1EEiLj64ELj11ELj100EEvPKT0_PS4_S4_,comdat
.Lfunc_end112:
	.size	_Z6kernelI14exclusive_scanILN6hipcub18BlockScanAlgorithmE1EEiLj64ELj11ELj100EEvPKT0_PS4_S4_, .Lfunc_end112-_Z6kernelI14exclusive_scanILN6hipcub18BlockScanAlgorithmE1EEiLj64ELj11ELj100EEvPKT0_PS4_S4_
                                        ; -- End function
	.section	.AMDGPU.csdata,"",@progbits
; Kernel info:
; codeLenInByte = 1276
; NumSgprs: 18
; NumVgprs: 49
; ScratchSize: 0
; MemoryBound: 0
; FloatMode: 240
; IeeeMode: 1
; LDSByteSize: 264 bytes/workgroup (compile time only)
; SGPRBlocks: 2
; VGPRBlocks: 6
; NumSGPRsForWavesPerEU: 18
; NumVGPRsForWavesPerEU: 49
; Occupancy: 16
; WaveLimiterHint : 0
; COMPUTE_PGM_RSRC2:SCRATCH_EN: 0
; COMPUTE_PGM_RSRC2:USER_SGPR: 15
; COMPUTE_PGM_RSRC2:TRAP_HANDLER: 0
; COMPUTE_PGM_RSRC2:TGID_X_EN: 1
; COMPUTE_PGM_RSRC2:TGID_Y_EN: 0
; COMPUTE_PGM_RSRC2:TGID_Z_EN: 0
; COMPUTE_PGM_RSRC2:TIDIG_COMP_CNT: 0
	.section	.text._Z6kernelI14exclusive_scanILN6hipcub18BlockScanAlgorithmE1EEiLj64ELj16ELj100EEvPKT0_PS4_S4_,"axG",@progbits,_Z6kernelI14exclusive_scanILN6hipcub18BlockScanAlgorithmE1EEiLj64ELj16ELj100EEvPKT0_PS4_S4_,comdat
	.protected	_Z6kernelI14exclusive_scanILN6hipcub18BlockScanAlgorithmE1EEiLj64ELj16ELj100EEvPKT0_PS4_S4_ ; -- Begin function _Z6kernelI14exclusive_scanILN6hipcub18BlockScanAlgorithmE1EEiLj64ELj16ELj100EEvPKT0_PS4_S4_
	.globl	_Z6kernelI14exclusive_scanILN6hipcub18BlockScanAlgorithmE1EEiLj64ELj16ELj100EEvPKT0_PS4_S4_
	.p2align	8
	.type	_Z6kernelI14exclusive_scanILN6hipcub18BlockScanAlgorithmE1EEiLj64ELj16ELj100EEvPKT0_PS4_S4_,@function
_Z6kernelI14exclusive_scanILN6hipcub18BlockScanAlgorithmE1EEiLj64ELj16ELj100EEvPKT0_PS4_S4_: ; @_Z6kernelI14exclusive_scanILN6hipcub18BlockScanAlgorithmE1EEiLj64ELj16ELj100EEvPKT0_PS4_S4_
; %bb.0:
	s_clause 0x1
	s_load_b32 s2, s[0:1], 0x24
	s_load_b128 s[4:7], s[0:1], 0x0
	v_mov_b32_e32 v2, 0
	v_lshrrev_b32_e32 v17, 5, v0
	s_load_b32 s3, s[0:1], 0x10
	v_add_nc_u32_e32 v18, -1, v0
	v_lshrrev_b32_e32 v19, 4, v0
	v_mbcnt_lo_u32_b32 v24, -1, 0
	v_add_lshl_u32 v23, v17, v0, 2
	v_lshlrev_b32_e32 v17, 1, v0
	v_lshrrev_b32_e32 v20, 5, v18
	v_cmp_eq_u32_e64 s0, 0, v0
	v_cmp_ne_u32_e64 s1, 0, v0
	v_and_b32_e32 v27, 15, v24
	v_add_lshl_u32 v25, v19, v17, 2
	v_add_lshl_u32 v26, v20, v18, 2
	v_bfe_i32 v28, v24, 4, 1
	v_add_nc_u32_e32 v29, -1, v24
	s_waitcnt lgkmcnt(0)
	s_and_b32 s2, s2, 0xffff
	s_delay_alu instid0(SALU_CYCLE_1) | instskip(NEXT) | instid1(SALU_CYCLE_1)
	s_mul_i32 s15, s15, s2
	v_add_lshl_u32 v1, s15, v0, 4
	s_delay_alu instid0(VALU_DEP_1) | instskip(NEXT) | instid1(VALU_DEP_1)
	v_lshlrev_b64 v[21:22], 2, v[1:2]
	v_add_co_u32 v1, vcc_lo, s4, v21
	s_delay_alu instid0(VALU_DEP_2)
	v_add_co_ci_u32_e32 v2, vcc_lo, s5, v22, vcc_lo
	v_cmp_gt_u32_e32 vcc_lo, 32, v0
	s_movk_i32 s4, 0x64
	s_clause 0x3
	global_load_b128 v[13:16], v[1:2], off
	global_load_b128 v[9:12], v[1:2], off offset:16
	global_load_b128 v[5:8], v[1:2], off offset:32
	;; [unrolled: 1-line block ×3, first 2 shown]
.LBB113_1:                              ; =>This Inner Loop Header: Depth=1
	s_waitcnt vmcnt(0)
	v_add_nc_u32_e32 v0, v3, v4
	s_delay_alu instid0(VALU_DEP_1) | instskip(NEXT) | instid1(VALU_DEP_1)
	v_add3_u32 v0, v0, v2, v1
	v_add3_u32 v0, v0, v8, v7
	s_delay_alu instid0(VALU_DEP_1) | instskip(NEXT) | instid1(VALU_DEP_1)
	v_add3_u32 v0, v0, v6, v5
	v_add3_u32 v0, v0, v12, v11
	;; [unrolled: 3-line block ×3, first 2 shown]
	s_delay_alu instid0(VALU_DEP_1)
	v_add3_u32 v0, v0, v14, v13
	ds_store_b32 v23, v0
	s_waitcnt lgkmcnt(0)
	s_barrier
	buffer_gl0_inv
	s_and_saveexec_b32 s5, vcc_lo
	s_cbranch_execz .LBB113_3
; %bb.2:                                ;   in Loop: Header=BB113_1 Depth=1
	ds_load_2addr_b32 v[17:18], v25 offset1:1
	v_cmp_ne_u32_e64 s2, 0, v27
	s_waitcnt lgkmcnt(0)
	v_add_nc_u32_e32 v4, v18, v17
	s_delay_alu instid0(VALU_DEP_1) | instskip(NEXT) | instid1(VALU_DEP_1)
	v_mov_b32_dpp v19, v4 row_shr:1 row_mask:0xf bank_mask:0xf
	v_cndmask_b32_e64 v19, 0, v19, s2
	v_cmp_lt_u32_e64 s2, 1, v27
	s_delay_alu instid0(VALU_DEP_2) | instskip(NEXT) | instid1(VALU_DEP_1)
	v_add_nc_u32_e32 v4, v19, v4
	v_mov_b32_dpp v19, v4 row_shr:2 row_mask:0xf bank_mask:0xf
	s_delay_alu instid0(VALU_DEP_1) | instskip(SKIP_1) | instid1(VALU_DEP_2)
	v_cndmask_b32_e64 v19, 0, v19, s2
	v_cmp_lt_u32_e64 s2, 3, v27
	v_add_nc_u32_e32 v4, v4, v19
	s_delay_alu instid0(VALU_DEP_1) | instskip(NEXT) | instid1(VALU_DEP_1)
	v_mov_b32_dpp v19, v4 row_shr:4 row_mask:0xf bank_mask:0xf
	v_cndmask_b32_e64 v19, 0, v19, s2
	v_cmp_lt_u32_e64 s2, 7, v27
	s_delay_alu instid0(VALU_DEP_2) | instskip(NEXT) | instid1(VALU_DEP_1)
	v_add_nc_u32_e32 v4, v4, v19
	v_mov_b32_dpp v19, v4 row_shr:8 row_mask:0xf bank_mask:0xf
	s_delay_alu instid0(VALU_DEP_1) | instskip(SKIP_1) | instid1(VALU_DEP_2)
	v_cndmask_b32_e64 v19, 0, v19, s2
	v_cmp_gt_i32_e64 s2, 0, v29
	v_add_nc_u32_e32 v4, v4, v19
	s_delay_alu instid0(VALU_DEP_2) | instskip(SKIP_3) | instid1(VALU_DEP_1)
	v_cndmask_b32_e64 v20, v29, v24, s2
	ds_swizzle_b32 v19, v4 offset:swizzle(BROADCAST,32,15)
	s_waitcnt lgkmcnt(0)
	v_and_b32_e32 v19, v28, v19
	v_add_nc_u32_e32 v4, v4, v19
	v_lshlrev_b32_e32 v19, 2, v20
	ds_bpermute_b32 v4, v19, v4
	s_waitcnt lgkmcnt(0)
	v_add_nc_u32_e32 v4, v4, v17
	s_delay_alu instid0(VALU_DEP_1) | instskip(NEXT) | instid1(VALU_DEP_1)
	v_cndmask_b32_e64 v0, v4, v0, s0
	v_add_nc_u32_e32 v4, v0, v18
	ds_store_2addr_b32 v25, v0, v4 offset1:1
.LBB113_3:                              ;   in Loop: Header=BB113_1 Depth=1
	s_or_b32 exec_lo, exec_lo, s5
	v_mov_b32_e32 v17, s3
	s_waitcnt lgkmcnt(0)
	s_barrier
	buffer_gl0_inv
	s_and_saveexec_b32 s2, s1
	s_cbranch_execz .LBB113_5
; %bb.4:                                ;   in Loop: Header=BB113_1 Depth=1
	ds_load_b32 v0, v26
	s_waitcnt lgkmcnt(0)
	v_add_nc_u32_e32 v17, s3, v0
.LBB113_5:                              ;   in Loop: Header=BB113_1 Depth=1
	s_or_b32 exec_lo, exec_lo, s2
	s_delay_alu instid0(VALU_DEP_1) | instskip(SKIP_1) | instid1(SALU_CYCLE_1)
	v_add_nc_u32_e32 v18, v17, v13
	s_add_i32 s4, s4, -1
	s_cmp_lg_u32 s4, 0
	s_delay_alu instid0(VALU_DEP_1) | instskip(NEXT) | instid1(VALU_DEP_1)
	v_add_nc_u32_e32 v19, v18, v14
	v_add_nc_u32_e32 v20, v19, v15
	s_delay_alu instid0(VALU_DEP_1) | instskip(NEXT) | instid1(VALU_DEP_1)
	v_add_nc_u32_e32 v13, v20, v16
	v_add_nc_u32_e32 v14, v13, v9
	s_delay_alu instid0(VALU_DEP_1) | instskip(NEXT) | instid1(VALU_DEP_1)
	v_add_nc_u32_e32 v15, v14, v10
	v_add_nc_u32_e32 v16, v15, v11
	s_delay_alu instid0(VALU_DEP_1) | instskip(NEXT) | instid1(VALU_DEP_1)
	v_add_nc_u32_e32 v9, v16, v12
	v_add_nc_u32_e32 v10, v9, v5
	s_delay_alu instid0(VALU_DEP_1) | instskip(NEXT) | instid1(VALU_DEP_1)
	v_add_nc_u32_e32 v11, v10, v6
	v_add_nc_u32_e32 v12, v11, v7
	s_delay_alu instid0(VALU_DEP_1) | instskip(NEXT) | instid1(VALU_DEP_1)
	v_add_nc_u32_e32 v0, v12, v8
	v_add_nc_u32_e32 v1, v0, v1
	s_delay_alu instid0(VALU_DEP_1) | instskip(NEXT) | instid1(VALU_DEP_1)
	v_add_nc_u32_e32 v2, v1, v2
	v_add_nc_u32_e32 v4, v2, v3
	s_cbranch_scc0 .LBB113_7
; %bb.6:                                ;   in Loop: Header=BB113_1 Depth=1
	v_dual_mov_b32 v3, v2 :: v_dual_mov_b32 v2, v1
	v_dual_mov_b32 v1, v0 :: v_dual_mov_b32 v6, v10
	;; [unrolled: 1-line block ×7, first 2 shown]
	v_mov_b32_e32 v13, v17
	s_branch .LBB113_1
.LBB113_7:
	v_add_co_u32 v5, vcc_lo, s6, v21
	v_add_co_ci_u32_e32 v6, vcc_lo, s7, v22, vcc_lo
	s_delay_alu instid0(VALU_DEP_3)
	v_mov_b32_e32 v3, v4
	s_clause 0x3
	global_store_b128 v[5:6], v[17:20], off
	global_store_b128 v[5:6], v[13:16], off offset:16
	global_store_b128 v[5:6], v[9:12], off offset:32
	;; [unrolled: 1-line block ×3, first 2 shown]
	s_nop 0
	s_sendmsg sendmsg(MSG_DEALLOC_VGPRS)
	s_endpgm
	.section	.rodata,"a",@progbits
	.p2align	6, 0x0
	.amdhsa_kernel _Z6kernelI14exclusive_scanILN6hipcub18BlockScanAlgorithmE1EEiLj64ELj16ELj100EEvPKT0_PS4_S4_
		.amdhsa_group_segment_fixed_size 264
		.amdhsa_private_segment_fixed_size 0
		.amdhsa_kernarg_size 280
		.amdhsa_user_sgpr_count 15
		.amdhsa_user_sgpr_dispatch_ptr 0
		.amdhsa_user_sgpr_queue_ptr 0
		.amdhsa_user_sgpr_kernarg_segment_ptr 1
		.amdhsa_user_sgpr_dispatch_id 0
		.amdhsa_user_sgpr_private_segment_size 0
		.amdhsa_wavefront_size32 1
		.amdhsa_uses_dynamic_stack 0
		.amdhsa_enable_private_segment 0
		.amdhsa_system_sgpr_workgroup_id_x 1
		.amdhsa_system_sgpr_workgroup_id_y 0
		.amdhsa_system_sgpr_workgroup_id_z 0
		.amdhsa_system_sgpr_workgroup_info 0
		.amdhsa_system_vgpr_workitem_id 0
		.amdhsa_next_free_vgpr 30
		.amdhsa_next_free_sgpr 16
		.amdhsa_reserve_vcc 1
		.amdhsa_float_round_mode_32 0
		.amdhsa_float_round_mode_16_64 0
		.amdhsa_float_denorm_mode_32 3
		.amdhsa_float_denorm_mode_16_64 3
		.amdhsa_dx10_clamp 1
		.amdhsa_ieee_mode 1
		.amdhsa_fp16_overflow 0
		.amdhsa_workgroup_processor_mode 1
		.amdhsa_memory_ordered 1
		.amdhsa_forward_progress 0
		.amdhsa_shared_vgpr_count 0
		.amdhsa_exception_fp_ieee_invalid_op 0
		.amdhsa_exception_fp_denorm_src 0
		.amdhsa_exception_fp_ieee_div_zero 0
		.amdhsa_exception_fp_ieee_overflow 0
		.amdhsa_exception_fp_ieee_underflow 0
		.amdhsa_exception_fp_ieee_inexact 0
		.amdhsa_exception_int_div_zero 0
	.end_amdhsa_kernel
	.section	.text._Z6kernelI14exclusive_scanILN6hipcub18BlockScanAlgorithmE1EEiLj64ELj16ELj100EEvPKT0_PS4_S4_,"axG",@progbits,_Z6kernelI14exclusive_scanILN6hipcub18BlockScanAlgorithmE1EEiLj64ELj16ELj100EEvPKT0_PS4_S4_,comdat
.Lfunc_end113:
	.size	_Z6kernelI14exclusive_scanILN6hipcub18BlockScanAlgorithmE1EEiLj64ELj16ELj100EEvPKT0_PS4_S4_, .Lfunc_end113-_Z6kernelI14exclusive_scanILN6hipcub18BlockScanAlgorithmE1EEiLj64ELj16ELj100EEvPKT0_PS4_S4_
                                        ; -- End function
	.section	.AMDGPU.csdata,"",@progbits
; Kernel info:
; codeLenInByte = 852
; NumSgprs: 18
; NumVgprs: 30
; ScratchSize: 0
; MemoryBound: 0
; FloatMode: 240
; IeeeMode: 1
; LDSByteSize: 264 bytes/workgroup (compile time only)
; SGPRBlocks: 2
; VGPRBlocks: 3
; NumSGPRsForWavesPerEU: 18
; NumVGPRsForWavesPerEU: 30
; Occupancy: 16
; WaveLimiterHint : 0
; COMPUTE_PGM_RSRC2:SCRATCH_EN: 0
; COMPUTE_PGM_RSRC2:USER_SGPR: 15
; COMPUTE_PGM_RSRC2:TRAP_HANDLER: 0
; COMPUTE_PGM_RSRC2:TGID_X_EN: 1
; COMPUTE_PGM_RSRC2:TGID_Y_EN: 0
; COMPUTE_PGM_RSRC2:TGID_Z_EN: 0
; COMPUTE_PGM_RSRC2:TIDIG_COMP_CNT: 0
	.section	.text._Z6kernelI14exclusive_scanILN6hipcub18BlockScanAlgorithmE1EEfLj64ELj1ELj100EEvPKT0_PS4_S4_,"axG",@progbits,_Z6kernelI14exclusive_scanILN6hipcub18BlockScanAlgorithmE1EEfLj64ELj1ELj100EEvPKT0_PS4_S4_,comdat
	.protected	_Z6kernelI14exclusive_scanILN6hipcub18BlockScanAlgorithmE1EEfLj64ELj1ELj100EEvPKT0_PS4_S4_ ; -- Begin function _Z6kernelI14exclusive_scanILN6hipcub18BlockScanAlgorithmE1EEfLj64ELj1ELj100EEvPKT0_PS4_S4_
	.globl	_Z6kernelI14exclusive_scanILN6hipcub18BlockScanAlgorithmE1EEfLj64ELj1ELj100EEvPKT0_PS4_S4_
	.p2align	8
	.type	_Z6kernelI14exclusive_scanILN6hipcub18BlockScanAlgorithmE1EEfLj64ELj1ELj100EEvPKT0_PS4_S4_,@function
_Z6kernelI14exclusive_scanILN6hipcub18BlockScanAlgorithmE1EEfLj64ELj1ELj100EEvPKT0_PS4_S4_: ; @_Z6kernelI14exclusive_scanILN6hipcub18BlockScanAlgorithmE1EEfLj64ELj1ELj100EEvPKT0_PS4_S4_
; %bb.0:
	s_clause 0x2
	s_load_b32 s2, s[0:1], 0x24
	s_load_b128 s[4:7], s[0:1], 0x0
	s_load_b32 s3, s[0:1], 0x10
	v_add_nc_u32_e32 v6, -1, v0
	v_lshrrev_b32_e32 v8, 4, v0
	v_mbcnt_lo_u32_b32 v5, -1, 0
	v_cmp_eq_u32_e64 s0, 0, v0
	v_cmp_ne_u32_e64 s1, 0, v0
	v_lshrrev_b32_e32 v9, 5, v6
	v_lshlrev_b32_e32 v7, 1, v0
	s_delay_alu instid0(VALU_DEP_2) | instskip(SKIP_3) | instid1(SALU_CYCLE_1)
	v_add_lshl_u32 v6, v9, v6, 2
	v_add_nc_u32_e32 v9, -1, v5
	s_waitcnt lgkmcnt(0)
	s_and_b32 s2, s2, 0xffff
	v_mad_u64_u32 v[1:2], null, s15, s2, v[0:1]
	v_mov_b32_e32 v2, 0
	s_delay_alu instid0(VALU_DEP_1) | instskip(NEXT) | instid1(VALU_DEP_1)
	v_lshlrev_b64 v[1:2], 2, v[1:2]
	v_add_co_u32 v3, vcc_lo, s4, v1
	s_delay_alu instid0(VALU_DEP_2) | instskip(SKIP_4) | instid1(VALU_DEP_1)
	v_add_co_ci_u32_e32 v4, vcc_lo, s5, v2, vcc_lo
	v_cmp_gt_u32_e32 vcc_lo, 32, v0
	s_movk_i32 s4, 0x64
	global_load_b32 v3, v[3:4], off
	v_lshrrev_b32_e32 v4, 5, v0
	v_add_lshl_u32 v4, v4, v0, 2
	v_add_lshl_u32 v0, v8, v7, 2
	v_and_b32_e32 v7, 15, v5
	v_and_b32_e32 v8, 16, v5
	s_branch .LBB114_2
.LBB114_1:                              ;   in Loop: Header=BB114_2 Depth=1
	s_or_b32 exec_lo, exec_lo, s2
	s_add_i32 s4, s4, -1
	s_delay_alu instid0(SALU_CYCLE_1)
	s_cmp_lg_u32 s4, 0
	s_cbranch_scc0 .LBB114_6
.LBB114_2:                              ; =>This Inner Loop Header: Depth=1
	s_waitcnt vmcnt(0)
	ds_store_b32 v4, v3
	s_waitcnt lgkmcnt(0)
	s_barrier
	buffer_gl0_inv
	s_and_saveexec_b32 s5, vcc_lo
	s_cbranch_execz .LBB114_4
; %bb.3:                                ;   in Loop: Header=BB114_2 Depth=1
	ds_load_2addr_b32 v[10:11], v0 offset1:1
	v_cmp_eq_u32_e64 s2, 0, v7
	s_waitcnt lgkmcnt(0)
	v_add_f32_e32 v12, v10, v11
	s_delay_alu instid0(VALU_DEP_1) | instskip(NEXT) | instid1(VALU_DEP_1)
	v_mov_b32_dpp v13, v12 row_shr:1 row_mask:0xf bank_mask:0xf
	v_add_f32_e32 v13, v12, v13
	s_delay_alu instid0(VALU_DEP_1) | instskip(SKIP_1) | instid1(VALU_DEP_2)
	v_cndmask_b32_e64 v12, v13, v12, s2
	v_cmp_lt_u32_e64 s2, 1, v7
	v_mov_b32_dpp v13, v12 row_shr:2 row_mask:0xf bank_mask:0xf
	s_delay_alu instid0(VALU_DEP_1) | instskip(NEXT) | instid1(VALU_DEP_1)
	v_add_f32_e32 v13, v12, v13
	v_cndmask_b32_e64 v12, v12, v13, s2
	v_cmp_lt_u32_e64 s2, 3, v7
	s_delay_alu instid0(VALU_DEP_2) | instskip(NEXT) | instid1(VALU_DEP_1)
	v_mov_b32_dpp v13, v12 row_shr:4 row_mask:0xf bank_mask:0xf
	v_add_f32_e32 v13, v12, v13
	s_delay_alu instid0(VALU_DEP_1) | instskip(SKIP_1) | instid1(VALU_DEP_2)
	v_cndmask_b32_e64 v12, v12, v13, s2
	v_cmp_lt_u32_e64 s2, 7, v7
	v_mov_b32_dpp v13, v12 row_shr:8 row_mask:0xf bank_mask:0xf
	s_delay_alu instid0(VALU_DEP_1) | instskip(NEXT) | instid1(VALU_DEP_1)
	v_add_f32_e32 v13, v12, v13
	v_cndmask_b32_e64 v12, v12, v13, s2
	v_cmp_gt_i32_e64 s2, 0, v9
	ds_swizzle_b32 v13, v12 offset:swizzle(BROADCAST,32,15)
	v_cndmask_b32_e64 v14, v9, v5, s2
	v_cmp_eq_u32_e64 s2, 0, v8
	s_waitcnt lgkmcnt(0)
	v_add_f32_e32 v13, v12, v13
	s_delay_alu instid0(VALU_DEP_1) | instskip(SKIP_4) | instid1(VALU_DEP_1)
	v_cndmask_b32_e64 v12, v13, v12, s2
	v_lshlrev_b32_e32 v13, 2, v14
	ds_bpermute_b32 v12, v13, v12
	s_waitcnt lgkmcnt(0)
	v_add_f32_e32 v10, v10, v12
	v_cndmask_b32_e64 v3, v10, v3, s0
	s_delay_alu instid0(VALU_DEP_1)
	v_add_f32_e32 v10, v11, v3
	ds_store_2addr_b32 v0, v3, v10 offset1:1
.LBB114_4:                              ;   in Loop: Header=BB114_2 Depth=1
	s_or_b32 exec_lo, exec_lo, s5
	v_mov_b32_e32 v3, s3
	s_waitcnt lgkmcnt(0)
	s_barrier
	buffer_gl0_inv
	s_and_saveexec_b32 s2, s1
	s_cbranch_execz .LBB114_1
; %bb.5:                                ;   in Loop: Header=BB114_2 Depth=1
	ds_load_b32 v3, v6
	s_waitcnt lgkmcnt(0)
	v_add_f32_e32 v3, s3, v3
	s_branch .LBB114_1
.LBB114_6:
	v_add_co_u32 v0, vcc_lo, s6, v1
	v_add_co_ci_u32_e32 v1, vcc_lo, s7, v2, vcc_lo
	global_store_b32 v[0:1], v3, off
	s_nop 0
	s_sendmsg sendmsg(MSG_DEALLOC_VGPRS)
	s_endpgm
	.section	.rodata,"a",@progbits
	.p2align	6, 0x0
	.amdhsa_kernel _Z6kernelI14exclusive_scanILN6hipcub18BlockScanAlgorithmE1EEfLj64ELj1ELj100EEvPKT0_PS4_S4_
		.amdhsa_group_segment_fixed_size 264
		.amdhsa_private_segment_fixed_size 0
		.amdhsa_kernarg_size 280
		.amdhsa_user_sgpr_count 15
		.amdhsa_user_sgpr_dispatch_ptr 0
		.amdhsa_user_sgpr_queue_ptr 0
		.amdhsa_user_sgpr_kernarg_segment_ptr 1
		.amdhsa_user_sgpr_dispatch_id 0
		.amdhsa_user_sgpr_private_segment_size 0
		.amdhsa_wavefront_size32 1
		.amdhsa_uses_dynamic_stack 0
		.amdhsa_enable_private_segment 0
		.amdhsa_system_sgpr_workgroup_id_x 1
		.amdhsa_system_sgpr_workgroup_id_y 0
		.amdhsa_system_sgpr_workgroup_id_z 0
		.amdhsa_system_sgpr_workgroup_info 0
		.amdhsa_system_vgpr_workitem_id 0
		.amdhsa_next_free_vgpr 15
		.amdhsa_next_free_sgpr 16
		.amdhsa_reserve_vcc 1
		.amdhsa_float_round_mode_32 0
		.amdhsa_float_round_mode_16_64 0
		.amdhsa_float_denorm_mode_32 3
		.amdhsa_float_denorm_mode_16_64 3
		.amdhsa_dx10_clamp 1
		.amdhsa_ieee_mode 1
		.amdhsa_fp16_overflow 0
		.amdhsa_workgroup_processor_mode 1
		.amdhsa_memory_ordered 1
		.amdhsa_forward_progress 0
		.amdhsa_shared_vgpr_count 0
		.amdhsa_exception_fp_ieee_invalid_op 0
		.amdhsa_exception_fp_denorm_src 0
		.amdhsa_exception_fp_ieee_div_zero 0
		.amdhsa_exception_fp_ieee_overflow 0
		.amdhsa_exception_fp_ieee_underflow 0
		.amdhsa_exception_fp_ieee_inexact 0
		.amdhsa_exception_int_div_zero 0
	.end_amdhsa_kernel
	.section	.text._Z6kernelI14exclusive_scanILN6hipcub18BlockScanAlgorithmE1EEfLj64ELj1ELj100EEvPKT0_PS4_S4_,"axG",@progbits,_Z6kernelI14exclusive_scanILN6hipcub18BlockScanAlgorithmE1EEfLj64ELj1ELj100EEvPKT0_PS4_S4_,comdat
.Lfunc_end114:
	.size	_Z6kernelI14exclusive_scanILN6hipcub18BlockScanAlgorithmE1EEfLj64ELj1ELj100EEvPKT0_PS4_S4_, .Lfunc_end114-_Z6kernelI14exclusive_scanILN6hipcub18BlockScanAlgorithmE1EEfLj64ELj1ELj100EEvPKT0_PS4_S4_
                                        ; -- End function
	.section	.AMDGPU.csdata,"",@progbits
; Kernel info:
; codeLenInByte = 572
; NumSgprs: 18
; NumVgprs: 15
; ScratchSize: 0
; MemoryBound: 0
; FloatMode: 240
; IeeeMode: 1
; LDSByteSize: 264 bytes/workgroup (compile time only)
; SGPRBlocks: 2
; VGPRBlocks: 1
; NumSGPRsForWavesPerEU: 18
; NumVGPRsForWavesPerEU: 15
; Occupancy: 16
; WaveLimiterHint : 0
; COMPUTE_PGM_RSRC2:SCRATCH_EN: 0
; COMPUTE_PGM_RSRC2:USER_SGPR: 15
; COMPUTE_PGM_RSRC2:TRAP_HANDLER: 0
; COMPUTE_PGM_RSRC2:TGID_X_EN: 1
; COMPUTE_PGM_RSRC2:TGID_Y_EN: 0
; COMPUTE_PGM_RSRC2:TGID_Z_EN: 0
; COMPUTE_PGM_RSRC2:TIDIG_COMP_CNT: 0
	.section	.text._Z6kernelI14exclusive_scanILN6hipcub18BlockScanAlgorithmE1EEfLj64ELj3ELj100EEvPKT0_PS4_S4_,"axG",@progbits,_Z6kernelI14exclusive_scanILN6hipcub18BlockScanAlgorithmE1EEfLj64ELj3ELj100EEvPKT0_PS4_S4_,comdat
	.protected	_Z6kernelI14exclusive_scanILN6hipcub18BlockScanAlgorithmE1EEfLj64ELj3ELj100EEvPKT0_PS4_S4_ ; -- Begin function _Z6kernelI14exclusive_scanILN6hipcub18BlockScanAlgorithmE1EEfLj64ELj3ELj100EEvPKT0_PS4_S4_
	.globl	_Z6kernelI14exclusive_scanILN6hipcub18BlockScanAlgorithmE1EEfLj64ELj3ELj100EEvPKT0_PS4_S4_
	.p2align	8
	.type	_Z6kernelI14exclusive_scanILN6hipcub18BlockScanAlgorithmE1EEfLj64ELj3ELj100EEvPKT0_PS4_S4_,@function
_Z6kernelI14exclusive_scanILN6hipcub18BlockScanAlgorithmE1EEfLj64ELj3ELj100EEvPKT0_PS4_S4_: ; @_Z6kernelI14exclusive_scanILN6hipcub18BlockScanAlgorithmE1EEfLj64ELj3ELj100EEvPKT0_PS4_S4_
; %bb.0:
	s_clause 0x2
	s_load_b32 s2, s[0:1], 0x24
	s_load_b32 s3, s[0:1], 0x10
	s_load_b128 s[4:7], s[0:1], 0x0
	v_lshrrev_b32_e32 v13, 4, v0
	v_cmp_eq_u32_e64 s0, 0, v0
	v_cmp_ne_u32_e64 s1, 0, v0
	s_waitcnt lgkmcnt(0)
	s_and_b32 s2, s2, 0xffff
	s_delay_alu instid0(SALU_CYCLE_1) | instskip(NEXT) | instid1(VALU_DEP_1)
	v_mad_u64_u32 v[1:2], null, s15, s2, v[0:1]
	v_lshl_add_u32 v3, v1, 1, v1
	s_delay_alu instid0(VALU_DEP_1) | instskip(NEXT) | instid1(VALU_DEP_1)
	v_dual_mov_b32 v4, 0 :: v_dual_add_nc_u32 v5, 1, v3
	v_mov_b32_e32 v6, v4
	v_lshlrev_b64 v[1:2], 2, v[3:4]
	v_add_nc_u32_e32 v3, 2, v3
	s_delay_alu instid0(VALU_DEP_3) | instskip(NEXT) | instid1(VALU_DEP_2)
	v_lshlrev_b64 v[5:6], 2, v[5:6]
	v_lshlrev_b64 v[3:4], 2, v[3:4]
	s_delay_alu instid0(VALU_DEP_4) | instskip(SKIP_1) | instid1(VALU_DEP_4)
	v_add_co_u32 v7, vcc_lo, s4, v1
	v_add_co_ci_u32_e32 v8, vcc_lo, s5, v2, vcc_lo
	v_add_co_u32 v9, vcc_lo, s4, v5
	v_add_co_ci_u32_e32 v10, vcc_lo, s5, v6, vcc_lo
	;; [unrolled: 2-line block ×3, first 2 shown]
	s_clause 0x2
	global_load_b32 v7, v[7:8], off
	global_load_b32 v8, v[9:10], off
	;; [unrolled: 1-line block ×3, first 2 shown]
	v_add_nc_u32_e32 v11, -1, v0
	v_lshrrev_b32_e32 v9, 5, v0
	v_lshlrev_b32_e32 v12, 1, v0
	v_mbcnt_lo_u32_b32 v10, -1, 0
	v_cmp_gt_u32_e32 vcc_lo, 32, v0
	v_lshrrev_b32_e32 v14, 5, v11
	v_add_lshl_u32 v9, v9, v0, 2
	v_add_lshl_u32 v0, v13, v12, 2
	v_and_b32_e32 v12, 15, v10
	v_and_b32_e32 v13, 16, v10
	v_add_lshl_u32 v11, v14, v11, 2
	v_add_nc_u32_e32 v14, -1, v10
	s_movk_i32 s4, 0x64
.LBB115_1:                              ; =>This Inner Loop Header: Depth=1
	s_waitcnt vmcnt(1)
	s_delay_alu instid0(VALU_DEP_1) | instskip(SKIP_1) | instid1(VALU_DEP_1)
	v_add_f32_e32 v16, v7, v8
	s_waitcnt vmcnt(0)
	v_add_f32_e32 v15, v15, v16
	ds_store_b32 v9, v15
	s_waitcnt lgkmcnt(0)
	s_barrier
	buffer_gl0_inv
	s_and_saveexec_b32 s5, vcc_lo
	s_cbranch_execz .LBB115_3
; %bb.2:                                ;   in Loop: Header=BB115_1 Depth=1
	ds_load_2addr_b32 v[16:17], v0 offset1:1
	v_cmp_eq_u32_e64 s2, 0, v12
	s_waitcnt lgkmcnt(0)
	v_add_f32_e32 v18, v16, v17
	s_delay_alu instid0(VALU_DEP_1) | instskip(NEXT) | instid1(VALU_DEP_1)
	v_mov_b32_dpp v19, v18 row_shr:1 row_mask:0xf bank_mask:0xf
	v_add_f32_e32 v19, v18, v19
	s_delay_alu instid0(VALU_DEP_1) | instskip(SKIP_1) | instid1(VALU_DEP_2)
	v_cndmask_b32_e64 v18, v19, v18, s2
	v_cmp_lt_u32_e64 s2, 1, v12
	v_mov_b32_dpp v19, v18 row_shr:2 row_mask:0xf bank_mask:0xf
	s_delay_alu instid0(VALU_DEP_1) | instskip(NEXT) | instid1(VALU_DEP_1)
	v_add_f32_e32 v19, v18, v19
	v_cndmask_b32_e64 v18, v18, v19, s2
	v_cmp_lt_u32_e64 s2, 3, v12
	s_delay_alu instid0(VALU_DEP_2) | instskip(NEXT) | instid1(VALU_DEP_1)
	v_mov_b32_dpp v19, v18 row_shr:4 row_mask:0xf bank_mask:0xf
	v_add_f32_e32 v19, v18, v19
	s_delay_alu instid0(VALU_DEP_1) | instskip(SKIP_1) | instid1(VALU_DEP_2)
	v_cndmask_b32_e64 v18, v18, v19, s2
	v_cmp_lt_u32_e64 s2, 7, v12
	v_mov_b32_dpp v19, v18 row_shr:8 row_mask:0xf bank_mask:0xf
	s_delay_alu instid0(VALU_DEP_1) | instskip(NEXT) | instid1(VALU_DEP_1)
	v_add_f32_e32 v19, v18, v19
	v_cndmask_b32_e64 v18, v18, v19, s2
	v_cmp_gt_i32_e64 s2, 0, v14
	ds_swizzle_b32 v19, v18 offset:swizzle(BROADCAST,32,15)
	v_cndmask_b32_e64 v20, v14, v10, s2
	v_cmp_eq_u32_e64 s2, 0, v13
	s_waitcnt lgkmcnt(0)
	v_add_f32_e32 v19, v18, v19
	s_delay_alu instid0(VALU_DEP_1) | instskip(SKIP_4) | instid1(VALU_DEP_1)
	v_cndmask_b32_e64 v18, v19, v18, s2
	v_lshlrev_b32_e32 v19, 2, v20
	ds_bpermute_b32 v18, v19, v18
	s_waitcnt lgkmcnt(0)
	v_add_f32_e32 v16, v16, v18
	v_cndmask_b32_e64 v15, v16, v15, s0
	s_delay_alu instid0(VALU_DEP_1)
	v_add_f32_e32 v16, v17, v15
	ds_store_2addr_b32 v0, v15, v16 offset1:1
.LBB115_3:                              ;   in Loop: Header=BB115_1 Depth=1
	s_or_b32 exec_lo, exec_lo, s5
	v_mov_b32_e32 v16, s3
	s_waitcnt lgkmcnt(0)
	s_barrier
	buffer_gl0_inv
	s_and_saveexec_b32 s2, s1
	s_cbranch_execz .LBB115_5
; %bb.4:                                ;   in Loop: Header=BB115_1 Depth=1
	ds_load_b32 v15, v11
	s_waitcnt lgkmcnt(0)
	v_add_f32_e32 v16, s3, v15
.LBB115_5:                              ;   in Loop: Header=BB115_1 Depth=1
	s_or_b32 exec_lo, exec_lo, s2
	s_delay_alu instid0(VALU_DEP_1) | instskip(SKIP_1) | instid1(SALU_CYCLE_1)
	v_add_f32_e32 v17, v7, v16
	s_add_i32 s4, s4, -1
	s_cmp_lg_u32 s4, 0
	s_delay_alu instid0(VALU_DEP_1)
	v_add_f32_e32 v15, v8, v17
	s_cbranch_scc0 .LBB115_7
; %bb.6:                                ;   in Loop: Header=BB115_1 Depth=1
	v_dual_mov_b32 v7, v16 :: v_dual_mov_b32 v8, v17
	s_branch .LBB115_1
.LBB115_7:
	v_add_co_u32 v0, vcc_lo, s6, v1
	v_add_co_ci_u32_e32 v1, vcc_lo, s7, v2, vcc_lo
	v_add_co_u32 v5, vcc_lo, s6, v5
	v_add_co_ci_u32_e32 v6, vcc_lo, s7, v6, vcc_lo
	;; [unrolled: 2-line block ×3, first 2 shown]
	s_clause 0x2
	global_store_b32 v[0:1], v16, off
	global_store_b32 v[5:6], v17, off
	;; [unrolled: 1-line block ×3, first 2 shown]
	s_nop 0
	s_sendmsg sendmsg(MSG_DEALLOC_VGPRS)
	s_endpgm
	.section	.rodata,"a",@progbits
	.p2align	6, 0x0
	.amdhsa_kernel _Z6kernelI14exclusive_scanILN6hipcub18BlockScanAlgorithmE1EEfLj64ELj3ELj100EEvPKT0_PS4_S4_
		.amdhsa_group_segment_fixed_size 264
		.amdhsa_private_segment_fixed_size 0
		.amdhsa_kernarg_size 280
		.amdhsa_user_sgpr_count 15
		.amdhsa_user_sgpr_dispatch_ptr 0
		.amdhsa_user_sgpr_queue_ptr 0
		.amdhsa_user_sgpr_kernarg_segment_ptr 1
		.amdhsa_user_sgpr_dispatch_id 0
		.amdhsa_user_sgpr_private_segment_size 0
		.amdhsa_wavefront_size32 1
		.amdhsa_uses_dynamic_stack 0
		.amdhsa_enable_private_segment 0
		.amdhsa_system_sgpr_workgroup_id_x 1
		.amdhsa_system_sgpr_workgroup_id_y 0
		.amdhsa_system_sgpr_workgroup_id_z 0
		.amdhsa_system_sgpr_workgroup_info 0
		.amdhsa_system_vgpr_workitem_id 0
		.amdhsa_next_free_vgpr 21
		.amdhsa_next_free_sgpr 16
		.amdhsa_reserve_vcc 1
		.amdhsa_float_round_mode_32 0
		.amdhsa_float_round_mode_16_64 0
		.amdhsa_float_denorm_mode_32 3
		.amdhsa_float_denorm_mode_16_64 3
		.amdhsa_dx10_clamp 1
		.amdhsa_ieee_mode 1
		.amdhsa_fp16_overflow 0
		.amdhsa_workgroup_processor_mode 1
		.amdhsa_memory_ordered 1
		.amdhsa_forward_progress 0
		.amdhsa_shared_vgpr_count 0
		.amdhsa_exception_fp_ieee_invalid_op 0
		.amdhsa_exception_fp_denorm_src 0
		.amdhsa_exception_fp_ieee_div_zero 0
		.amdhsa_exception_fp_ieee_overflow 0
		.amdhsa_exception_fp_ieee_underflow 0
		.amdhsa_exception_fp_ieee_inexact 0
		.amdhsa_exception_int_div_zero 0
	.end_amdhsa_kernel
	.section	.text._Z6kernelI14exclusive_scanILN6hipcub18BlockScanAlgorithmE1EEfLj64ELj3ELj100EEvPKT0_PS4_S4_,"axG",@progbits,_Z6kernelI14exclusive_scanILN6hipcub18BlockScanAlgorithmE1EEfLj64ELj3ELj100EEvPKT0_PS4_S4_,comdat
.Lfunc_end115:
	.size	_Z6kernelI14exclusive_scanILN6hipcub18BlockScanAlgorithmE1EEfLj64ELj3ELj100EEvPKT0_PS4_S4_, .Lfunc_end115-_Z6kernelI14exclusive_scanILN6hipcub18BlockScanAlgorithmE1EEfLj64ELj3ELj100EEvPKT0_PS4_S4_
                                        ; -- End function
	.section	.AMDGPU.csdata,"",@progbits
; Kernel info:
; codeLenInByte = 732
; NumSgprs: 18
; NumVgprs: 21
; ScratchSize: 0
; MemoryBound: 0
; FloatMode: 240
; IeeeMode: 1
; LDSByteSize: 264 bytes/workgroup (compile time only)
; SGPRBlocks: 2
; VGPRBlocks: 2
; NumSGPRsForWavesPerEU: 18
; NumVGPRsForWavesPerEU: 21
; Occupancy: 16
; WaveLimiterHint : 0
; COMPUTE_PGM_RSRC2:SCRATCH_EN: 0
; COMPUTE_PGM_RSRC2:USER_SGPR: 15
; COMPUTE_PGM_RSRC2:TRAP_HANDLER: 0
; COMPUTE_PGM_RSRC2:TGID_X_EN: 1
; COMPUTE_PGM_RSRC2:TGID_Y_EN: 0
; COMPUTE_PGM_RSRC2:TGID_Z_EN: 0
; COMPUTE_PGM_RSRC2:TIDIG_COMP_CNT: 0
	.section	.text._Z6kernelI14exclusive_scanILN6hipcub18BlockScanAlgorithmE1EEfLj64ELj4ELj100EEvPKT0_PS4_S4_,"axG",@progbits,_Z6kernelI14exclusive_scanILN6hipcub18BlockScanAlgorithmE1EEfLj64ELj4ELj100EEvPKT0_PS4_S4_,comdat
	.protected	_Z6kernelI14exclusive_scanILN6hipcub18BlockScanAlgorithmE1EEfLj64ELj4ELj100EEvPKT0_PS4_S4_ ; -- Begin function _Z6kernelI14exclusive_scanILN6hipcub18BlockScanAlgorithmE1EEfLj64ELj4ELj100EEvPKT0_PS4_S4_
	.globl	_Z6kernelI14exclusive_scanILN6hipcub18BlockScanAlgorithmE1EEfLj64ELj4ELj100EEvPKT0_PS4_S4_
	.p2align	8
	.type	_Z6kernelI14exclusive_scanILN6hipcub18BlockScanAlgorithmE1EEfLj64ELj4ELj100EEvPKT0_PS4_S4_,@function
_Z6kernelI14exclusive_scanILN6hipcub18BlockScanAlgorithmE1EEfLj64ELj4ELj100EEvPKT0_PS4_S4_: ; @_Z6kernelI14exclusive_scanILN6hipcub18BlockScanAlgorithmE1EEfLj64ELj4ELj100EEvPKT0_PS4_S4_
; %bb.0:
	s_clause 0x1
	s_load_b32 s2, s[0:1], 0x24
	s_load_b128 s[4:7], s[0:1], 0x0
	v_mov_b32_e32 v2, 0
	v_lshrrev_b32_e32 v5, 5, v0
	s_load_b32 s3, s[0:1], 0x10
	v_add_nc_u32_e32 v6, -1, v0
	v_lshrrev_b32_e32 v7, 4, v0
	v_mbcnt_lo_u32_b32 v11, -1, 0
	v_add_lshl_u32 v10, v5, v0, 2
	v_lshlrev_b32_e32 v5, 1, v0
	v_lshrrev_b32_e32 v12, 5, v6
	v_cmp_eq_u32_e64 s0, 0, v0
	v_cmp_ne_u32_e64 s1, 0, v0
	v_and_b32_e32 v13, 15, v11
	v_and_b32_e32 v14, 16, v11
	v_add_lshl_u32 v12, v12, v6, 2
	v_add_nc_u32_e32 v15, -1, v11
	s_waitcnt lgkmcnt(0)
	s_and_b32 s2, s2, 0xffff
	s_delay_alu instid0(SALU_CYCLE_1) | instskip(NEXT) | instid1(SALU_CYCLE_1)
	s_mul_i32 s15, s15, s2
	v_add_lshl_u32 v1, s15, v0, 2
	s_delay_alu instid0(VALU_DEP_1) | instskip(NEXT) | instid1(VALU_DEP_1)
	v_lshlrev_b64 v[8:9], 2, v[1:2]
	v_add_co_u32 v1, vcc_lo, s4, v8
	s_delay_alu instid0(VALU_DEP_2)
	v_add_co_ci_u32_e32 v2, vcc_lo, s5, v9, vcc_lo
	v_cmp_gt_u32_e32 vcc_lo, 32, v0
	v_add_lshl_u32 v0, v7, v5, 2
	s_movk_i32 s4, 0x64
	global_load_b128 v[1:4], v[1:2], off
.LBB116_1:                              ; =>This Inner Loop Header: Depth=1
	s_waitcnt vmcnt(0)
	s_delay_alu instid0(VALU_DEP_2) | instskip(NEXT) | instid1(VALU_DEP_1)
	v_add_f32_e32 v5, v1, v2
	v_add_f32_e32 v5, v3, v5
	s_delay_alu instid0(VALU_DEP_1)
	v_add_f32_e32 v4, v4, v5
	ds_store_b32 v10, v4
	s_waitcnt lgkmcnt(0)
	s_barrier
	buffer_gl0_inv
	s_and_saveexec_b32 s5, vcc_lo
	s_cbranch_execz .LBB116_3
; %bb.2:                                ;   in Loop: Header=BB116_1 Depth=1
	ds_load_2addr_b32 v[5:6], v0 offset1:1
	v_cmp_eq_u32_e64 s2, 0, v13
	s_waitcnt lgkmcnt(0)
	v_add_f32_e32 v7, v5, v6
	s_delay_alu instid0(VALU_DEP_1) | instskip(NEXT) | instid1(VALU_DEP_1)
	v_mov_b32_dpp v16, v7 row_shr:1 row_mask:0xf bank_mask:0xf
	v_add_f32_e32 v16, v7, v16
	s_delay_alu instid0(VALU_DEP_1) | instskip(SKIP_1) | instid1(VALU_DEP_2)
	v_cndmask_b32_e64 v7, v16, v7, s2
	v_cmp_lt_u32_e64 s2, 1, v13
	v_mov_b32_dpp v16, v7 row_shr:2 row_mask:0xf bank_mask:0xf
	s_delay_alu instid0(VALU_DEP_1) | instskip(NEXT) | instid1(VALU_DEP_1)
	v_add_f32_e32 v16, v7, v16
	v_cndmask_b32_e64 v7, v7, v16, s2
	v_cmp_lt_u32_e64 s2, 3, v13
	s_delay_alu instid0(VALU_DEP_2) | instskip(NEXT) | instid1(VALU_DEP_1)
	v_mov_b32_dpp v16, v7 row_shr:4 row_mask:0xf bank_mask:0xf
	v_add_f32_e32 v16, v7, v16
	s_delay_alu instid0(VALU_DEP_1) | instskip(SKIP_1) | instid1(VALU_DEP_2)
	v_cndmask_b32_e64 v7, v7, v16, s2
	v_cmp_lt_u32_e64 s2, 7, v13
	v_mov_b32_dpp v16, v7 row_shr:8 row_mask:0xf bank_mask:0xf
	s_delay_alu instid0(VALU_DEP_1) | instskip(NEXT) | instid1(VALU_DEP_1)
	v_add_f32_e32 v16, v7, v16
	v_cndmask_b32_e64 v7, v7, v16, s2
	v_cmp_gt_i32_e64 s2, 0, v15
	ds_swizzle_b32 v16, v7 offset:swizzle(BROADCAST,32,15)
	v_cndmask_b32_e64 v17, v15, v11, s2
	v_cmp_eq_u32_e64 s2, 0, v14
	s_waitcnt lgkmcnt(0)
	v_add_f32_e32 v16, v7, v16
	s_delay_alu instid0(VALU_DEP_1) | instskip(SKIP_4) | instid1(VALU_DEP_1)
	v_cndmask_b32_e64 v7, v16, v7, s2
	v_lshlrev_b32_e32 v16, 2, v17
	ds_bpermute_b32 v7, v16, v7
	s_waitcnt lgkmcnt(0)
	v_add_f32_e32 v5, v5, v7
	v_cndmask_b32_e64 v4, v5, v4, s0
	s_delay_alu instid0(VALU_DEP_1)
	v_add_f32_e32 v5, v6, v4
	ds_store_2addr_b32 v0, v4, v5 offset1:1
.LBB116_3:                              ;   in Loop: Header=BB116_1 Depth=1
	s_or_b32 exec_lo, exec_lo, s5
	v_mov_b32_e32 v5, s3
	s_waitcnt lgkmcnt(0)
	s_barrier
	buffer_gl0_inv
	s_and_saveexec_b32 s2, s1
	s_cbranch_execz .LBB116_5
; %bb.4:                                ;   in Loop: Header=BB116_1 Depth=1
	ds_load_b32 v4, v12
	s_waitcnt lgkmcnt(0)
	v_add_f32_e32 v5, s3, v4
.LBB116_5:                              ;   in Loop: Header=BB116_1 Depth=1
	s_or_b32 exec_lo, exec_lo, s2
	s_delay_alu instid0(VALU_DEP_1) | instskip(SKIP_1) | instid1(SALU_CYCLE_1)
	v_add_f32_e32 v6, v1, v5
	s_add_i32 s4, s4, -1
	s_cmp_lg_u32 s4, 0
	s_delay_alu instid0(VALU_DEP_1) | instskip(NEXT) | instid1(VALU_DEP_1)
	v_add_f32_e32 v7, v2, v6
	v_add_f32_e32 v4, v3, v7
	s_cbranch_scc0 .LBB116_7
; %bb.6:                                ;   in Loop: Header=BB116_1 Depth=1
	v_dual_mov_b32 v1, v5 :: v_dual_mov_b32 v2, v6
	v_mov_b32_e32 v3, v7
	s_branch .LBB116_1
.LBB116_7:
	v_add_co_u32 v0, vcc_lo, s6, v8
	v_add_co_ci_u32_e32 v1, vcc_lo, s7, v9, vcc_lo
	s_delay_alu instid0(VALU_DEP_3)
	v_mov_b32_e32 v8, v4
	global_store_b128 v[0:1], v[5:8], off
	s_nop 0
	s_sendmsg sendmsg(MSG_DEALLOC_VGPRS)
	s_endpgm
	.section	.rodata,"a",@progbits
	.p2align	6, 0x0
	.amdhsa_kernel _Z6kernelI14exclusive_scanILN6hipcub18BlockScanAlgorithmE1EEfLj64ELj4ELj100EEvPKT0_PS4_S4_
		.amdhsa_group_segment_fixed_size 264
		.amdhsa_private_segment_fixed_size 0
		.amdhsa_kernarg_size 280
		.amdhsa_user_sgpr_count 15
		.amdhsa_user_sgpr_dispatch_ptr 0
		.amdhsa_user_sgpr_queue_ptr 0
		.amdhsa_user_sgpr_kernarg_segment_ptr 1
		.amdhsa_user_sgpr_dispatch_id 0
		.amdhsa_user_sgpr_private_segment_size 0
		.amdhsa_wavefront_size32 1
		.amdhsa_uses_dynamic_stack 0
		.amdhsa_enable_private_segment 0
		.amdhsa_system_sgpr_workgroup_id_x 1
		.amdhsa_system_sgpr_workgroup_id_y 0
		.amdhsa_system_sgpr_workgroup_id_z 0
		.amdhsa_system_sgpr_workgroup_info 0
		.amdhsa_system_vgpr_workitem_id 0
		.amdhsa_next_free_vgpr 18
		.amdhsa_next_free_sgpr 16
		.amdhsa_reserve_vcc 1
		.amdhsa_float_round_mode_32 0
		.amdhsa_float_round_mode_16_64 0
		.amdhsa_float_denorm_mode_32 3
		.amdhsa_float_denorm_mode_16_64 3
		.amdhsa_dx10_clamp 1
		.amdhsa_ieee_mode 1
		.amdhsa_fp16_overflow 0
		.amdhsa_workgroup_processor_mode 1
		.amdhsa_memory_ordered 1
		.amdhsa_forward_progress 0
		.amdhsa_shared_vgpr_count 0
		.amdhsa_exception_fp_ieee_invalid_op 0
		.amdhsa_exception_fp_denorm_src 0
		.amdhsa_exception_fp_ieee_div_zero 0
		.amdhsa_exception_fp_ieee_overflow 0
		.amdhsa_exception_fp_ieee_underflow 0
		.amdhsa_exception_fp_ieee_inexact 0
		.amdhsa_exception_int_div_zero 0
	.end_amdhsa_kernel
	.section	.text._Z6kernelI14exclusive_scanILN6hipcub18BlockScanAlgorithmE1EEfLj64ELj4ELj100EEvPKT0_PS4_S4_,"axG",@progbits,_Z6kernelI14exclusive_scanILN6hipcub18BlockScanAlgorithmE1EEfLj64ELj4ELj100EEvPKT0_PS4_S4_,comdat
.Lfunc_end116:
	.size	_Z6kernelI14exclusive_scanILN6hipcub18BlockScanAlgorithmE1EEfLj64ELj4ELj100EEvPKT0_PS4_S4_, .Lfunc_end116-_Z6kernelI14exclusive_scanILN6hipcub18BlockScanAlgorithmE1EEfLj64ELj4ELj100EEvPKT0_PS4_S4_
                                        ; -- End function
	.section	.AMDGPU.csdata,"",@progbits
; Kernel info:
; codeLenInByte = 628
; NumSgprs: 18
; NumVgprs: 18
; ScratchSize: 0
; MemoryBound: 0
; FloatMode: 240
; IeeeMode: 1
; LDSByteSize: 264 bytes/workgroup (compile time only)
; SGPRBlocks: 2
; VGPRBlocks: 2
; NumSGPRsForWavesPerEU: 18
; NumVGPRsForWavesPerEU: 18
; Occupancy: 16
; WaveLimiterHint : 0
; COMPUTE_PGM_RSRC2:SCRATCH_EN: 0
; COMPUTE_PGM_RSRC2:USER_SGPR: 15
; COMPUTE_PGM_RSRC2:TRAP_HANDLER: 0
; COMPUTE_PGM_RSRC2:TGID_X_EN: 1
; COMPUTE_PGM_RSRC2:TGID_Y_EN: 0
; COMPUTE_PGM_RSRC2:TGID_Z_EN: 0
; COMPUTE_PGM_RSRC2:TIDIG_COMP_CNT: 0
	.section	.text._Z6kernelI14exclusive_scanILN6hipcub18BlockScanAlgorithmE1EEfLj64ELj8ELj100EEvPKT0_PS4_S4_,"axG",@progbits,_Z6kernelI14exclusive_scanILN6hipcub18BlockScanAlgorithmE1EEfLj64ELj8ELj100EEvPKT0_PS4_S4_,comdat
	.protected	_Z6kernelI14exclusive_scanILN6hipcub18BlockScanAlgorithmE1EEfLj64ELj8ELj100EEvPKT0_PS4_S4_ ; -- Begin function _Z6kernelI14exclusive_scanILN6hipcub18BlockScanAlgorithmE1EEfLj64ELj8ELj100EEvPKT0_PS4_S4_
	.globl	_Z6kernelI14exclusive_scanILN6hipcub18BlockScanAlgorithmE1EEfLj64ELj8ELj100EEvPKT0_PS4_S4_
	.p2align	8
	.type	_Z6kernelI14exclusive_scanILN6hipcub18BlockScanAlgorithmE1EEfLj64ELj8ELj100EEvPKT0_PS4_S4_,@function
_Z6kernelI14exclusive_scanILN6hipcub18BlockScanAlgorithmE1EEfLj64ELj8ELj100EEvPKT0_PS4_S4_: ; @_Z6kernelI14exclusive_scanILN6hipcub18BlockScanAlgorithmE1EEfLj64ELj8ELj100EEvPKT0_PS4_S4_
; %bb.0:
	s_clause 0x1
	s_load_b32 s2, s[0:1], 0x24
	s_load_b128 s[4:7], s[0:1], 0x0
	v_mov_b32_e32 v2, 0
	v_lshrrev_b32_e32 v9, 5, v0
	s_load_b32 s3, s[0:1], 0x10
	v_add_nc_u32_e32 v10, -1, v0
	v_lshrrev_b32_e32 v11, 4, v0
	v_mbcnt_lo_u32_b32 v19, -1, 0
	v_add_lshl_u32 v18, v9, v0, 2
	v_lshlrev_b32_e32 v9, 1, v0
	v_lshrrev_b32_e32 v12, 5, v10
	v_cmp_eq_u32_e64 s0, 0, v0
	v_cmp_ne_u32_e64 s1, 0, v0
	v_and_b32_e32 v21, 15, v19
	v_and_b32_e32 v22, 16, v19
	v_add_lshl_u32 v20, v12, v10, 2
	v_add_nc_u32_e32 v23, -1, v19
	s_waitcnt lgkmcnt(0)
	s_and_b32 s2, s2, 0xffff
	s_delay_alu instid0(SALU_CYCLE_1) | instskip(NEXT) | instid1(SALU_CYCLE_1)
	s_mul_i32 s15, s15, s2
	v_add_lshl_u32 v1, s15, v0, 3
	s_delay_alu instid0(VALU_DEP_1) | instskip(NEXT) | instid1(VALU_DEP_1)
	v_lshlrev_b64 v[16:17], 2, v[1:2]
	v_add_co_u32 v1, vcc_lo, s4, v16
	s_delay_alu instid0(VALU_DEP_2)
	v_add_co_ci_u32_e32 v2, vcc_lo, s5, v17, vcc_lo
	v_cmp_gt_u32_e32 vcc_lo, 32, v0
	v_add_lshl_u32 v0, v11, v9, 2
	s_movk_i32 s4, 0x64
	s_clause 0x1
	global_load_b128 v[5:8], v[1:2], off
	global_load_b128 v[1:4], v[1:2], off offset:16
.LBB117_1:                              ; =>This Inner Loop Header: Depth=1
	s_waitcnt vmcnt(1)
	v_add_f32_e32 v9, v5, v6
	s_delay_alu instid0(VALU_DEP_1) | instskip(NEXT) | instid1(VALU_DEP_1)
	v_add_f32_e32 v9, v7, v9
	v_add_f32_e32 v9, v8, v9
	s_waitcnt vmcnt(0)
	s_delay_alu instid0(VALU_DEP_1) | instskip(NEXT) | instid1(VALU_DEP_1)
	v_add_f32_e32 v9, v1, v9
	v_add_f32_e32 v9, v2, v9
	s_delay_alu instid0(VALU_DEP_1) | instskip(NEXT) | instid1(VALU_DEP_1)
	v_add_f32_e32 v9, v3, v9
	v_add_f32_e32 v4, v4, v9
	ds_store_b32 v18, v4
	s_waitcnt lgkmcnt(0)
	s_barrier
	buffer_gl0_inv
	s_and_saveexec_b32 s5, vcc_lo
	s_cbranch_execz .LBB117_3
; %bb.2:                                ;   in Loop: Header=BB117_1 Depth=1
	ds_load_2addr_b32 v[9:10], v0 offset1:1
	v_cmp_eq_u32_e64 s2, 0, v21
	s_waitcnt lgkmcnt(0)
	v_add_f32_e32 v11, v9, v10
	s_delay_alu instid0(VALU_DEP_1) | instskip(NEXT) | instid1(VALU_DEP_1)
	v_mov_b32_dpp v12, v11 row_shr:1 row_mask:0xf bank_mask:0xf
	v_add_f32_e32 v12, v11, v12
	s_delay_alu instid0(VALU_DEP_1) | instskip(SKIP_1) | instid1(VALU_DEP_2)
	v_cndmask_b32_e64 v11, v12, v11, s2
	v_cmp_lt_u32_e64 s2, 1, v21
	v_mov_b32_dpp v12, v11 row_shr:2 row_mask:0xf bank_mask:0xf
	s_delay_alu instid0(VALU_DEP_1) | instskip(NEXT) | instid1(VALU_DEP_1)
	v_add_f32_e32 v12, v11, v12
	v_cndmask_b32_e64 v11, v11, v12, s2
	v_cmp_lt_u32_e64 s2, 3, v21
	s_delay_alu instid0(VALU_DEP_2) | instskip(NEXT) | instid1(VALU_DEP_1)
	v_mov_b32_dpp v12, v11 row_shr:4 row_mask:0xf bank_mask:0xf
	v_add_f32_e32 v12, v11, v12
	s_delay_alu instid0(VALU_DEP_1) | instskip(SKIP_1) | instid1(VALU_DEP_2)
	v_cndmask_b32_e64 v11, v11, v12, s2
	v_cmp_lt_u32_e64 s2, 7, v21
	v_mov_b32_dpp v12, v11 row_shr:8 row_mask:0xf bank_mask:0xf
	s_delay_alu instid0(VALU_DEP_1) | instskip(NEXT) | instid1(VALU_DEP_1)
	v_add_f32_e32 v12, v11, v12
	v_cndmask_b32_e64 v11, v11, v12, s2
	v_cmp_gt_i32_e64 s2, 0, v23
	ds_swizzle_b32 v12, v11 offset:swizzle(BROADCAST,32,15)
	v_cndmask_b32_e64 v13, v23, v19, s2
	v_cmp_eq_u32_e64 s2, 0, v22
	s_waitcnt lgkmcnt(0)
	v_add_f32_e32 v12, v11, v12
	s_delay_alu instid0(VALU_DEP_1) | instskip(SKIP_4) | instid1(VALU_DEP_1)
	v_cndmask_b32_e64 v11, v12, v11, s2
	v_lshlrev_b32_e32 v12, 2, v13
	ds_bpermute_b32 v11, v12, v11
	s_waitcnt lgkmcnt(0)
	v_add_f32_e32 v9, v9, v11
	v_cndmask_b32_e64 v4, v9, v4, s0
	s_delay_alu instid0(VALU_DEP_1)
	v_add_f32_e32 v9, v10, v4
	ds_store_2addr_b32 v0, v4, v9 offset1:1
.LBB117_3:                              ;   in Loop: Header=BB117_1 Depth=1
	s_or_b32 exec_lo, exec_lo, s5
	v_mov_b32_e32 v9, s3
	s_waitcnt lgkmcnt(0)
	s_barrier
	buffer_gl0_inv
	s_and_saveexec_b32 s2, s1
	s_cbranch_execz .LBB117_5
; %bb.4:                                ;   in Loop: Header=BB117_1 Depth=1
	ds_load_b32 v4, v20
	s_waitcnt lgkmcnt(0)
	v_add_f32_e32 v9, s3, v4
.LBB117_5:                              ;   in Loop: Header=BB117_1 Depth=1
	s_or_b32 exec_lo, exec_lo, s2
	s_delay_alu instid0(VALU_DEP_1) | instskip(SKIP_1) | instid1(SALU_CYCLE_1)
	v_add_f32_e32 v10, v5, v9
	s_add_i32 s4, s4, -1
	s_cmp_lg_u32 s4, 0
	s_delay_alu instid0(VALU_DEP_1) | instskip(NEXT) | instid1(VALU_DEP_1)
	v_add_f32_e32 v11, v6, v10
	v_add_f32_e32 v12, v7, v11
	s_delay_alu instid0(VALU_DEP_1) | instskip(NEXT) | instid1(VALU_DEP_1)
	v_add_f32_e32 v13, v8, v12
	v_add_f32_e32 v14, v1, v13
	s_delay_alu instid0(VALU_DEP_1) | instskip(NEXT) | instid1(VALU_DEP_1)
	v_add_f32_e32 v15, v2, v14
	v_add_f32_e32 v4, v3, v15
	s_cbranch_scc0 .LBB117_7
; %bb.6:                                ;   in Loop: Header=BB117_1 Depth=1
	v_dual_mov_b32 v5, v9 :: v_dual_mov_b32 v6, v10
	v_dual_mov_b32 v7, v11 :: v_dual_mov_b32 v8, v12
	;; [unrolled: 1-line block ×3, first 2 shown]
	v_mov_b32_e32 v3, v15
	s_branch .LBB117_1
.LBB117_7:
	v_add_co_u32 v0, vcc_lo, s6, v16
	v_add_co_ci_u32_e32 v1, vcc_lo, s7, v17, vcc_lo
	s_delay_alu instid0(VALU_DEP_3)
	v_mov_b32_e32 v16, v4
	s_clause 0x1
	global_store_b128 v[0:1], v[9:12], off
	global_store_b128 v[0:1], v[13:16], off offset:16
	s_nop 0
	s_sendmsg sendmsg(MSG_DEALLOC_VGPRS)
	s_endpgm
	.section	.rodata,"a",@progbits
	.p2align	6, 0x0
	.amdhsa_kernel _Z6kernelI14exclusive_scanILN6hipcub18BlockScanAlgorithmE1EEfLj64ELj8ELj100EEvPKT0_PS4_S4_
		.amdhsa_group_segment_fixed_size 264
		.amdhsa_private_segment_fixed_size 0
		.amdhsa_kernarg_size 280
		.amdhsa_user_sgpr_count 15
		.amdhsa_user_sgpr_dispatch_ptr 0
		.amdhsa_user_sgpr_queue_ptr 0
		.amdhsa_user_sgpr_kernarg_segment_ptr 1
		.amdhsa_user_sgpr_dispatch_id 0
		.amdhsa_user_sgpr_private_segment_size 0
		.amdhsa_wavefront_size32 1
		.amdhsa_uses_dynamic_stack 0
		.amdhsa_enable_private_segment 0
		.amdhsa_system_sgpr_workgroup_id_x 1
		.amdhsa_system_sgpr_workgroup_id_y 0
		.amdhsa_system_sgpr_workgroup_id_z 0
		.amdhsa_system_sgpr_workgroup_info 0
		.amdhsa_system_vgpr_workitem_id 0
		.amdhsa_next_free_vgpr 24
		.amdhsa_next_free_sgpr 16
		.amdhsa_reserve_vcc 1
		.amdhsa_float_round_mode_32 0
		.amdhsa_float_round_mode_16_64 0
		.amdhsa_float_denorm_mode_32 3
		.amdhsa_float_denorm_mode_16_64 3
		.amdhsa_dx10_clamp 1
		.amdhsa_ieee_mode 1
		.amdhsa_fp16_overflow 0
		.amdhsa_workgroup_processor_mode 1
		.amdhsa_memory_ordered 1
		.amdhsa_forward_progress 0
		.amdhsa_shared_vgpr_count 0
		.amdhsa_exception_fp_ieee_invalid_op 0
		.amdhsa_exception_fp_denorm_src 0
		.amdhsa_exception_fp_ieee_div_zero 0
		.amdhsa_exception_fp_ieee_overflow 0
		.amdhsa_exception_fp_ieee_underflow 0
		.amdhsa_exception_fp_ieee_inexact 0
		.amdhsa_exception_int_div_zero 0
	.end_amdhsa_kernel
	.section	.text._Z6kernelI14exclusive_scanILN6hipcub18BlockScanAlgorithmE1EEfLj64ELj8ELj100EEvPKT0_PS4_S4_,"axG",@progbits,_Z6kernelI14exclusive_scanILN6hipcub18BlockScanAlgorithmE1EEfLj64ELj8ELj100EEvPKT0_PS4_S4_,comdat
.Lfunc_end117:
	.size	_Z6kernelI14exclusive_scanILN6hipcub18BlockScanAlgorithmE1EEfLj64ELj8ELj100EEvPKT0_PS4_S4_, .Lfunc_end117-_Z6kernelI14exclusive_scanILN6hipcub18BlockScanAlgorithmE1EEfLj64ELj8ELj100EEvPKT0_PS4_S4_
                                        ; -- End function
	.section	.AMDGPU.csdata,"",@progbits
; Kernel info:
; codeLenInByte = 716
; NumSgprs: 18
; NumVgprs: 24
; ScratchSize: 0
; MemoryBound: 0
; FloatMode: 240
; IeeeMode: 1
; LDSByteSize: 264 bytes/workgroup (compile time only)
; SGPRBlocks: 2
; VGPRBlocks: 2
; NumSGPRsForWavesPerEU: 18
; NumVGPRsForWavesPerEU: 24
; Occupancy: 16
; WaveLimiterHint : 0
; COMPUTE_PGM_RSRC2:SCRATCH_EN: 0
; COMPUTE_PGM_RSRC2:USER_SGPR: 15
; COMPUTE_PGM_RSRC2:TRAP_HANDLER: 0
; COMPUTE_PGM_RSRC2:TGID_X_EN: 1
; COMPUTE_PGM_RSRC2:TGID_Y_EN: 0
; COMPUTE_PGM_RSRC2:TGID_Z_EN: 0
; COMPUTE_PGM_RSRC2:TIDIG_COMP_CNT: 0
	.section	.text._Z6kernelI14exclusive_scanILN6hipcub18BlockScanAlgorithmE1EEfLj64ELj11ELj100EEvPKT0_PS4_S4_,"axG",@progbits,_Z6kernelI14exclusive_scanILN6hipcub18BlockScanAlgorithmE1EEfLj64ELj11ELj100EEvPKT0_PS4_S4_,comdat
	.protected	_Z6kernelI14exclusive_scanILN6hipcub18BlockScanAlgorithmE1EEfLj64ELj11ELj100EEvPKT0_PS4_S4_ ; -- Begin function _Z6kernelI14exclusive_scanILN6hipcub18BlockScanAlgorithmE1EEfLj64ELj11ELj100EEvPKT0_PS4_S4_
	.globl	_Z6kernelI14exclusive_scanILN6hipcub18BlockScanAlgorithmE1EEfLj64ELj11ELj100EEvPKT0_PS4_S4_
	.p2align	8
	.type	_Z6kernelI14exclusive_scanILN6hipcub18BlockScanAlgorithmE1EEfLj64ELj11ELj100EEvPKT0_PS4_S4_,@function
_Z6kernelI14exclusive_scanILN6hipcub18BlockScanAlgorithmE1EEfLj64ELj11ELj100EEvPKT0_PS4_S4_: ; @_Z6kernelI14exclusive_scanILN6hipcub18BlockScanAlgorithmE1EEfLj64ELj11ELj100EEvPKT0_PS4_S4_
; %bb.0:
	s_clause 0x2
	s_load_b32 s2, s[0:1], 0x24
	s_load_b128 s[4:7], s[0:1], 0x0
	s_load_b32 s3, s[0:1], 0x10
	v_cmp_eq_u32_e64 s0, 0, v0
	v_cmp_ne_u32_e64 s1, 0, v0
	s_waitcnt lgkmcnt(0)
	s_and_b32 s2, s2, 0xffff
	s_delay_alu instid0(SALU_CYCLE_1) | instskip(NEXT) | instid1(VALU_DEP_1)
	v_mad_u64_u32 v[1:2], null, s15, s2, v[0:1]
	v_mul_lo_u32 v21, v1, 11
	s_delay_alu instid0(VALU_DEP_1) | instskip(NEXT) | instid1(VALU_DEP_1)
	v_dual_mov_b32 v22, 0 :: v_dual_add_nc_u32 v1, 1, v21
	v_dual_mov_b32 v2, v22 :: v_dual_add_nc_u32 v3, 2, v21
	v_lshlrev_b64 v[15:16], 2, v[21:22]
	v_dual_mov_b32 v4, v22 :: v_dual_add_nc_u32 v5, 3, v21
	s_delay_alu instid0(VALU_DEP_3) | instskip(SKIP_1) | instid1(VALU_DEP_3)
	v_lshlrev_b64 v[17:18], 2, v[1:2]
	v_dual_mov_b32 v6, v22 :: v_dual_add_nc_u32 v7, 4, v21
	v_lshlrev_b64 v[13:14], 2, v[3:4]
	v_add_co_u32 v25, vcc_lo, s4, v15
	v_dual_mov_b32 v8, v22 :: v_dual_add_nc_u32 v11, 5, v21
	v_add_co_ci_u32_e32 v26, vcc_lo, s5, v16, vcc_lo
	v_lshlrev_b64 v[9:10], 2, v[5:6]
	v_add_co_u32 v27, vcc_lo, s4, v17
	v_dual_mov_b32 v12, v22 :: v_dual_add_nc_u32 v19, 6, v21
	v_add_co_ci_u32_e32 v28, vcc_lo, s5, v18, vcc_lo
	;; [unrolled: 4-line block ×4, first 2 shown]
	v_lshlrev_b64 v[1:2], 2, v[19:20]
	v_add_co_u32 v37, vcc_lo, s4, v5
	v_add_co_ci_u32_e32 v38, vcc_lo, s5, v6, vcc_lo
	v_add_co_u32 v39, vcc_lo, s4, v3
	v_lshlrev_b64 v[7:8], 2, v[23:24]
	v_add_nc_u32_e32 v19, 9, v21
	v_add_co_ci_u32_e32 v40, vcc_lo, s5, v4, vcc_lo
	v_add_co_u32 v23, vcc_lo, s4, v1
	v_lshlrev_b64 v[11:12], 2, v[11:12]
	v_add_nc_u32_e32 v21, 10, v21
	v_add_co_ci_u32_e32 v24, vcc_lo, s5, v2, vcc_lo
	v_add_co_u32 v41, vcc_lo, s4, v7
	v_lshlrev_b64 v[19:20], 2, v[19:20]
	v_add_co_ci_u32_e32 v42, vcc_lo, s5, v8, vcc_lo
	v_add_co_u32 v43, vcc_lo, s4, v11
	v_lshlrev_b64 v[21:22], 2, v[21:22]
	v_add_co_ci_u32_e32 v44, vcc_lo, s5, v12, vcc_lo
	v_add_co_u32 v45, vcc_lo, s4, v19
	v_add_co_ci_u32_e32 v46, vcc_lo, s5, v20, vcc_lo
	s_delay_alu instid0(VALU_DEP_4)
	v_add_co_u32 v47, vcc_lo, s4, v21
	v_add_co_ci_u32_e32 v48, vcc_lo, s5, v22, vcc_lo
	s_clause 0xa
	global_load_b32 v34, v[25:26], off
	global_load_b32 v32, v[27:28], off
	;; [unrolled: 1-line block ×11, first 2 shown]
	v_add_nc_u32_e32 v36, -1, v0
	v_lshrrev_b32_e32 v29, 5, v0
	v_lshlrev_b32_e32 v37, 1, v0
	v_lshrrev_b32_e32 v38, 4, v0
	v_mbcnt_lo_u32_b32 v35, -1, 0
	v_lshrrev_b32_e32 v39, 5, v36
	v_add_lshl_u32 v29, v29, v0, 2
	v_cmp_gt_u32_e32 vcc_lo, 32, v0
	v_add_lshl_u32 v0, v38, v37, 2
	v_and_b32_e32 v37, 15, v35
	v_add_lshl_u32 v36, v39, v36, 2
	v_and_b32_e32 v38, 16, v35
	v_add_nc_u32_e32 v39, -1, v35
	s_movk_i32 s4, 0x64
.LBB118_1:                              ; =>This Inner Loop Header: Depth=1
	s_waitcnt vmcnt(9)
	s_delay_alu instid0(VALU_DEP_1) | instskip(SKIP_1) | instid1(VALU_DEP_1)
	v_add_f32_e32 v40, v32, v34
	s_waitcnt vmcnt(8)
	v_add_f32_e32 v40, v31, v40
	s_waitcnt vmcnt(7)
	s_delay_alu instid0(VALU_DEP_1) | instskip(SKIP_1) | instid1(VALU_DEP_1)
	v_add_f32_e32 v40, v30, v40
	s_waitcnt vmcnt(6)
	v_add_f32_e32 v40, v28, v40
	s_waitcnt vmcnt(5)
	s_delay_alu instid0(VALU_DEP_1) | instskip(SKIP_1) | instid1(VALU_DEP_1)
	v_add_f32_e32 v40, v27, v40
	s_waitcnt vmcnt(4)
	v_add_f32_e32 v40, v26, v40
	s_waitcnt vmcnt(3)
	s_delay_alu instid0(VALU_DEP_1) | instskip(SKIP_1) | instid1(VALU_DEP_1)
	v_add_f32_e32 v40, v25, v40
	s_waitcnt vmcnt(2)
	v_add_f32_e32 v40, v24, v40
	s_waitcnt vmcnt(1)
	s_delay_alu instid0(VALU_DEP_1) | instskip(SKIP_1) | instid1(VALU_DEP_1)
	v_add_f32_e32 v40, v23, v40
	s_waitcnt vmcnt(0)
	v_add_f32_e32 v33, v33, v40
	ds_store_b32 v29, v33
	s_waitcnt lgkmcnt(0)
	s_barrier
	buffer_gl0_inv
	s_and_saveexec_b32 s5, vcc_lo
	s_cbranch_execz .LBB118_3
; %bb.2:                                ;   in Loop: Header=BB118_1 Depth=1
	ds_load_2addr_b32 v[40:41], v0 offset1:1
	v_cmp_eq_u32_e64 s2, 0, v37
	s_waitcnt lgkmcnt(0)
	v_add_f32_e32 v42, v40, v41
	s_delay_alu instid0(VALU_DEP_1) | instskip(NEXT) | instid1(VALU_DEP_1)
	v_mov_b32_dpp v43, v42 row_shr:1 row_mask:0xf bank_mask:0xf
	v_add_f32_e32 v43, v42, v43
	s_delay_alu instid0(VALU_DEP_1) | instskip(SKIP_1) | instid1(VALU_DEP_2)
	v_cndmask_b32_e64 v42, v43, v42, s2
	v_cmp_lt_u32_e64 s2, 1, v37
	v_mov_b32_dpp v43, v42 row_shr:2 row_mask:0xf bank_mask:0xf
	s_delay_alu instid0(VALU_DEP_1) | instskip(NEXT) | instid1(VALU_DEP_1)
	v_add_f32_e32 v43, v42, v43
	v_cndmask_b32_e64 v42, v42, v43, s2
	v_cmp_lt_u32_e64 s2, 3, v37
	s_delay_alu instid0(VALU_DEP_2) | instskip(NEXT) | instid1(VALU_DEP_1)
	v_mov_b32_dpp v43, v42 row_shr:4 row_mask:0xf bank_mask:0xf
	v_add_f32_e32 v43, v42, v43
	s_delay_alu instid0(VALU_DEP_1) | instskip(SKIP_1) | instid1(VALU_DEP_2)
	v_cndmask_b32_e64 v42, v42, v43, s2
	v_cmp_lt_u32_e64 s2, 7, v37
	v_mov_b32_dpp v43, v42 row_shr:8 row_mask:0xf bank_mask:0xf
	s_delay_alu instid0(VALU_DEP_1) | instskip(NEXT) | instid1(VALU_DEP_1)
	v_add_f32_e32 v43, v42, v43
	v_cndmask_b32_e64 v42, v42, v43, s2
	v_cmp_gt_i32_e64 s2, 0, v39
	ds_swizzle_b32 v43, v42 offset:swizzle(BROADCAST,32,15)
	v_cndmask_b32_e64 v44, v39, v35, s2
	v_cmp_eq_u32_e64 s2, 0, v38
	s_waitcnt lgkmcnt(0)
	v_add_f32_e32 v43, v42, v43
	s_delay_alu instid0(VALU_DEP_1) | instskip(SKIP_4) | instid1(VALU_DEP_1)
	v_cndmask_b32_e64 v42, v43, v42, s2
	v_lshlrev_b32_e32 v43, 2, v44
	ds_bpermute_b32 v42, v43, v42
	s_waitcnt lgkmcnt(0)
	v_add_f32_e32 v40, v40, v42
	v_cndmask_b32_e64 v33, v40, v33, s0
	s_delay_alu instid0(VALU_DEP_1)
	v_add_f32_e32 v40, v41, v33
	ds_store_2addr_b32 v0, v33, v40 offset1:1
.LBB118_3:                              ;   in Loop: Header=BB118_1 Depth=1
	s_or_b32 exec_lo, exec_lo, s5
	v_mov_b32_e32 v40, s3
	s_waitcnt lgkmcnt(0)
	s_barrier
	buffer_gl0_inv
	s_and_saveexec_b32 s2, s1
	s_cbranch_execz .LBB118_5
; %bb.4:                                ;   in Loop: Header=BB118_1 Depth=1
	ds_load_b32 v33, v36
	s_waitcnt lgkmcnt(0)
	v_add_f32_e32 v40, s3, v33
.LBB118_5:                              ;   in Loop: Header=BB118_1 Depth=1
	s_or_b32 exec_lo, exec_lo, s2
	s_delay_alu instid0(VALU_DEP_1) | instskip(SKIP_1) | instid1(SALU_CYCLE_1)
	v_add_f32_e32 v34, v34, v40
	s_add_i32 s4, s4, -1
	s_cmp_lg_u32 s4, 0
	s_delay_alu instid0(VALU_DEP_1) | instskip(NEXT) | instid1(VALU_DEP_1)
	v_add_f32_e32 v32, v32, v34
	v_add_f32_e32 v31, v31, v32
	s_delay_alu instid0(VALU_DEP_1) | instskip(NEXT) | instid1(VALU_DEP_1)
	v_add_f32_e32 v30, v30, v31
	v_add_f32_e32 v28, v28, v30
	;; [unrolled: 3-line block ×4, first 2 shown]
	s_delay_alu instid0(VALU_DEP_1)
	v_add_f32_e32 v33, v23, v24
	s_cbranch_scc0 .LBB118_7
; %bb.6:                                ;   in Loop: Header=BB118_1 Depth=1
	v_dual_mov_b32 v23, v24 :: v_dual_mov_b32 v24, v25
	v_dual_mov_b32 v25, v26 :: v_dual_mov_b32 v26, v27
	;; [unrolled: 1-line block ×4, first 2 shown]
	v_mov_b32_e32 v32, v34
	v_mov_b32_e32 v34, v40
	s_branch .LBB118_1
.LBB118_7:
	v_add_co_u32 v15, vcc_lo, s6, v15
	v_add_co_ci_u32_e32 v16, vcc_lo, s7, v16, vcc_lo
	v_add_co_u32 v17, vcc_lo, s6, v17
	v_add_co_ci_u32_e32 v18, vcc_lo, s7, v18, vcc_lo
	;; [unrolled: 2-line block ×11, first 2 shown]
	s_clause 0xa
	global_store_b32 v[15:16], v40, off
	global_store_b32 v[17:18], v34, off
	;; [unrolled: 1-line block ×11, first 2 shown]
	s_nop 0
	s_sendmsg sendmsg(MSG_DEALLOC_VGPRS)
	s_endpgm
	.section	.rodata,"a",@progbits
	.p2align	6, 0x0
	.amdhsa_kernel _Z6kernelI14exclusive_scanILN6hipcub18BlockScanAlgorithmE1EEfLj64ELj11ELj100EEvPKT0_PS4_S4_
		.amdhsa_group_segment_fixed_size 264
		.amdhsa_private_segment_fixed_size 0
		.amdhsa_kernarg_size 280
		.amdhsa_user_sgpr_count 15
		.amdhsa_user_sgpr_dispatch_ptr 0
		.amdhsa_user_sgpr_queue_ptr 0
		.amdhsa_user_sgpr_kernarg_segment_ptr 1
		.amdhsa_user_sgpr_dispatch_id 0
		.amdhsa_user_sgpr_private_segment_size 0
		.amdhsa_wavefront_size32 1
		.amdhsa_uses_dynamic_stack 0
		.amdhsa_enable_private_segment 0
		.amdhsa_system_sgpr_workgroup_id_x 1
		.amdhsa_system_sgpr_workgroup_id_y 0
		.amdhsa_system_sgpr_workgroup_id_z 0
		.amdhsa_system_sgpr_workgroup_info 0
		.amdhsa_system_vgpr_workitem_id 0
		.amdhsa_next_free_vgpr 49
		.amdhsa_next_free_sgpr 16
		.amdhsa_reserve_vcc 1
		.amdhsa_float_round_mode_32 0
		.amdhsa_float_round_mode_16_64 0
		.amdhsa_float_denorm_mode_32 3
		.amdhsa_float_denorm_mode_16_64 3
		.amdhsa_dx10_clamp 1
		.amdhsa_ieee_mode 1
		.amdhsa_fp16_overflow 0
		.amdhsa_workgroup_processor_mode 1
		.amdhsa_memory_ordered 1
		.amdhsa_forward_progress 0
		.amdhsa_shared_vgpr_count 0
		.amdhsa_exception_fp_ieee_invalid_op 0
		.amdhsa_exception_fp_denorm_src 0
		.amdhsa_exception_fp_ieee_div_zero 0
		.amdhsa_exception_fp_ieee_overflow 0
		.amdhsa_exception_fp_ieee_underflow 0
		.amdhsa_exception_fp_ieee_inexact 0
		.amdhsa_exception_int_div_zero 0
	.end_amdhsa_kernel
	.section	.text._Z6kernelI14exclusive_scanILN6hipcub18BlockScanAlgorithmE1EEfLj64ELj11ELj100EEvPKT0_PS4_S4_,"axG",@progbits,_Z6kernelI14exclusive_scanILN6hipcub18BlockScanAlgorithmE1EEfLj64ELj11ELj100EEvPKT0_PS4_S4_,comdat
.Lfunc_end118:
	.size	_Z6kernelI14exclusive_scanILN6hipcub18BlockScanAlgorithmE1EEfLj64ELj11ELj100EEvPKT0_PS4_S4_, .Lfunc_end118-_Z6kernelI14exclusive_scanILN6hipcub18BlockScanAlgorithmE1EEfLj64ELj11ELj100EEvPKT0_PS4_S4_
                                        ; -- End function
	.section	.AMDGPU.csdata,"",@progbits
; Kernel info:
; codeLenInByte = 1332
; NumSgprs: 18
; NumVgprs: 49
; ScratchSize: 0
; MemoryBound: 0
; FloatMode: 240
; IeeeMode: 1
; LDSByteSize: 264 bytes/workgroup (compile time only)
; SGPRBlocks: 2
; VGPRBlocks: 6
; NumSGPRsForWavesPerEU: 18
; NumVGPRsForWavesPerEU: 49
; Occupancy: 16
; WaveLimiterHint : 0
; COMPUTE_PGM_RSRC2:SCRATCH_EN: 0
; COMPUTE_PGM_RSRC2:USER_SGPR: 15
; COMPUTE_PGM_RSRC2:TRAP_HANDLER: 0
; COMPUTE_PGM_RSRC2:TGID_X_EN: 1
; COMPUTE_PGM_RSRC2:TGID_Y_EN: 0
; COMPUTE_PGM_RSRC2:TGID_Z_EN: 0
; COMPUTE_PGM_RSRC2:TIDIG_COMP_CNT: 0
	.section	.text._Z6kernelI14exclusive_scanILN6hipcub18BlockScanAlgorithmE1EEfLj64ELj16ELj100EEvPKT0_PS4_S4_,"axG",@progbits,_Z6kernelI14exclusive_scanILN6hipcub18BlockScanAlgorithmE1EEfLj64ELj16ELj100EEvPKT0_PS4_S4_,comdat
	.protected	_Z6kernelI14exclusive_scanILN6hipcub18BlockScanAlgorithmE1EEfLj64ELj16ELj100EEvPKT0_PS4_S4_ ; -- Begin function _Z6kernelI14exclusive_scanILN6hipcub18BlockScanAlgorithmE1EEfLj64ELj16ELj100EEvPKT0_PS4_S4_
	.globl	_Z6kernelI14exclusive_scanILN6hipcub18BlockScanAlgorithmE1EEfLj64ELj16ELj100EEvPKT0_PS4_S4_
	.p2align	8
	.type	_Z6kernelI14exclusive_scanILN6hipcub18BlockScanAlgorithmE1EEfLj64ELj16ELj100EEvPKT0_PS4_S4_,@function
_Z6kernelI14exclusive_scanILN6hipcub18BlockScanAlgorithmE1EEfLj64ELj16ELj100EEvPKT0_PS4_S4_: ; @_Z6kernelI14exclusive_scanILN6hipcub18BlockScanAlgorithmE1EEfLj64ELj16ELj100EEvPKT0_PS4_S4_
; %bb.0:
	s_clause 0x1
	s_load_b32 s2, s[0:1], 0x24
	s_load_b128 s[4:7], s[0:1], 0x0
	v_mov_b32_e32 v2, 0
	v_lshrrev_b32_e32 v17, 5, v0
	s_load_b32 s3, s[0:1], 0x10
	v_add_nc_u32_e32 v18, -1, v0
	v_lshrrev_b32_e32 v19, 4, v0
	v_mbcnt_lo_u32_b32 v24, -1, 0
	v_add_lshl_u32 v23, v17, v0, 2
	v_lshlrev_b32_e32 v17, 1, v0
	v_lshrrev_b32_e32 v20, 5, v18
	v_cmp_eq_u32_e64 s0, 0, v0
	v_cmp_ne_u32_e64 s1, 0, v0
	v_and_b32_e32 v27, 15, v24
	v_add_lshl_u32 v25, v19, v17, 2
	v_add_lshl_u32 v26, v20, v18, 2
	v_and_b32_e32 v28, 16, v24
	v_add_nc_u32_e32 v29, -1, v24
	s_waitcnt lgkmcnt(0)
	s_and_b32 s2, s2, 0xffff
	s_delay_alu instid0(SALU_CYCLE_1) | instskip(NEXT) | instid1(SALU_CYCLE_1)
	s_mul_i32 s15, s15, s2
	v_add_lshl_u32 v1, s15, v0, 4
	s_delay_alu instid0(VALU_DEP_1) | instskip(NEXT) | instid1(VALU_DEP_1)
	v_lshlrev_b64 v[21:22], 2, v[1:2]
	v_add_co_u32 v1, vcc_lo, s4, v21
	s_delay_alu instid0(VALU_DEP_2)
	v_add_co_ci_u32_e32 v2, vcc_lo, s5, v22, vcc_lo
	v_cmp_gt_u32_e32 vcc_lo, 32, v0
	s_movk_i32 s4, 0x64
	s_clause 0x3
	global_load_b128 v[13:16], v[1:2], off
	global_load_b128 v[9:12], v[1:2], off offset:16
	global_load_b128 v[5:8], v[1:2], off offset:32
	;; [unrolled: 1-line block ×3, first 2 shown]
.LBB119_1:                              ; =>This Inner Loop Header: Depth=1
	s_waitcnt vmcnt(3)
	s_delay_alu instid0(VALU_DEP_1) | instskip(NEXT) | instid1(VALU_DEP_1)
	v_add_f32_e32 v0, v14, v13
	v_add_f32_e32 v0, v15, v0
	s_delay_alu instid0(VALU_DEP_1) | instskip(SKIP_1) | instid1(VALU_DEP_1)
	v_add_f32_e32 v0, v16, v0
	s_waitcnt vmcnt(2)
	v_add_f32_e32 v0, v9, v0
	s_delay_alu instid0(VALU_DEP_1) | instskip(NEXT) | instid1(VALU_DEP_1)
	v_add_f32_e32 v0, v10, v0
	v_add_f32_e32 v0, v11, v0
	s_delay_alu instid0(VALU_DEP_1) | instskip(SKIP_1) | instid1(VALU_DEP_1)
	v_add_f32_e32 v0, v12, v0
	s_waitcnt vmcnt(1)
	v_add_f32_e32 v0, v5, v0
	;; [unrolled: 7-line block ×3, first 2 shown]
	s_delay_alu instid0(VALU_DEP_1) | instskip(NEXT) | instid1(VALU_DEP_1)
	v_add_f32_e32 v0, v2, v0
	v_add_f32_e32 v0, v3, v0
	s_delay_alu instid0(VALU_DEP_1)
	v_add_f32_e32 v0, v4, v0
	ds_store_b32 v23, v0
	s_waitcnt lgkmcnt(0)
	s_barrier
	buffer_gl0_inv
	s_and_saveexec_b32 s5, vcc_lo
	s_cbranch_execz .LBB119_3
; %bb.2:                                ;   in Loop: Header=BB119_1 Depth=1
	ds_load_2addr_b32 v[17:18], v25 offset1:1
	v_cmp_eq_u32_e64 s2, 0, v27
	s_waitcnt lgkmcnt(0)
	v_add_f32_e32 v4, v17, v18
	s_delay_alu instid0(VALU_DEP_1) | instskip(NEXT) | instid1(VALU_DEP_1)
	v_mov_b32_dpp v19, v4 row_shr:1 row_mask:0xf bank_mask:0xf
	v_add_f32_e32 v19, v4, v19
	s_delay_alu instid0(VALU_DEP_1) | instskip(SKIP_1) | instid1(VALU_DEP_2)
	v_cndmask_b32_e64 v4, v19, v4, s2
	v_cmp_lt_u32_e64 s2, 1, v27
	v_mov_b32_dpp v19, v4 row_shr:2 row_mask:0xf bank_mask:0xf
	s_delay_alu instid0(VALU_DEP_1) | instskip(NEXT) | instid1(VALU_DEP_1)
	v_add_f32_e32 v19, v4, v19
	v_cndmask_b32_e64 v4, v4, v19, s2
	v_cmp_lt_u32_e64 s2, 3, v27
	s_delay_alu instid0(VALU_DEP_2) | instskip(NEXT) | instid1(VALU_DEP_1)
	v_mov_b32_dpp v19, v4 row_shr:4 row_mask:0xf bank_mask:0xf
	v_add_f32_e32 v19, v4, v19
	s_delay_alu instid0(VALU_DEP_1) | instskip(SKIP_1) | instid1(VALU_DEP_2)
	v_cndmask_b32_e64 v4, v4, v19, s2
	v_cmp_lt_u32_e64 s2, 7, v27
	v_mov_b32_dpp v19, v4 row_shr:8 row_mask:0xf bank_mask:0xf
	s_delay_alu instid0(VALU_DEP_1) | instskip(NEXT) | instid1(VALU_DEP_1)
	v_add_f32_e32 v19, v4, v19
	v_cndmask_b32_e64 v4, v4, v19, s2
	v_cmp_gt_i32_e64 s2, 0, v29
	ds_swizzle_b32 v19, v4 offset:swizzle(BROADCAST,32,15)
	v_cndmask_b32_e64 v20, v29, v24, s2
	v_cmp_eq_u32_e64 s2, 0, v28
	s_waitcnt lgkmcnt(0)
	v_add_f32_e32 v19, v4, v19
	s_delay_alu instid0(VALU_DEP_1) | instskip(SKIP_4) | instid1(VALU_DEP_1)
	v_cndmask_b32_e64 v4, v19, v4, s2
	v_lshlrev_b32_e32 v19, 2, v20
	ds_bpermute_b32 v4, v19, v4
	s_waitcnt lgkmcnt(0)
	v_add_f32_e32 v4, v17, v4
	v_cndmask_b32_e64 v0, v4, v0, s0
	s_delay_alu instid0(VALU_DEP_1)
	v_add_f32_e32 v4, v18, v0
	ds_store_2addr_b32 v25, v0, v4 offset1:1
.LBB119_3:                              ;   in Loop: Header=BB119_1 Depth=1
	s_or_b32 exec_lo, exec_lo, s5
	v_mov_b32_e32 v17, s3
	s_waitcnt lgkmcnt(0)
	s_barrier
	buffer_gl0_inv
	s_and_saveexec_b32 s2, s1
	s_cbranch_execz .LBB119_5
; %bb.4:                                ;   in Loop: Header=BB119_1 Depth=1
	ds_load_b32 v0, v26
	s_waitcnt lgkmcnt(0)
	v_add_f32_e32 v17, s3, v0
.LBB119_5:                              ;   in Loop: Header=BB119_1 Depth=1
	s_or_b32 exec_lo, exec_lo, s2
	s_delay_alu instid0(VALU_DEP_1) | instskip(SKIP_1) | instid1(SALU_CYCLE_1)
	v_add_f32_e32 v18, v13, v17
	s_add_i32 s4, s4, -1
	s_cmp_lg_u32 s4, 0
	s_delay_alu instid0(VALU_DEP_1) | instskip(NEXT) | instid1(VALU_DEP_1)
	v_add_f32_e32 v19, v14, v18
	v_add_f32_e32 v20, v15, v19
	s_delay_alu instid0(VALU_DEP_1) | instskip(NEXT) | instid1(VALU_DEP_1)
	v_add_f32_e32 v13, v16, v20
	v_add_f32_e32 v14, v9, v13
	;; [unrolled: 3-line block ×7, first 2 shown]
	s_cbranch_scc0 .LBB119_7
; %bb.6:                                ;   in Loop: Header=BB119_1 Depth=1
	v_dual_mov_b32 v3, v2 :: v_dual_mov_b32 v2, v1
	v_dual_mov_b32 v1, v0 :: v_dual_mov_b32 v6, v10
	;; [unrolled: 1-line block ×7, first 2 shown]
	v_mov_b32_e32 v13, v17
	s_branch .LBB119_1
.LBB119_7:
	v_add_co_u32 v5, vcc_lo, s6, v21
	v_add_co_ci_u32_e32 v6, vcc_lo, s7, v22, vcc_lo
	s_delay_alu instid0(VALU_DEP_3)
	v_mov_b32_e32 v3, v4
	s_clause 0x3
	global_store_b128 v[5:6], v[17:20], off
	global_store_b128 v[5:6], v[13:16], off offset:16
	global_store_b128 v[5:6], v[9:12], off offset:32
	;; [unrolled: 1-line block ×3, first 2 shown]
	s_nop 0
	s_sendmsg sendmsg(MSG_DEALLOC_VGPRS)
	s_endpgm
	.section	.rodata,"a",@progbits
	.p2align	6, 0x0
	.amdhsa_kernel _Z6kernelI14exclusive_scanILN6hipcub18BlockScanAlgorithmE1EEfLj64ELj16ELj100EEvPKT0_PS4_S4_
		.amdhsa_group_segment_fixed_size 264
		.amdhsa_private_segment_fixed_size 0
		.amdhsa_kernarg_size 280
		.amdhsa_user_sgpr_count 15
		.amdhsa_user_sgpr_dispatch_ptr 0
		.amdhsa_user_sgpr_queue_ptr 0
		.amdhsa_user_sgpr_kernarg_segment_ptr 1
		.amdhsa_user_sgpr_dispatch_id 0
		.amdhsa_user_sgpr_private_segment_size 0
		.amdhsa_wavefront_size32 1
		.amdhsa_uses_dynamic_stack 0
		.amdhsa_enable_private_segment 0
		.amdhsa_system_sgpr_workgroup_id_x 1
		.amdhsa_system_sgpr_workgroup_id_y 0
		.amdhsa_system_sgpr_workgroup_id_z 0
		.amdhsa_system_sgpr_workgroup_info 0
		.amdhsa_system_vgpr_workitem_id 0
		.amdhsa_next_free_vgpr 30
		.amdhsa_next_free_sgpr 16
		.amdhsa_reserve_vcc 1
		.amdhsa_float_round_mode_32 0
		.amdhsa_float_round_mode_16_64 0
		.amdhsa_float_denorm_mode_32 3
		.amdhsa_float_denorm_mode_16_64 3
		.amdhsa_dx10_clamp 1
		.amdhsa_ieee_mode 1
		.amdhsa_fp16_overflow 0
		.amdhsa_workgroup_processor_mode 1
		.amdhsa_memory_ordered 1
		.amdhsa_forward_progress 0
		.amdhsa_shared_vgpr_count 0
		.amdhsa_exception_fp_ieee_invalid_op 0
		.amdhsa_exception_fp_denorm_src 0
		.amdhsa_exception_fp_ieee_div_zero 0
		.amdhsa_exception_fp_ieee_overflow 0
		.amdhsa_exception_fp_ieee_underflow 0
		.amdhsa_exception_fp_ieee_inexact 0
		.amdhsa_exception_int_div_zero 0
	.end_amdhsa_kernel
	.section	.text._Z6kernelI14exclusive_scanILN6hipcub18BlockScanAlgorithmE1EEfLj64ELj16ELj100EEvPKT0_PS4_S4_,"axG",@progbits,_Z6kernelI14exclusive_scanILN6hipcub18BlockScanAlgorithmE1EEfLj64ELj16ELj100EEvPKT0_PS4_S4_,comdat
.Lfunc_end119:
	.size	_Z6kernelI14exclusive_scanILN6hipcub18BlockScanAlgorithmE1EEfLj64ELj16ELj100EEvPKT0_PS4_S4_, .Lfunc_end119-_Z6kernelI14exclusive_scanILN6hipcub18BlockScanAlgorithmE1EEfLj64ELj16ELj100EEvPKT0_PS4_S4_
                                        ; -- End function
	.section	.AMDGPU.csdata,"",@progbits
; Kernel info:
; codeLenInByte = 888
; NumSgprs: 18
; NumVgprs: 30
; ScratchSize: 0
; MemoryBound: 0
; FloatMode: 240
; IeeeMode: 1
; LDSByteSize: 264 bytes/workgroup (compile time only)
; SGPRBlocks: 2
; VGPRBlocks: 3
; NumSGPRsForWavesPerEU: 18
; NumVGPRsForWavesPerEU: 30
; Occupancy: 16
; WaveLimiterHint : 0
; COMPUTE_PGM_RSRC2:SCRATCH_EN: 0
; COMPUTE_PGM_RSRC2:USER_SGPR: 15
; COMPUTE_PGM_RSRC2:TRAP_HANDLER: 0
; COMPUTE_PGM_RSRC2:TGID_X_EN: 1
; COMPUTE_PGM_RSRC2:TGID_Y_EN: 0
; COMPUTE_PGM_RSRC2:TGID_Z_EN: 0
; COMPUTE_PGM_RSRC2:TIDIG_COMP_CNT: 0
	.section	.text._Z6kernelI14exclusive_scanILN6hipcub18BlockScanAlgorithmE1EEdLj64ELj1ELj100EEvPKT0_PS4_S4_,"axG",@progbits,_Z6kernelI14exclusive_scanILN6hipcub18BlockScanAlgorithmE1EEdLj64ELj1ELj100EEvPKT0_PS4_S4_,comdat
	.protected	_Z6kernelI14exclusive_scanILN6hipcub18BlockScanAlgorithmE1EEdLj64ELj1ELj100EEvPKT0_PS4_S4_ ; -- Begin function _Z6kernelI14exclusive_scanILN6hipcub18BlockScanAlgorithmE1EEdLj64ELj1ELj100EEvPKT0_PS4_S4_
	.globl	_Z6kernelI14exclusive_scanILN6hipcub18BlockScanAlgorithmE1EEdLj64ELj1ELj100EEvPKT0_PS4_S4_
	.p2align	8
	.type	_Z6kernelI14exclusive_scanILN6hipcub18BlockScanAlgorithmE1EEdLj64ELj1ELj100EEvPKT0_PS4_S4_,@function
_Z6kernelI14exclusive_scanILN6hipcub18BlockScanAlgorithmE1EEdLj64ELj1ELj100EEvPKT0_PS4_S4_: ; @_Z6kernelI14exclusive_scanILN6hipcub18BlockScanAlgorithmE1EEdLj64ELj1ELj100EEvPKT0_PS4_S4_
; %bb.0:
	s_clause 0x2
	s_load_b32 s2, s[0:1], 0x24
	s_load_b128 s[4:7], s[0:1], 0x0
	s_load_b64 s[8:9], s[0:1], 0x10
	v_lshrrev_b32_e32 v3, 4, v0
	v_mbcnt_lo_u32_b32 v13, -1, 0
	v_cmp_eq_u32_e64 s0, 0, v0
	v_cmp_ne_u32_e64 s1, 0, v0
	s_movk_i32 s3, 0x64
	s_delay_alu instid0(VALU_DEP_3) | instskip(SKIP_4) | instid1(SALU_CYCLE_1)
	v_and_b32_e32 v16, 15, v13
	v_and_b32_e32 v17, 16, v13
	v_add_nc_u32_e32 v18, -1, v13
	s_waitcnt lgkmcnt(0)
	s_and_b32 s2, s2, 0xffff
	v_mad_u64_u32 v[1:2], null, s15, s2, v[0:1]
	v_mov_b32_e32 v2, 0
	s_delay_alu instid0(VALU_DEP_1) | instskip(NEXT) | instid1(VALU_DEP_1)
	v_lshlrev_b64 v[4:5], 3, v[1:2]
	v_add_co_u32 v1, vcc_lo, s4, v4
	s_delay_alu instid0(VALU_DEP_2) | instskip(SKIP_4) | instid1(VALU_DEP_2)
	v_add_co_ci_u32_e32 v2, vcc_lo, s5, v5, vcc_lo
	v_cmp_gt_u32_e32 vcc_lo, 32, v0
	global_load_b64 v[6:7], v[1:2], off
	v_lshrrev_b32_e32 v1, 5, v0
	v_add_nc_u32_e32 v2, -1, v0
	v_add_lshl_u32 v12, v1, v0, 3
	v_lshlrev_b32_e32 v1, 1, v0
	s_delay_alu instid0(VALU_DEP_3) | instskip(NEXT) | instid1(VALU_DEP_2)
	v_lshrrev_b32_e32 v8, 5, v2
	v_add_lshl_u32 v14, v3, v1, 3
	s_delay_alu instid0(VALU_DEP_2)
	v_add_lshl_u32 v15, v8, v2, 3
	s_branch .LBB120_2
.LBB120_1:                              ;   in Loop: Header=BB120_2 Depth=1
	s_or_b32 exec_lo, exec_lo, s2
	s_add_i32 s3, s3, -1
	s_delay_alu instid0(SALU_CYCLE_1)
	s_cmp_lg_u32 s3, 0
	s_cbranch_scc0 .LBB120_16
.LBB120_2:                              ; =>This Inner Loop Header: Depth=1
	s_waitcnt vmcnt(0)
	ds_store_b64 v12, v[6:7]
	s_waitcnt lgkmcnt(0)
	s_barrier
	buffer_gl0_inv
	s_and_saveexec_b32 s4, vcc_lo
	s_cbranch_execz .LBB120_14
; %bb.3:                                ;   in Loop: Header=BB120_2 Depth=1
	ds_load_2addr_b64 v[0:3], v14 offset1:1
	s_mov_b32 s5, exec_lo
	s_waitcnt lgkmcnt(0)
	v_add_f64 v[8:9], v[0:1], v[2:3]
	s_delay_alu instid0(VALU_DEP_1) | instskip(NEXT) | instid1(VALU_DEP_2)
	v_mov_b32_dpp v10, v8 row_shr:1 row_mask:0xf bank_mask:0xf
	v_mov_b32_dpp v11, v9 row_shr:1 row_mask:0xf bank_mask:0xf
	v_cmpx_ne_u32_e32 0, v16
; %bb.4:                                ;   in Loop: Header=BB120_2 Depth=1
	s_delay_alu instid0(VALU_DEP_2)
	v_add_f64 v[8:9], v[8:9], v[10:11]
; %bb.5:                                ;   in Loop: Header=BB120_2 Depth=1
	s_or_b32 exec_lo, exec_lo, s5
	s_delay_alu instid0(VALU_DEP_1) | instskip(NEXT) | instid1(VALU_DEP_2)
	v_mov_b32_dpp v10, v8 row_shr:2 row_mask:0xf bank_mask:0xf
	v_mov_b32_dpp v11, v9 row_shr:2 row_mask:0xf bank_mask:0xf
	s_mov_b32 s5, exec_lo
	v_cmpx_lt_u32_e32 1, v16
; %bb.6:                                ;   in Loop: Header=BB120_2 Depth=1
	s_delay_alu instid0(VALU_DEP_2)
	v_add_f64 v[8:9], v[8:9], v[10:11]
; %bb.7:                                ;   in Loop: Header=BB120_2 Depth=1
	s_or_b32 exec_lo, exec_lo, s5
	s_delay_alu instid0(VALU_DEP_1) | instskip(NEXT) | instid1(VALU_DEP_2)
	v_mov_b32_dpp v10, v8 row_shr:4 row_mask:0xf bank_mask:0xf
	v_mov_b32_dpp v11, v9 row_shr:4 row_mask:0xf bank_mask:0xf
	s_mov_b32 s5, exec_lo
	v_cmpx_lt_u32_e32 3, v16
	;; [unrolled: 10-line block ×3, first 2 shown]
; %bb.10:                               ;   in Loop: Header=BB120_2 Depth=1
	s_delay_alu instid0(VALU_DEP_2)
	v_add_f64 v[8:9], v[8:9], v[10:11]
; %bb.11:                               ;   in Loop: Header=BB120_2 Depth=1
	s_or_b32 exec_lo, exec_lo, s5
	ds_swizzle_b32 v10, v8 offset:swizzle(BROADCAST,32,15)
	ds_swizzle_b32 v11, v9 offset:swizzle(BROADCAST,32,15)
	s_mov_b32 s5, exec_lo
	v_cmpx_ne_u32_e32 0, v17
	s_cbranch_execz .LBB120_13
; %bb.12:                               ;   in Loop: Header=BB120_2 Depth=1
	s_waitcnt lgkmcnt(0)
	v_add_f64 v[8:9], v[8:9], v[10:11]
.LBB120_13:                             ;   in Loop: Header=BB120_2 Depth=1
	s_or_b32 exec_lo, exec_lo, s5
	v_cmp_gt_i32_e64 s2, 0, v18
	s_waitcnt lgkmcnt(1)
	s_delay_alu instid0(VALU_DEP_1) | instskip(NEXT) | instid1(VALU_DEP_1)
	v_cndmask_b32_e64 v10, v18, v13, s2
	v_lshlrev_b32_e32 v10, 2, v10
	ds_bpermute_b32 v8, v10, v8
	ds_bpermute_b32 v9, v10, v9
	s_waitcnt lgkmcnt(0)
	v_add_f64 v[0:1], v[0:1], v[8:9]
	s_delay_alu instid0(VALU_DEP_1) | instskip(NEXT) | instid1(VALU_DEP_2)
	v_cndmask_b32_e64 v1, v1, v7, s0
	v_cndmask_b32_e64 v0, v0, v6, s0
	s_delay_alu instid0(VALU_DEP_1)
	v_add_f64 v[2:3], v[2:3], v[0:1]
	ds_store_2addr_b64 v14, v[0:1], v[2:3] offset1:1
.LBB120_14:                             ;   in Loop: Header=BB120_2 Depth=1
	s_or_b32 exec_lo, exec_lo, s4
	v_dual_mov_b32 v6, s8 :: v_dual_mov_b32 v7, s9
	s_waitcnt lgkmcnt(0)
	s_barrier
	buffer_gl0_inv
	s_and_saveexec_b32 s2, s1
	s_cbranch_execz .LBB120_1
; %bb.15:                               ;   in Loop: Header=BB120_2 Depth=1
	ds_load_b64 v[0:1], v15
	s_waitcnt lgkmcnt(0)
	v_add_f64 v[6:7], v[0:1], s[8:9]
	s_branch .LBB120_1
.LBB120_16:
	v_add_co_u32 v0, vcc_lo, s6, v4
	v_add_co_ci_u32_e32 v1, vcc_lo, s7, v5, vcc_lo
	global_store_b64 v[0:1], v[6:7], off
	s_nop 0
	s_sendmsg sendmsg(MSG_DEALLOC_VGPRS)
	s_endpgm
	.section	.rodata,"a",@progbits
	.p2align	6, 0x0
	.amdhsa_kernel _Z6kernelI14exclusive_scanILN6hipcub18BlockScanAlgorithmE1EEdLj64ELj1ELj100EEvPKT0_PS4_S4_
		.amdhsa_group_segment_fixed_size 528
		.amdhsa_private_segment_fixed_size 0
		.amdhsa_kernarg_size 280
		.amdhsa_user_sgpr_count 15
		.amdhsa_user_sgpr_dispatch_ptr 0
		.amdhsa_user_sgpr_queue_ptr 0
		.amdhsa_user_sgpr_kernarg_segment_ptr 1
		.amdhsa_user_sgpr_dispatch_id 0
		.amdhsa_user_sgpr_private_segment_size 0
		.amdhsa_wavefront_size32 1
		.amdhsa_uses_dynamic_stack 0
		.amdhsa_enable_private_segment 0
		.amdhsa_system_sgpr_workgroup_id_x 1
		.amdhsa_system_sgpr_workgroup_id_y 0
		.amdhsa_system_sgpr_workgroup_id_z 0
		.amdhsa_system_sgpr_workgroup_info 0
		.amdhsa_system_vgpr_workitem_id 0
		.amdhsa_next_free_vgpr 19
		.amdhsa_next_free_sgpr 16
		.amdhsa_reserve_vcc 1
		.amdhsa_float_round_mode_32 0
		.amdhsa_float_round_mode_16_64 0
		.amdhsa_float_denorm_mode_32 3
		.amdhsa_float_denorm_mode_16_64 3
		.amdhsa_dx10_clamp 1
		.amdhsa_ieee_mode 1
		.amdhsa_fp16_overflow 0
		.amdhsa_workgroup_processor_mode 1
		.amdhsa_memory_ordered 1
		.amdhsa_forward_progress 0
		.amdhsa_shared_vgpr_count 0
		.amdhsa_exception_fp_ieee_invalid_op 0
		.amdhsa_exception_fp_denorm_src 0
		.amdhsa_exception_fp_ieee_div_zero 0
		.amdhsa_exception_fp_ieee_overflow 0
		.amdhsa_exception_fp_ieee_underflow 0
		.amdhsa_exception_fp_ieee_inexact 0
		.amdhsa_exception_int_div_zero 0
	.end_amdhsa_kernel
	.section	.text._Z6kernelI14exclusive_scanILN6hipcub18BlockScanAlgorithmE1EEdLj64ELj1ELj100EEvPKT0_PS4_S4_,"axG",@progbits,_Z6kernelI14exclusive_scanILN6hipcub18BlockScanAlgorithmE1EEdLj64ELj1ELj100EEvPKT0_PS4_S4_,comdat
.Lfunc_end120:
	.size	_Z6kernelI14exclusive_scanILN6hipcub18BlockScanAlgorithmE1EEdLj64ELj1ELj100EEvPKT0_PS4_S4_, .Lfunc_end120-_Z6kernelI14exclusive_scanILN6hipcub18BlockScanAlgorithmE1EEdLj64ELj1ELj100EEvPKT0_PS4_S4_
                                        ; -- End function
	.section	.AMDGPU.csdata,"",@progbits
; Kernel info:
; codeLenInByte = 676
; NumSgprs: 18
; NumVgprs: 19
; ScratchSize: 0
; MemoryBound: 0
; FloatMode: 240
; IeeeMode: 1
; LDSByteSize: 528 bytes/workgroup (compile time only)
; SGPRBlocks: 2
; VGPRBlocks: 2
; NumSGPRsForWavesPerEU: 18
; NumVGPRsForWavesPerEU: 19
; Occupancy: 16
; WaveLimiterHint : 0
; COMPUTE_PGM_RSRC2:SCRATCH_EN: 0
; COMPUTE_PGM_RSRC2:USER_SGPR: 15
; COMPUTE_PGM_RSRC2:TRAP_HANDLER: 0
; COMPUTE_PGM_RSRC2:TGID_X_EN: 1
; COMPUTE_PGM_RSRC2:TGID_Y_EN: 0
; COMPUTE_PGM_RSRC2:TGID_Z_EN: 0
; COMPUTE_PGM_RSRC2:TIDIG_COMP_CNT: 0
	.section	.text._Z6kernelI14exclusive_scanILN6hipcub18BlockScanAlgorithmE1EEdLj64ELj3ELj100EEvPKT0_PS4_S4_,"axG",@progbits,_Z6kernelI14exclusive_scanILN6hipcub18BlockScanAlgorithmE1EEdLj64ELj3ELj100EEvPKT0_PS4_S4_,comdat
	.protected	_Z6kernelI14exclusive_scanILN6hipcub18BlockScanAlgorithmE1EEdLj64ELj3ELj100EEvPKT0_PS4_S4_ ; -- Begin function _Z6kernelI14exclusive_scanILN6hipcub18BlockScanAlgorithmE1EEdLj64ELj3ELj100EEvPKT0_PS4_S4_
	.globl	_Z6kernelI14exclusive_scanILN6hipcub18BlockScanAlgorithmE1EEdLj64ELj3ELj100EEvPKT0_PS4_S4_
	.p2align	8
	.type	_Z6kernelI14exclusive_scanILN6hipcub18BlockScanAlgorithmE1EEdLj64ELj3ELj100EEvPKT0_PS4_S4_,@function
_Z6kernelI14exclusive_scanILN6hipcub18BlockScanAlgorithmE1EEdLj64ELj3ELj100EEvPKT0_PS4_S4_: ; @_Z6kernelI14exclusive_scanILN6hipcub18BlockScanAlgorithmE1EEdLj64ELj3ELj100EEvPKT0_PS4_S4_
; %bb.0:
	s_clause 0x2
	s_load_b32 s2, s[0:1], 0x24
	s_load_b128 s[4:7], s[0:1], 0x0
	s_load_b64 s[8:9], s[0:1], 0x10
	v_lshrrev_b32_e32 v3, 5, v0
	v_mbcnt_lo_u32_b32 v21, -1, 0
	v_cmp_eq_u32_e64 s0, 0, v0
	v_cmp_ne_u32_e64 s1, 0, v0
	s_movk_i32 s3, 0x64
	v_add_lshl_u32 v20, v3, v0, 3
	v_lshlrev_b32_e32 v3, 1, v0
	v_and_b32_e32 v24, 15, v21
	v_and_b32_e32 v25, 16, v21
	v_add_nc_u32_e32 v26, -1, v21
	s_waitcnt lgkmcnt(0)
	s_and_b32 s2, s2, 0xffff
	s_delay_alu instid0(SALU_CYCLE_1) | instskip(NEXT) | instid1(VALU_DEP_1)
	v_mad_u64_u32 v[1:2], null, s15, s2, v[0:1]
	v_lshl_add_u32 v1, v1, 1, v1
	v_mov_b32_e32 v2, 0
	s_delay_alu instid0(VALU_DEP_2) | instskip(NEXT) | instid1(VALU_DEP_2)
	v_add_nc_u32_e32 v6, 1, v1
	v_lshlrev_b64 v[4:5], 3, v[1:2]
	v_add_nc_u32_e32 v1, 2, v1
	v_mov_b32_e32 v7, v2
	s_delay_alu instid0(VALU_DEP_1) | instskip(NEXT) | instid1(VALU_DEP_3)
	v_lshlrev_b64 v[8:9], 3, v[6:7]
	v_lshlrev_b64 v[6:7], 3, v[1:2]
	v_add_co_u32 v1, vcc_lo, s4, v4
	v_add_co_ci_u32_e32 v2, vcc_lo, s5, v5, vcc_lo
	s_delay_alu instid0(VALU_DEP_4)
	v_add_co_u32 v12, vcc_lo, s4, v8
	v_add_co_ci_u32_e32 v13, vcc_lo, s5, v9, vcc_lo
	v_add_co_u32 v14, vcc_lo, s4, v6
	v_add_co_ci_u32_e32 v15, vcc_lo, s5, v7, vcc_lo
	s_clause 0x2
	global_load_b64 v[10:11], v[1:2], off
	global_load_b64 v[12:13], v[12:13], off
	;; [unrolled: 1-line block ×3, first 2 shown]
	v_add_nc_u32_e32 v14, -1, v0
	v_lshrrev_b32_e32 v15, 4, v0
	v_cmp_gt_u32_e32 vcc_lo, 32, v0
	s_delay_alu instid0(VALU_DEP_3) | instskip(NEXT) | instid1(VALU_DEP_3)
	v_lshrrev_b32_e32 v16, 5, v14
	v_add_lshl_u32 v22, v15, v3, 3
	s_delay_alu instid0(VALU_DEP_2)
	v_add_lshl_u32 v23, v16, v14, 3
.LBB121_1:                              ; =>This Inner Loop Header: Depth=1
	s_waitcnt vmcnt(1)
	s_delay_alu instid0(VALU_DEP_1) | instskip(SKIP_1) | instid1(VALU_DEP_1)
	v_add_f64 v[14:15], v[10:11], v[12:13]
	s_waitcnt vmcnt(0)
	v_add_f64 v[14:15], v[1:2], v[14:15]
	ds_store_b64 v20, v[14:15]
	s_waitcnt lgkmcnt(0)
	s_barrier
	buffer_gl0_inv
	s_and_saveexec_b32 s4, vcc_lo
	s_cbranch_execz .LBB121_13
; %bb.2:                                ;   in Loop: Header=BB121_1 Depth=1
	ds_load_2addr_b64 v[0:3], v22 offset1:1
	s_mov_b32 s5, exec_lo
	s_waitcnt lgkmcnt(0)
	v_add_f64 v[16:17], v[0:1], v[2:3]
	s_delay_alu instid0(VALU_DEP_1) | instskip(NEXT) | instid1(VALU_DEP_2)
	v_mov_b32_dpp v18, v16 row_shr:1 row_mask:0xf bank_mask:0xf
	v_mov_b32_dpp v19, v17 row_shr:1 row_mask:0xf bank_mask:0xf
	v_cmpx_ne_u32_e32 0, v24
; %bb.3:                                ;   in Loop: Header=BB121_1 Depth=1
	s_delay_alu instid0(VALU_DEP_2)
	v_add_f64 v[16:17], v[16:17], v[18:19]
; %bb.4:                                ;   in Loop: Header=BB121_1 Depth=1
	s_or_b32 exec_lo, exec_lo, s5
	s_delay_alu instid0(VALU_DEP_1) | instskip(NEXT) | instid1(VALU_DEP_2)
	v_mov_b32_dpp v18, v16 row_shr:2 row_mask:0xf bank_mask:0xf
	v_mov_b32_dpp v19, v17 row_shr:2 row_mask:0xf bank_mask:0xf
	s_mov_b32 s5, exec_lo
	v_cmpx_lt_u32_e32 1, v24
; %bb.5:                                ;   in Loop: Header=BB121_1 Depth=1
	s_delay_alu instid0(VALU_DEP_2)
	v_add_f64 v[16:17], v[16:17], v[18:19]
; %bb.6:                                ;   in Loop: Header=BB121_1 Depth=1
	s_or_b32 exec_lo, exec_lo, s5
	s_delay_alu instid0(VALU_DEP_1) | instskip(NEXT) | instid1(VALU_DEP_2)
	v_mov_b32_dpp v18, v16 row_shr:4 row_mask:0xf bank_mask:0xf
	v_mov_b32_dpp v19, v17 row_shr:4 row_mask:0xf bank_mask:0xf
	s_mov_b32 s5, exec_lo
	v_cmpx_lt_u32_e32 3, v24
	;; [unrolled: 10-line block ×3, first 2 shown]
; %bb.9:                                ;   in Loop: Header=BB121_1 Depth=1
	s_delay_alu instid0(VALU_DEP_2)
	v_add_f64 v[16:17], v[16:17], v[18:19]
; %bb.10:                               ;   in Loop: Header=BB121_1 Depth=1
	s_or_b32 exec_lo, exec_lo, s5
	ds_swizzle_b32 v18, v16 offset:swizzle(BROADCAST,32,15)
	ds_swizzle_b32 v19, v17 offset:swizzle(BROADCAST,32,15)
	s_mov_b32 s5, exec_lo
	v_cmpx_ne_u32_e32 0, v25
	s_cbranch_execz .LBB121_12
; %bb.11:                               ;   in Loop: Header=BB121_1 Depth=1
	s_waitcnt lgkmcnt(0)
	v_add_f64 v[16:17], v[16:17], v[18:19]
.LBB121_12:                             ;   in Loop: Header=BB121_1 Depth=1
	s_or_b32 exec_lo, exec_lo, s5
	v_cmp_gt_i32_e64 s2, 0, v26
	s_waitcnt lgkmcnt(1)
	s_delay_alu instid0(VALU_DEP_1) | instskip(NEXT) | instid1(VALU_DEP_1)
	v_cndmask_b32_e64 v18, v26, v21, s2
	v_lshlrev_b32_e32 v18, 2, v18
	ds_bpermute_b32 v16, v18, v16
	ds_bpermute_b32 v17, v18, v17
	s_waitcnt lgkmcnt(0)
	v_add_f64 v[0:1], v[0:1], v[16:17]
	s_delay_alu instid0(VALU_DEP_1) | instskip(NEXT) | instid1(VALU_DEP_2)
	v_cndmask_b32_e64 v1, v1, v15, s0
	v_cndmask_b32_e64 v0, v0, v14, s0
	s_delay_alu instid0(VALU_DEP_1)
	v_add_f64 v[2:3], v[2:3], v[0:1]
	ds_store_2addr_b64 v22, v[0:1], v[2:3] offset1:1
.LBB121_13:                             ;   in Loop: Header=BB121_1 Depth=1
	s_or_b32 exec_lo, exec_lo, s4
	v_dual_mov_b32 v15, s9 :: v_dual_mov_b32 v14, s8
	s_waitcnt lgkmcnt(0)
	s_barrier
	buffer_gl0_inv
	s_and_saveexec_b32 s2, s1
	s_cbranch_execz .LBB121_15
; %bb.14:                               ;   in Loop: Header=BB121_1 Depth=1
	ds_load_b64 v[0:1], v23
	s_waitcnt lgkmcnt(0)
	v_add_f64 v[14:15], v[0:1], s[8:9]
.LBB121_15:                             ;   in Loop: Header=BB121_1 Depth=1
	s_or_b32 exec_lo, exec_lo, s2
	s_delay_alu instid0(VALU_DEP_1) | instskip(SKIP_1) | instid1(SALU_CYCLE_1)
	v_add_f64 v[16:17], v[10:11], v[14:15]
	s_add_i32 s3, s3, -1
	s_cmp_lg_u32 s3, 0
	s_delay_alu instid0(VALU_DEP_1)
	v_add_f64 v[1:2], v[12:13], v[16:17]
	s_cbranch_scc0 .LBB121_17
; %bb.16:                               ;   in Loop: Header=BB121_1 Depth=1
	v_dual_mov_b32 v10, v14 :: v_dual_mov_b32 v11, v15
	v_dual_mov_b32 v12, v16 :: v_dual_mov_b32 v13, v17
	s_branch .LBB121_1
.LBB121_17:
	v_add_co_u32 v3, vcc_lo, s6, v4
	v_add_co_ci_u32_e32 v4, vcc_lo, s7, v5, vcc_lo
	v_add_co_u32 v8, vcc_lo, s6, v8
	v_add_co_ci_u32_e32 v9, vcc_lo, s7, v9, vcc_lo
	;; [unrolled: 2-line block ×3, first 2 shown]
	s_clause 0x2
	global_store_b64 v[3:4], v[14:15], off
	global_store_b64 v[8:9], v[16:17], off
	;; [unrolled: 1-line block ×3, first 2 shown]
	s_nop 0
	s_sendmsg sendmsg(MSG_DEALLOC_VGPRS)
	s_endpgm
	.section	.rodata,"a",@progbits
	.p2align	6, 0x0
	.amdhsa_kernel _Z6kernelI14exclusive_scanILN6hipcub18BlockScanAlgorithmE1EEdLj64ELj3ELj100EEvPKT0_PS4_S4_
		.amdhsa_group_segment_fixed_size 528
		.amdhsa_private_segment_fixed_size 0
		.amdhsa_kernarg_size 280
		.amdhsa_user_sgpr_count 15
		.amdhsa_user_sgpr_dispatch_ptr 0
		.amdhsa_user_sgpr_queue_ptr 0
		.amdhsa_user_sgpr_kernarg_segment_ptr 1
		.amdhsa_user_sgpr_dispatch_id 0
		.amdhsa_user_sgpr_private_segment_size 0
		.amdhsa_wavefront_size32 1
		.amdhsa_uses_dynamic_stack 0
		.amdhsa_enable_private_segment 0
		.amdhsa_system_sgpr_workgroup_id_x 1
		.amdhsa_system_sgpr_workgroup_id_y 0
		.amdhsa_system_sgpr_workgroup_id_z 0
		.amdhsa_system_sgpr_workgroup_info 0
		.amdhsa_system_vgpr_workitem_id 0
		.amdhsa_next_free_vgpr 27
		.amdhsa_next_free_sgpr 16
		.amdhsa_reserve_vcc 1
		.amdhsa_float_round_mode_32 0
		.amdhsa_float_round_mode_16_64 0
		.amdhsa_float_denorm_mode_32 3
		.amdhsa_float_denorm_mode_16_64 3
		.amdhsa_dx10_clamp 1
		.amdhsa_ieee_mode 1
		.amdhsa_fp16_overflow 0
		.amdhsa_workgroup_processor_mode 1
		.amdhsa_memory_ordered 1
		.amdhsa_forward_progress 0
		.amdhsa_shared_vgpr_count 0
		.amdhsa_exception_fp_ieee_invalid_op 0
		.amdhsa_exception_fp_denorm_src 0
		.amdhsa_exception_fp_ieee_div_zero 0
		.amdhsa_exception_fp_ieee_overflow 0
		.amdhsa_exception_fp_ieee_underflow 0
		.amdhsa_exception_fp_ieee_inexact 0
		.amdhsa_exception_int_div_zero 0
	.end_amdhsa_kernel
	.section	.text._Z6kernelI14exclusive_scanILN6hipcub18BlockScanAlgorithmE1EEdLj64ELj3ELj100EEvPKT0_PS4_S4_,"axG",@progbits,_Z6kernelI14exclusive_scanILN6hipcub18BlockScanAlgorithmE1EEdLj64ELj3ELj100EEvPKT0_PS4_S4_,comdat
.Lfunc_end121:
	.size	_Z6kernelI14exclusive_scanILN6hipcub18BlockScanAlgorithmE1EEdLj64ELj3ELj100EEvPKT0_PS4_S4_, .Lfunc_end121-_Z6kernelI14exclusive_scanILN6hipcub18BlockScanAlgorithmE1EEdLj64ELj3ELj100EEvPKT0_PS4_S4_
                                        ; -- End function
	.section	.AMDGPU.csdata,"",@progbits
; Kernel info:
; codeLenInByte = 860
; NumSgprs: 18
; NumVgprs: 27
; ScratchSize: 0
; MemoryBound: 0
; FloatMode: 240
; IeeeMode: 1
; LDSByteSize: 528 bytes/workgroup (compile time only)
; SGPRBlocks: 2
; VGPRBlocks: 3
; NumSGPRsForWavesPerEU: 18
; NumVGPRsForWavesPerEU: 27
; Occupancy: 16
; WaveLimiterHint : 0
; COMPUTE_PGM_RSRC2:SCRATCH_EN: 0
; COMPUTE_PGM_RSRC2:USER_SGPR: 15
; COMPUTE_PGM_RSRC2:TRAP_HANDLER: 0
; COMPUTE_PGM_RSRC2:TGID_X_EN: 1
; COMPUTE_PGM_RSRC2:TGID_Y_EN: 0
; COMPUTE_PGM_RSRC2:TGID_Z_EN: 0
; COMPUTE_PGM_RSRC2:TIDIG_COMP_CNT: 0
	.section	.text._Z6kernelI14exclusive_scanILN6hipcub18BlockScanAlgorithmE1EEdLj64ELj4ELj100EEvPKT0_PS4_S4_,"axG",@progbits,_Z6kernelI14exclusive_scanILN6hipcub18BlockScanAlgorithmE1EEdLj64ELj4ELj100EEvPKT0_PS4_S4_,comdat
	.protected	_Z6kernelI14exclusive_scanILN6hipcub18BlockScanAlgorithmE1EEdLj64ELj4ELj100EEvPKT0_PS4_S4_ ; -- Begin function _Z6kernelI14exclusive_scanILN6hipcub18BlockScanAlgorithmE1EEdLj64ELj4ELj100EEvPKT0_PS4_S4_
	.globl	_Z6kernelI14exclusive_scanILN6hipcub18BlockScanAlgorithmE1EEdLj64ELj4ELj100EEvPKT0_PS4_S4_
	.p2align	8
	.type	_Z6kernelI14exclusive_scanILN6hipcub18BlockScanAlgorithmE1EEdLj64ELj4ELj100EEvPKT0_PS4_S4_,@function
_Z6kernelI14exclusive_scanILN6hipcub18BlockScanAlgorithmE1EEdLj64ELj4ELj100EEvPKT0_PS4_S4_: ; @_Z6kernelI14exclusive_scanILN6hipcub18BlockScanAlgorithmE1EEdLj64ELj4ELj100EEvPKT0_PS4_S4_
; %bb.0:
	s_clause 0x1
	s_load_b32 s2, s[0:1], 0x24
	s_load_b128 s[4:7], s[0:1], 0x0
	v_mov_b32_e32 v2, 0
	v_lshrrev_b32_e32 v9, 5, v0
	s_load_b64 s[8:9], s[0:1], 0x10
	v_add_nc_u32_e32 v10, -1, v0
	v_lshrrev_b32_e32 v11, 4, v0
	v_mbcnt_lo_u32_b32 v20, -1, 0
	v_add_lshl_u32 v19, v9, v0, 3
	v_lshlrev_b32_e32 v9, 1, v0
	v_lshrrev_b32_e32 v12, 5, v10
	v_cmp_eq_u32_e64 s0, 0, v0
	v_cmp_ne_u32_e64 s1, 0, v0
	v_and_b32_e32 v22, 15, v20
	v_and_b32_e32 v23, 16, v20
	v_add_lshl_u32 v21, v12, v10, 3
	v_add_nc_u32_e32 v24, -1, v20
	s_movk_i32 s3, 0x64
	s_waitcnt lgkmcnt(0)
	s_and_b32 s2, s2, 0xffff
	s_delay_alu instid0(SALU_CYCLE_1) | instskip(NEXT) | instid1(SALU_CYCLE_1)
	s_mul_i32 s15, s15, s2
	v_add_lshl_u32 v1, s15, v0, 2
	s_delay_alu instid0(VALU_DEP_1) | instskip(NEXT) | instid1(VALU_DEP_1)
	v_lshlrev_b64 v[15:16], 3, v[1:2]
	v_add_co_u32 v5, vcc_lo, s4, v15
	s_delay_alu instid0(VALU_DEP_2)
	v_add_co_ci_u32_e32 v6, vcc_lo, s5, v16, vcc_lo
	v_cmp_gt_u32_e32 vcc_lo, 32, v0
	v_add_lshl_u32 v0, v11, v9, 3
	s_clause 0x1
	global_load_b128 v[1:4], v[5:6], off offset:16
	global_load_b128 v[5:8], v[5:6], off
.LBB122_1:                              ; =>This Inner Loop Header: Depth=1
	s_waitcnt vmcnt(0)
	s_delay_alu instid0(VALU_DEP_2) | instskip(NEXT) | instid1(VALU_DEP_1)
	v_add_f64 v[9:10], v[5:6], v[7:8]
	v_add_f64 v[9:10], v[1:2], v[9:10]
	s_delay_alu instid0(VALU_DEP_1)
	v_add_f64 v[3:4], v[3:4], v[9:10]
	ds_store_b64 v19, v[3:4]
	s_waitcnt lgkmcnt(0)
	s_barrier
	buffer_gl0_inv
	s_and_saveexec_b32 s4, vcc_lo
	s_cbranch_execz .LBB122_13
; %bb.2:                                ;   in Loop: Header=BB122_1 Depth=1
	ds_load_2addr_b64 v[9:12], v0 offset1:1
	s_mov_b32 s5, exec_lo
	s_waitcnt lgkmcnt(0)
	v_add_f64 v[13:14], v[9:10], v[11:12]
	s_delay_alu instid0(VALU_DEP_1) | instskip(NEXT) | instid1(VALU_DEP_2)
	v_mov_b32_dpp v17, v13 row_shr:1 row_mask:0xf bank_mask:0xf
	v_mov_b32_dpp v18, v14 row_shr:1 row_mask:0xf bank_mask:0xf
	v_cmpx_ne_u32_e32 0, v22
; %bb.3:                                ;   in Loop: Header=BB122_1 Depth=1
	s_delay_alu instid0(VALU_DEP_2)
	v_add_f64 v[13:14], v[13:14], v[17:18]
; %bb.4:                                ;   in Loop: Header=BB122_1 Depth=1
	s_or_b32 exec_lo, exec_lo, s5
	s_delay_alu instid0(VALU_DEP_1) | instskip(NEXT) | instid1(VALU_DEP_2)
	v_mov_b32_dpp v17, v13 row_shr:2 row_mask:0xf bank_mask:0xf
	v_mov_b32_dpp v18, v14 row_shr:2 row_mask:0xf bank_mask:0xf
	s_mov_b32 s5, exec_lo
	v_cmpx_lt_u32_e32 1, v22
; %bb.5:                                ;   in Loop: Header=BB122_1 Depth=1
	s_delay_alu instid0(VALU_DEP_2)
	v_add_f64 v[13:14], v[13:14], v[17:18]
; %bb.6:                                ;   in Loop: Header=BB122_1 Depth=1
	s_or_b32 exec_lo, exec_lo, s5
	s_delay_alu instid0(VALU_DEP_1) | instskip(NEXT) | instid1(VALU_DEP_2)
	v_mov_b32_dpp v17, v13 row_shr:4 row_mask:0xf bank_mask:0xf
	v_mov_b32_dpp v18, v14 row_shr:4 row_mask:0xf bank_mask:0xf
	s_mov_b32 s5, exec_lo
	v_cmpx_lt_u32_e32 3, v22
	;; [unrolled: 10-line block ×3, first 2 shown]
; %bb.9:                                ;   in Loop: Header=BB122_1 Depth=1
	s_delay_alu instid0(VALU_DEP_2)
	v_add_f64 v[13:14], v[13:14], v[17:18]
; %bb.10:                               ;   in Loop: Header=BB122_1 Depth=1
	s_or_b32 exec_lo, exec_lo, s5
	ds_swizzle_b32 v17, v13 offset:swizzle(BROADCAST,32,15)
	ds_swizzle_b32 v18, v14 offset:swizzle(BROADCAST,32,15)
	s_mov_b32 s5, exec_lo
	v_cmpx_ne_u32_e32 0, v23
	s_cbranch_execz .LBB122_12
; %bb.11:                               ;   in Loop: Header=BB122_1 Depth=1
	s_waitcnt lgkmcnt(0)
	v_add_f64 v[13:14], v[13:14], v[17:18]
.LBB122_12:                             ;   in Loop: Header=BB122_1 Depth=1
	s_or_b32 exec_lo, exec_lo, s5
	v_cmp_gt_i32_e64 s2, 0, v24
	s_waitcnt lgkmcnt(1)
	s_delay_alu instid0(VALU_DEP_1) | instskip(NEXT) | instid1(VALU_DEP_1)
	v_cndmask_b32_e64 v17, v24, v20, s2
	v_lshlrev_b32_e32 v17, 2, v17
	ds_bpermute_b32 v13, v17, v13
	ds_bpermute_b32 v14, v17, v14
	s_waitcnt lgkmcnt(0)
	v_add_f64 v[9:10], v[9:10], v[13:14]
	s_delay_alu instid0(VALU_DEP_1) | instskip(NEXT) | instid1(VALU_DEP_2)
	v_cndmask_b32_e64 v4, v10, v4, s0
	v_cndmask_b32_e64 v3, v9, v3, s0
	s_delay_alu instid0(VALU_DEP_1)
	v_add_f64 v[9:10], v[11:12], v[3:4]
	ds_store_2addr_b64 v0, v[3:4], v[9:10] offset1:1
.LBB122_13:                             ;   in Loop: Header=BB122_1 Depth=1
	s_or_b32 exec_lo, exec_lo, s4
	v_dual_mov_b32 v10, s9 :: v_dual_mov_b32 v9, s8
	s_waitcnt lgkmcnt(0)
	s_barrier
	buffer_gl0_inv
	s_and_saveexec_b32 s2, s1
	s_cbranch_execz .LBB122_15
; %bb.14:                               ;   in Loop: Header=BB122_1 Depth=1
	ds_load_b64 v[3:4], v21
	s_waitcnt lgkmcnt(0)
	v_add_f64 v[9:10], v[3:4], s[8:9]
.LBB122_15:                             ;   in Loop: Header=BB122_1 Depth=1
	s_or_b32 exec_lo, exec_lo, s2
	s_delay_alu instid0(VALU_DEP_1) | instskip(SKIP_1) | instid1(SALU_CYCLE_1)
	v_add_f64 v[11:12], v[5:6], v[9:10]
	s_add_i32 s3, s3, -1
	s_cmp_lg_u32 s3, 0
	s_delay_alu instid0(VALU_DEP_1) | instskip(NEXT) | instid1(VALU_DEP_1)
	v_add_f64 v[13:14], v[7:8], v[11:12]
	v_add_f64 v[3:4], v[1:2], v[13:14]
	s_cbranch_scc0 .LBB122_17
; %bb.16:                               ;   in Loop: Header=BB122_1 Depth=1
	v_dual_mov_b32 v5, v9 :: v_dual_mov_b32 v6, v10
	v_dual_mov_b32 v7, v11 :: v_dual_mov_b32 v8, v12
	;; [unrolled: 1-line block ×3, first 2 shown]
	s_branch .LBB122_1
.LBB122_17:
	v_add_co_u32 v0, vcc_lo, s6, v15
	v_add_co_ci_u32_e32 v1, vcc_lo, s7, v16, vcc_lo
	s_delay_alu instid0(VALU_DEP_3)
	v_dual_mov_b32 v15, v3 :: v_dual_mov_b32 v16, v4
	s_clause 0x1
	global_store_b128 v[0:1], v[9:12], off
	global_store_b128 v[0:1], v[13:16], off offset:16
	s_nop 0
	s_sendmsg sendmsg(MSG_DEALLOC_VGPRS)
	s_endpgm
	.section	.rodata,"a",@progbits
	.p2align	6, 0x0
	.amdhsa_kernel _Z6kernelI14exclusive_scanILN6hipcub18BlockScanAlgorithmE1EEdLj64ELj4ELj100EEvPKT0_PS4_S4_
		.amdhsa_group_segment_fixed_size 528
		.amdhsa_private_segment_fixed_size 0
		.amdhsa_kernarg_size 280
		.amdhsa_user_sgpr_count 15
		.amdhsa_user_sgpr_dispatch_ptr 0
		.amdhsa_user_sgpr_queue_ptr 0
		.amdhsa_user_sgpr_kernarg_segment_ptr 1
		.amdhsa_user_sgpr_dispatch_id 0
		.amdhsa_user_sgpr_private_segment_size 0
		.amdhsa_wavefront_size32 1
		.amdhsa_uses_dynamic_stack 0
		.amdhsa_enable_private_segment 0
		.amdhsa_system_sgpr_workgroup_id_x 1
		.amdhsa_system_sgpr_workgroup_id_y 0
		.amdhsa_system_sgpr_workgroup_id_z 0
		.amdhsa_system_sgpr_workgroup_info 0
		.amdhsa_system_vgpr_workitem_id 0
		.amdhsa_next_free_vgpr 25
		.amdhsa_next_free_sgpr 16
		.amdhsa_reserve_vcc 1
		.amdhsa_float_round_mode_32 0
		.amdhsa_float_round_mode_16_64 0
		.amdhsa_float_denorm_mode_32 3
		.amdhsa_float_denorm_mode_16_64 3
		.amdhsa_dx10_clamp 1
		.amdhsa_ieee_mode 1
		.amdhsa_fp16_overflow 0
		.amdhsa_workgroup_processor_mode 1
		.amdhsa_memory_ordered 1
		.amdhsa_forward_progress 0
		.amdhsa_shared_vgpr_count 0
		.amdhsa_exception_fp_ieee_invalid_op 0
		.amdhsa_exception_fp_denorm_src 0
		.amdhsa_exception_fp_ieee_div_zero 0
		.amdhsa_exception_fp_ieee_overflow 0
		.amdhsa_exception_fp_ieee_underflow 0
		.amdhsa_exception_fp_ieee_inexact 0
		.amdhsa_exception_int_div_zero 0
	.end_amdhsa_kernel
	.section	.text._Z6kernelI14exclusive_scanILN6hipcub18BlockScanAlgorithmE1EEdLj64ELj4ELj100EEvPKT0_PS4_S4_,"axG",@progbits,_Z6kernelI14exclusive_scanILN6hipcub18BlockScanAlgorithmE1EEdLj64ELj4ELj100EEvPKT0_PS4_S4_,comdat
.Lfunc_end122:
	.size	_Z6kernelI14exclusive_scanILN6hipcub18BlockScanAlgorithmE1EEdLj64ELj4ELj100EEvPKT0_PS4_S4_, .Lfunc_end122-_Z6kernelI14exclusive_scanILN6hipcub18BlockScanAlgorithmE1EEdLj64ELj4ELj100EEvPKT0_PS4_S4_
                                        ; -- End function
	.section	.AMDGPU.csdata,"",@progbits
; Kernel info:
; codeLenInByte = 788
; NumSgprs: 18
; NumVgprs: 25
; ScratchSize: 0
; MemoryBound: 0
; FloatMode: 240
; IeeeMode: 1
; LDSByteSize: 528 bytes/workgroup (compile time only)
; SGPRBlocks: 2
; VGPRBlocks: 3
; NumSGPRsForWavesPerEU: 18
; NumVGPRsForWavesPerEU: 25
; Occupancy: 16
; WaveLimiterHint : 0
; COMPUTE_PGM_RSRC2:SCRATCH_EN: 0
; COMPUTE_PGM_RSRC2:USER_SGPR: 15
; COMPUTE_PGM_RSRC2:TRAP_HANDLER: 0
; COMPUTE_PGM_RSRC2:TGID_X_EN: 1
; COMPUTE_PGM_RSRC2:TGID_Y_EN: 0
; COMPUTE_PGM_RSRC2:TGID_Z_EN: 0
; COMPUTE_PGM_RSRC2:TIDIG_COMP_CNT: 0
	.section	.text._Z6kernelI14exclusive_scanILN6hipcub18BlockScanAlgorithmE1EEdLj64ELj8ELj100EEvPKT0_PS4_S4_,"axG",@progbits,_Z6kernelI14exclusive_scanILN6hipcub18BlockScanAlgorithmE1EEdLj64ELj8ELj100EEvPKT0_PS4_S4_,comdat
	.protected	_Z6kernelI14exclusive_scanILN6hipcub18BlockScanAlgorithmE1EEdLj64ELj8ELj100EEvPKT0_PS4_S4_ ; -- Begin function _Z6kernelI14exclusive_scanILN6hipcub18BlockScanAlgorithmE1EEdLj64ELj8ELj100EEvPKT0_PS4_S4_
	.globl	_Z6kernelI14exclusive_scanILN6hipcub18BlockScanAlgorithmE1EEdLj64ELj8ELj100EEvPKT0_PS4_S4_
	.p2align	8
	.type	_Z6kernelI14exclusive_scanILN6hipcub18BlockScanAlgorithmE1EEdLj64ELj8ELj100EEvPKT0_PS4_S4_,@function
_Z6kernelI14exclusive_scanILN6hipcub18BlockScanAlgorithmE1EEdLj64ELj8ELj100EEvPKT0_PS4_S4_: ; @_Z6kernelI14exclusive_scanILN6hipcub18BlockScanAlgorithmE1EEdLj64ELj8ELj100EEvPKT0_PS4_S4_
; %bb.0:
	s_clause 0x1
	s_load_b32 s2, s[0:1], 0x24
	s_load_b128 s[4:7], s[0:1], 0x0
	v_mov_b32_e32 v2, 0
	v_lshrrev_b32_e32 v17, 5, v0
	s_load_b64 s[8:9], s[0:1], 0x10
	v_add_nc_u32_e32 v18, -1, v0
	v_lshrrev_b32_e32 v19, 4, v0
	v_mbcnt_lo_u32_b32 v28, -1, 0
	v_add_lshl_u32 v27, v17, v0, 3
	v_lshlrev_b32_e32 v17, 1, v0
	v_lshrrev_b32_e32 v20, 5, v18
	v_cmp_eq_u32_e64 s0, 0, v0
	v_cmp_ne_u32_e64 s1, 0, v0
	v_and_b32_e32 v30, 15, v28
	s_movk_i32 s3, 0x64
	v_add_lshl_u32 v29, v20, v18, 3
	s_waitcnt lgkmcnt(0)
	s_and_b32 s2, s2, 0xffff
	s_delay_alu instid0(SALU_CYCLE_1) | instskip(NEXT) | instid1(SALU_CYCLE_1)
	s_mul_i32 s15, s15, s2
	v_add_lshl_u32 v1, s15, v0, 3
	s_delay_alu instid0(VALU_DEP_1) | instskip(NEXT) | instid1(VALU_DEP_1)
	v_lshlrev_b64 v[21:22], 3, v[1:2]
	v_add_co_u32 v13, vcc_lo, s4, v21
	s_delay_alu instid0(VALU_DEP_2)
	v_add_co_ci_u32_e32 v14, vcc_lo, s5, v22, vcc_lo
	v_cmp_gt_u32_e32 vcc_lo, 32, v0
	v_add_lshl_u32 v0, v19, v17, 3
	s_clause 0x3
	global_load_b128 v[1:4], v[13:14], off offset:48
	global_load_b128 v[5:8], v[13:14], off offset:32
	;; [unrolled: 1-line block ×3, first 2 shown]
	global_load_b128 v[13:16], v[13:14], off
.LBB123_1:                              ; =>This Inner Loop Header: Depth=1
	s_waitcnt vmcnt(0)
	s_delay_alu instid0(VALU_DEP_1) | instskip(NEXT) | instid1(VALU_DEP_1)
	v_add_f64 v[17:18], v[15:16], v[13:14]
	v_add_f64 v[17:18], v[9:10], v[17:18]
	s_delay_alu instid0(VALU_DEP_1) | instskip(NEXT) | instid1(VALU_DEP_1)
	v_add_f64 v[17:18], v[11:12], v[17:18]
	v_add_f64 v[17:18], v[5:6], v[17:18]
	;; [unrolled: 3-line block ×3, first 2 shown]
	s_delay_alu instid0(VALU_DEP_1)
	v_add_f64 v[3:4], v[3:4], v[17:18]
	ds_store_b64 v27, v[3:4]
	s_waitcnt lgkmcnt(0)
	s_barrier
	buffer_gl0_inv
	s_and_saveexec_b32 s4, vcc_lo
	s_cbranch_execz .LBB123_13
; %bb.2:                                ;   in Loop: Header=BB123_1 Depth=1
	ds_load_2addr_b64 v[17:20], v0 offset1:1
	s_mov_b32 s5, exec_lo
	s_waitcnt lgkmcnt(0)
	v_add_f64 v[23:24], v[17:18], v[19:20]
	s_delay_alu instid0(VALU_DEP_1) | instskip(NEXT) | instid1(VALU_DEP_2)
	v_mov_b32_dpp v25, v23 row_shr:1 row_mask:0xf bank_mask:0xf
	v_mov_b32_dpp v26, v24 row_shr:1 row_mask:0xf bank_mask:0xf
	v_cmpx_ne_u32_e32 0, v30
; %bb.3:                                ;   in Loop: Header=BB123_1 Depth=1
	s_delay_alu instid0(VALU_DEP_2)
	v_add_f64 v[23:24], v[23:24], v[25:26]
; %bb.4:                                ;   in Loop: Header=BB123_1 Depth=1
	s_or_b32 exec_lo, exec_lo, s5
	s_delay_alu instid0(VALU_DEP_1) | instskip(NEXT) | instid1(VALU_DEP_2)
	v_mov_b32_dpp v25, v23 row_shr:2 row_mask:0xf bank_mask:0xf
	v_mov_b32_dpp v26, v24 row_shr:2 row_mask:0xf bank_mask:0xf
	s_mov_b32 s5, exec_lo
	v_cmpx_lt_u32_e32 1, v30
; %bb.5:                                ;   in Loop: Header=BB123_1 Depth=1
	s_delay_alu instid0(VALU_DEP_2)
	v_add_f64 v[23:24], v[23:24], v[25:26]
; %bb.6:                                ;   in Loop: Header=BB123_1 Depth=1
	s_or_b32 exec_lo, exec_lo, s5
	s_delay_alu instid0(VALU_DEP_1) | instskip(NEXT) | instid1(VALU_DEP_2)
	v_mov_b32_dpp v25, v23 row_shr:4 row_mask:0xf bank_mask:0xf
	v_mov_b32_dpp v26, v24 row_shr:4 row_mask:0xf bank_mask:0xf
	s_mov_b32 s5, exec_lo
	v_cmpx_lt_u32_e32 3, v30
	;; [unrolled: 10-line block ×3, first 2 shown]
; %bb.9:                                ;   in Loop: Header=BB123_1 Depth=1
	s_delay_alu instid0(VALU_DEP_2)
	v_add_f64 v[23:24], v[23:24], v[25:26]
; %bb.10:                               ;   in Loop: Header=BB123_1 Depth=1
	s_or_b32 exec_lo, exec_lo, s5
	ds_swizzle_b32 v25, v23 offset:swizzle(BROADCAST,32,15)
	ds_swizzle_b32 v26, v24 offset:swizzle(BROADCAST,32,15)
	v_and_b32_e32 v31, 16, v28
	s_mov_b32 s5, exec_lo
	s_delay_alu instid0(VALU_DEP_1)
	v_cmpx_ne_u32_e32 0, v31
	s_cbranch_execz .LBB123_12
; %bb.11:                               ;   in Loop: Header=BB123_1 Depth=1
	s_waitcnt lgkmcnt(0)
	v_add_f64 v[23:24], v[23:24], v[25:26]
.LBB123_12:                             ;   in Loop: Header=BB123_1 Depth=1
	s_or_b32 exec_lo, exec_lo, s5
	s_waitcnt lgkmcnt(1)
	v_add_nc_u32_e32 v25, -1, v28
	s_delay_alu instid0(VALU_DEP_1) | instskip(NEXT) | instid1(VALU_DEP_1)
	v_cmp_gt_i32_e64 s2, 0, v25
	v_cndmask_b32_e64 v25, v25, v28, s2
	s_delay_alu instid0(VALU_DEP_1) | instskip(SKIP_4) | instid1(VALU_DEP_1)
	v_lshlrev_b32_e32 v25, 2, v25
	ds_bpermute_b32 v23, v25, v23
	ds_bpermute_b32 v24, v25, v24
	s_waitcnt lgkmcnt(0)
	v_add_f64 v[17:18], v[17:18], v[23:24]
	v_cndmask_b32_e64 v4, v18, v4, s0
	s_delay_alu instid0(VALU_DEP_2) | instskip(NEXT) | instid1(VALU_DEP_1)
	v_cndmask_b32_e64 v3, v17, v3, s0
	v_add_f64 v[17:18], v[19:20], v[3:4]
	ds_store_2addr_b64 v0, v[3:4], v[17:18] offset1:1
.LBB123_13:                             ;   in Loop: Header=BB123_1 Depth=1
	s_or_b32 exec_lo, exec_lo, s4
	v_dual_mov_b32 v18, s9 :: v_dual_mov_b32 v17, s8
	s_waitcnt lgkmcnt(0)
	s_barrier
	buffer_gl0_inv
	s_and_saveexec_b32 s2, s1
	s_cbranch_execz .LBB123_15
; %bb.14:                               ;   in Loop: Header=BB123_1 Depth=1
	ds_load_b64 v[3:4], v29
	s_waitcnt lgkmcnt(0)
	v_add_f64 v[17:18], v[3:4], s[8:9]
.LBB123_15:                             ;   in Loop: Header=BB123_1 Depth=1
	s_or_b32 exec_lo, exec_lo, s2
	s_delay_alu instid0(VALU_DEP_1) | instskip(SKIP_1) | instid1(SALU_CYCLE_1)
	v_add_f64 v[19:20], v[13:14], v[17:18]
	s_add_i32 s3, s3, -1
	s_cmp_lg_u32 s3, 0
	s_delay_alu instid0(VALU_DEP_1) | instskip(NEXT) | instid1(VALU_DEP_1)
	v_add_f64 v[13:14], v[15:16], v[19:20]
	v_add_f64 v[15:16], v[9:10], v[13:14]
	s_delay_alu instid0(VALU_DEP_1) | instskip(NEXT) | instid1(VALU_DEP_1)
	v_add_f64 v[9:10], v[11:12], v[15:16]
	v_add_f64 v[11:12], v[5:6], v[9:10]
	;; [unrolled: 3-line block ×3, first 2 shown]
	s_cbranch_scc0 .LBB123_17
; %bb.16:                               ;   in Loop: Header=BB123_1 Depth=1
	v_dual_mov_b32 v1, v5 :: v_dual_mov_b32 v2, v6
	v_dual_mov_b32 v7, v11 :: v_dual_mov_b32 v8, v12
	;; [unrolled: 1-line block ×7, first 2 shown]
	s_branch .LBB123_1
.LBB123_17:
	v_add_co_u32 v0, vcc_lo, s6, v21
	v_add_co_ci_u32_e32 v1, vcc_lo, s7, v22, vcc_lo
	s_delay_alu instid0(VALU_DEP_3)
	v_dual_mov_b32 v7, v3 :: v_dual_mov_b32 v8, v4
	s_clause 0x3
	global_store_b128 v[0:1], v[17:20], off
	global_store_b128 v[0:1], v[13:16], off offset:16
	global_store_b128 v[0:1], v[9:12], off offset:32
	global_store_b128 v[0:1], v[5:8], off offset:48
	s_nop 0
	s_sendmsg sendmsg(MSG_DEALLOC_VGPRS)
	s_endpgm
	.section	.rodata,"a",@progbits
	.p2align	6, 0x0
	.amdhsa_kernel _Z6kernelI14exclusive_scanILN6hipcub18BlockScanAlgorithmE1EEdLj64ELj8ELj100EEvPKT0_PS4_S4_
		.amdhsa_group_segment_fixed_size 528
		.amdhsa_private_segment_fixed_size 0
		.amdhsa_kernarg_size 280
		.amdhsa_user_sgpr_count 15
		.amdhsa_user_sgpr_dispatch_ptr 0
		.amdhsa_user_sgpr_queue_ptr 0
		.amdhsa_user_sgpr_kernarg_segment_ptr 1
		.amdhsa_user_sgpr_dispatch_id 0
		.amdhsa_user_sgpr_private_segment_size 0
		.amdhsa_wavefront_size32 1
		.amdhsa_uses_dynamic_stack 0
		.amdhsa_enable_private_segment 0
		.amdhsa_system_sgpr_workgroup_id_x 1
		.amdhsa_system_sgpr_workgroup_id_y 0
		.amdhsa_system_sgpr_workgroup_id_z 0
		.amdhsa_system_sgpr_workgroup_info 0
		.amdhsa_system_vgpr_workitem_id 0
		.amdhsa_next_free_vgpr 32
		.amdhsa_next_free_sgpr 16
		.amdhsa_reserve_vcc 1
		.amdhsa_float_round_mode_32 0
		.amdhsa_float_round_mode_16_64 0
		.amdhsa_float_denorm_mode_32 3
		.amdhsa_float_denorm_mode_16_64 3
		.amdhsa_dx10_clamp 1
		.amdhsa_ieee_mode 1
		.amdhsa_fp16_overflow 0
		.amdhsa_workgroup_processor_mode 1
		.amdhsa_memory_ordered 1
		.amdhsa_forward_progress 0
		.amdhsa_shared_vgpr_count 0
		.amdhsa_exception_fp_ieee_invalid_op 0
		.amdhsa_exception_fp_denorm_src 0
		.amdhsa_exception_fp_ieee_div_zero 0
		.amdhsa_exception_fp_ieee_overflow 0
		.amdhsa_exception_fp_ieee_underflow 0
		.amdhsa_exception_fp_ieee_inexact 0
		.amdhsa_exception_int_div_zero 0
	.end_amdhsa_kernel
	.section	.text._Z6kernelI14exclusive_scanILN6hipcub18BlockScanAlgorithmE1EEdLj64ELj8ELj100EEvPKT0_PS4_S4_,"axG",@progbits,_Z6kernelI14exclusive_scanILN6hipcub18BlockScanAlgorithmE1EEdLj64ELj8ELj100EEvPKT0_PS4_S4_,comdat
.Lfunc_end123:
	.size	_Z6kernelI14exclusive_scanILN6hipcub18BlockScanAlgorithmE1EEdLj64ELj8ELj100EEvPKT0_PS4_S4_, .Lfunc_end123-_Z6kernelI14exclusive_scanILN6hipcub18BlockScanAlgorithmE1EEdLj64ELj8ELj100EEvPKT0_PS4_S4_
                                        ; -- End function
	.section	.AMDGPU.csdata,"",@progbits
; Kernel info:
; codeLenInByte = 936
; NumSgprs: 18
; NumVgprs: 32
; ScratchSize: 0
; MemoryBound: 0
; FloatMode: 240
; IeeeMode: 1
; LDSByteSize: 528 bytes/workgroup (compile time only)
; SGPRBlocks: 2
; VGPRBlocks: 3
; NumSGPRsForWavesPerEU: 18
; NumVGPRsForWavesPerEU: 32
; Occupancy: 16
; WaveLimiterHint : 0
; COMPUTE_PGM_RSRC2:SCRATCH_EN: 0
; COMPUTE_PGM_RSRC2:USER_SGPR: 15
; COMPUTE_PGM_RSRC2:TRAP_HANDLER: 0
; COMPUTE_PGM_RSRC2:TGID_X_EN: 1
; COMPUTE_PGM_RSRC2:TGID_Y_EN: 0
; COMPUTE_PGM_RSRC2:TGID_Z_EN: 0
; COMPUTE_PGM_RSRC2:TIDIG_COMP_CNT: 0
	.section	.text._Z6kernelI14exclusive_scanILN6hipcub18BlockScanAlgorithmE1EEdLj64ELj11ELj100EEvPKT0_PS4_S4_,"axG",@progbits,_Z6kernelI14exclusive_scanILN6hipcub18BlockScanAlgorithmE1EEdLj64ELj11ELj100EEvPKT0_PS4_S4_,comdat
	.protected	_Z6kernelI14exclusive_scanILN6hipcub18BlockScanAlgorithmE1EEdLj64ELj11ELj100EEvPKT0_PS4_S4_ ; -- Begin function _Z6kernelI14exclusive_scanILN6hipcub18BlockScanAlgorithmE1EEdLj64ELj11ELj100EEvPKT0_PS4_S4_
	.globl	_Z6kernelI14exclusive_scanILN6hipcub18BlockScanAlgorithmE1EEdLj64ELj11ELj100EEvPKT0_PS4_S4_
	.p2align	8
	.type	_Z6kernelI14exclusive_scanILN6hipcub18BlockScanAlgorithmE1EEdLj64ELj11ELj100EEvPKT0_PS4_S4_,@function
_Z6kernelI14exclusive_scanILN6hipcub18BlockScanAlgorithmE1EEdLj64ELj11ELj100EEvPKT0_PS4_S4_: ; @_Z6kernelI14exclusive_scanILN6hipcub18BlockScanAlgorithmE1EEdLj64ELj11ELj100EEvPKT0_PS4_S4_
; %bb.0:
	s_clause 0x2
	s_load_b32 s2, s[0:1], 0x24
	s_load_b128 s[4:7], s[0:1], 0x0
	s_load_b64 s[8:9], s[0:1], 0x10
	v_cmp_eq_u32_e64 s0, 0, v0
	v_cmp_ne_u32_e64 s1, 0, v0
	v_mbcnt_lo_u32_b32 v57, -1, 0
	s_movk_i32 s3, 0x64
	s_waitcnt lgkmcnt(0)
	s_and_b32 s2, s2, 0xffff
	s_delay_alu instid0(SALU_CYCLE_1) | instskip(NEXT) | instid1(VALU_DEP_1)
	v_mad_u64_u32 v[1:2], null, s15, s2, v[0:1]
	v_mul_lo_u32 v1, v1, 11
	s_delay_alu instid0(VALU_DEP_1) | instskip(NEXT) | instid1(VALU_DEP_1)
	v_dual_mov_b32 v2, 0 :: v_dual_add_nc_u32 v3, 1, v1
	v_dual_mov_b32 v4, v2 :: v_dual_add_nc_u32 v5, 2, v1
	v_lshlrev_b64 v[18:19], 3, v[1:2]
	v_dual_mov_b32 v6, v2 :: v_dual_add_nc_u32 v7, 3, v1
	v_dual_mov_b32 v8, v2 :: v_dual_add_nc_u32 v9, 4, v1
	v_mov_b32_e32 v10, v2
	v_lshlrev_b64 v[20:21], 3, v[3:4]
	v_dual_mov_b32 v15, v2 :: v_dual_add_nc_u32 v14, 5, v1
	v_lshlrev_b64 v[16:17], 3, v[5:6]
	v_lshlrev_b64 v[12:13], 3, v[7:8]
	;; [unrolled: 1-line block ×3, first 2 shown]
	v_add_co_u32 v10, vcc_lo, s4, v18
	v_dual_mov_b32 v23, v2 :: v_dual_add_nc_u32 v22, 6, v1
	v_add_co_ci_u32_e32 v11, vcc_lo, s5, v19, vcc_lo
	v_lshlrev_b64 v[6:7], 3, v[14:15]
	v_add_co_u32 v14, vcc_lo, s4, v20
	v_add_co_ci_u32_e32 v15, vcc_lo, s5, v21, vcc_lo
	v_lshlrev_b64 v[4:5], 3, v[22:23]
	v_add_co_u32 v22, vcc_lo, s4, v16
	v_add_co_ci_u32_e32 v23, vcc_lo, s5, v17, vcc_lo
	v_add_co_u32 v26, vcc_lo, s4, v12
	v_dual_mov_b32 v25, v2 :: v_dual_add_nc_u32 v24, 7, v1
	v_add_co_ci_u32_e32 v27, vcc_lo, s5, v13, vcc_lo
	v_add_co_u32 v34, vcc_lo, s4, v8
	s_clause 0x3
	global_load_b64 v[32:33], v[10:11], off
	global_load_b64 v[30:31], v[14:15], off
	global_load_b64 v[28:29], v[22:23], off
	global_load_b64 v[26:27], v[26:27], off
	v_dual_mov_b32 v15, v2 :: v_dual_add_nc_u32 v14, 8, v1
	v_add_co_ci_u32_e32 v35, vcc_lo, s5, v9, vcc_lo
	v_add_co_u32 v36, vcc_lo, s4, v6
	v_lshlrev_b64 v[10:11], 3, v[24:25]
	v_dual_mov_b32 v23, v2 :: v_dual_add_nc_u32 v22, 9, v1
	v_add_co_ci_u32_e32 v37, vcc_lo, s5, v7, vcc_lo
	v_add_co_u32 v38, vcc_lo, s4, v4
	v_lshlrev_b64 v[14:15], 3, v[14:15]
	v_add_nc_u32_e32 v1, 10, v1
	v_add_co_ci_u32_e32 v39, vcc_lo, s5, v5, vcc_lo
	v_add_co_u32 v46, vcc_lo, s4, v10
	v_lshlrev_b64 v[22:23], 3, v[22:23]
	v_add_co_ci_u32_e32 v47, vcc_lo, s5, v11, vcc_lo
	v_add_co_u32 v48, vcc_lo, s4, v14
	v_lshlrev_b64 v[24:25], 3, v[1:2]
	v_add_co_ci_u32_e32 v49, vcc_lo, s5, v15, vcc_lo
	v_add_co_u32 v1, vcc_lo, s4, v22
	v_add_co_ci_u32_e32 v2, vcc_lo, s5, v23, vcc_lo
	s_delay_alu instid0(VALU_DEP_4)
	v_add_co_u32 v50, vcc_lo, s4, v24
	v_add_co_ci_u32_e32 v51, vcc_lo, s5, v25, vcc_lo
	s_clause 0x6
	global_load_b64 v[44:45], v[34:35], off
	global_load_b64 v[42:43], v[36:37], off
	;; [unrolled: 1-line block ×7, first 2 shown]
	v_lshrrev_b32_e32 v3, 5, v0
	v_add_nc_u32_e32 v46, -1, v0
	v_lshrrev_b32_e32 v47, 4, v0
	v_cmp_gt_u32_e32 vcc_lo, 32, v0
	s_delay_alu instid0(VALU_DEP_4) | instskip(SKIP_2) | instid1(VALU_DEP_2)
	v_add_lshl_u32 v54, v3, v0, 3
	v_lshlrev_b32_e32 v3, 1, v0
	v_lshrrev_b32_e32 v48, 5, v46
	v_add_lshl_u32 v55, v47, v3, 3
	s_delay_alu instid0(VALU_DEP_2)
	v_add_lshl_u32 v56, v48, v46, 3
.LBB124_1:                              ; =>This Inner Loop Header: Depth=1
	s_waitcnt vmcnt(9)
	s_delay_alu instid0(VALU_DEP_1) | instskip(SKIP_1) | instid1(VALU_DEP_1)
	v_add_f64 v[46:47], v[30:31], v[32:33]
	s_waitcnt vmcnt(8)
	v_add_f64 v[46:47], v[28:29], v[46:47]
	s_waitcnt vmcnt(7)
	s_delay_alu instid0(VALU_DEP_1) | instskip(SKIP_1) | instid1(VALU_DEP_1)
	v_add_f64 v[46:47], v[26:27], v[46:47]
	s_waitcnt vmcnt(6)
	v_add_f64 v[46:47], v[44:45], v[46:47]
	;; [unrolled: 5-line block ×5, first 2 shown]
	ds_store_b64 v54, v[46:47]
	s_waitcnt lgkmcnt(0)
	s_barrier
	buffer_gl0_inv
	s_and_saveexec_b32 s4, vcc_lo
	s_cbranch_execz .LBB124_13
; %bb.2:                                ;   in Loop: Header=BB124_1 Depth=1
	ds_load_2addr_b64 v[0:3], v55 offset1:1
	v_and_b32_e32 v52, 15, v57
	s_mov_b32 s5, exec_lo
	s_waitcnt lgkmcnt(0)
	v_add_f64 v[48:49], v[0:1], v[2:3]
	s_delay_alu instid0(VALU_DEP_1) | instskip(NEXT) | instid1(VALU_DEP_2)
	v_mov_b32_dpp v50, v48 row_shr:1 row_mask:0xf bank_mask:0xf
	v_mov_b32_dpp v51, v49 row_shr:1 row_mask:0xf bank_mask:0xf
	v_cmpx_ne_u32_e32 0, v52
; %bb.3:                                ;   in Loop: Header=BB124_1 Depth=1
	s_delay_alu instid0(VALU_DEP_2)
	v_add_f64 v[48:49], v[48:49], v[50:51]
; %bb.4:                                ;   in Loop: Header=BB124_1 Depth=1
	s_or_b32 exec_lo, exec_lo, s5
	s_delay_alu instid0(VALU_DEP_1) | instskip(NEXT) | instid1(VALU_DEP_2)
	v_mov_b32_dpp v50, v48 row_shr:2 row_mask:0xf bank_mask:0xf
	v_mov_b32_dpp v51, v49 row_shr:2 row_mask:0xf bank_mask:0xf
	s_mov_b32 s5, exec_lo
	v_cmpx_lt_u32_e32 1, v52
; %bb.5:                                ;   in Loop: Header=BB124_1 Depth=1
	s_delay_alu instid0(VALU_DEP_2)
	v_add_f64 v[48:49], v[48:49], v[50:51]
; %bb.6:                                ;   in Loop: Header=BB124_1 Depth=1
	s_or_b32 exec_lo, exec_lo, s5
	s_delay_alu instid0(VALU_DEP_1) | instskip(NEXT) | instid1(VALU_DEP_2)
	v_mov_b32_dpp v50, v48 row_shr:4 row_mask:0xf bank_mask:0xf
	v_mov_b32_dpp v51, v49 row_shr:4 row_mask:0xf bank_mask:0xf
	s_mov_b32 s5, exec_lo
	v_cmpx_lt_u32_e32 3, v52
; %bb.7:                                ;   in Loop: Header=BB124_1 Depth=1
	s_delay_alu instid0(VALU_DEP_2)
	v_add_f64 v[48:49], v[48:49], v[50:51]
; %bb.8:                                ;   in Loop: Header=BB124_1 Depth=1
	s_or_b32 exec_lo, exec_lo, s5
	s_delay_alu instid0(VALU_DEP_1) | instskip(NEXT) | instid1(VALU_DEP_2)
	v_mov_b32_dpp v50, v48 row_shr:8 row_mask:0xf bank_mask:0xf
	v_mov_b32_dpp v51, v49 row_shr:8 row_mask:0xf bank_mask:0xf
	s_mov_b32 s5, exec_lo
	v_cmpx_lt_u32_e32 7, v52
; %bb.9:                                ;   in Loop: Header=BB124_1 Depth=1
	s_delay_alu instid0(VALU_DEP_2)
	v_add_f64 v[48:49], v[48:49], v[50:51]
; %bb.10:                               ;   in Loop: Header=BB124_1 Depth=1
	s_or_b32 exec_lo, exec_lo, s5
	ds_swizzle_b32 v50, v48 offset:swizzle(BROADCAST,32,15)
	ds_swizzle_b32 v51, v49 offset:swizzle(BROADCAST,32,15)
	v_and_b32_e32 v52, 16, v57
	s_mov_b32 s5, exec_lo
	s_delay_alu instid0(VALU_DEP_1)
	v_cmpx_ne_u32_e32 0, v52
	s_cbranch_execz .LBB124_12
; %bb.11:                               ;   in Loop: Header=BB124_1 Depth=1
	s_waitcnt lgkmcnt(0)
	v_add_f64 v[48:49], v[48:49], v[50:51]
.LBB124_12:                             ;   in Loop: Header=BB124_1 Depth=1
	s_or_b32 exec_lo, exec_lo, s5
	s_waitcnt lgkmcnt(1)
	v_add_nc_u32_e32 v50, -1, v57
	s_delay_alu instid0(VALU_DEP_1) | instskip(NEXT) | instid1(VALU_DEP_1)
	v_cmp_gt_i32_e64 s2, 0, v50
	v_cndmask_b32_e64 v50, v50, v57, s2
	s_delay_alu instid0(VALU_DEP_1) | instskip(SKIP_4) | instid1(VALU_DEP_1)
	v_lshlrev_b32_e32 v50, 2, v50
	ds_bpermute_b32 v48, v50, v48
	ds_bpermute_b32 v49, v50, v49
	s_waitcnt lgkmcnt(0)
	v_add_f64 v[0:1], v[0:1], v[48:49]
	v_cndmask_b32_e64 v1, v1, v47, s0
	s_delay_alu instid0(VALU_DEP_2) | instskip(NEXT) | instid1(VALU_DEP_1)
	v_cndmask_b32_e64 v0, v0, v46, s0
	v_add_f64 v[2:3], v[2:3], v[0:1]
	ds_store_2addr_b64 v55, v[0:1], v[2:3] offset1:1
.LBB124_13:                             ;   in Loop: Header=BB124_1 Depth=1
	s_or_b32 exec_lo, exec_lo, s4
	v_dual_mov_b32 v47, s9 :: v_dual_mov_b32 v46, s8
	s_waitcnt lgkmcnt(0)
	s_barrier
	buffer_gl0_inv
	s_and_saveexec_b32 s2, s1
	s_cbranch_execz .LBB124_15
; %bb.14:                               ;   in Loop: Header=BB124_1 Depth=1
	ds_load_b64 v[0:1], v56
	s_waitcnt lgkmcnt(0)
	v_add_f64 v[46:47], v[0:1], s[8:9]
.LBB124_15:                             ;   in Loop: Header=BB124_1 Depth=1
	s_or_b32 exec_lo, exec_lo, s2
	s_delay_alu instid0(VALU_DEP_1) | instskip(SKIP_1) | instid1(SALU_CYCLE_1)
	v_add_f64 v[48:49], v[32:33], v[46:47]
	s_add_i32 s3, s3, -1
	s_cmp_lg_u32 s3, 0
	s_delay_alu instid0(VALU_DEP_1) | instskip(NEXT) | instid1(VALU_DEP_1)
	v_add_f64 v[52:53], v[30:31], v[48:49]
	v_add_f64 v[50:51], v[28:29], v[52:53]
	s_delay_alu instid0(VALU_DEP_1) | instskip(NEXT) | instid1(VALU_DEP_1)
	v_add_f64 v[26:27], v[26:27], v[50:51]
	v_add_f64 v[28:29], v[44:45], v[26:27]
	;; [unrolled: 3-line block ×4, first 2 shown]
	s_delay_alu instid0(VALU_DEP_1)
	v_add_f64 v[1:2], v[34:35], v[36:37]
	s_cbranch_scc0 .LBB124_17
; %bb.16:                               ;   in Loop: Header=BB124_1 Depth=1
	v_dual_mov_b32 v34, v36 :: v_dual_mov_b32 v35, v37
	v_dual_mov_b32 v36, v38 :: v_dual_mov_b32 v37, v39
	;; [unrolled: 1-line block ×10, first 2 shown]
	s_branch .LBB124_1
.LBB124_17:
	v_add_co_u32 v18, vcc_lo, s6, v18
	v_add_co_ci_u32_e32 v19, vcc_lo, s7, v19, vcc_lo
	v_add_co_u32 v20, vcc_lo, s6, v20
	v_add_co_ci_u32_e32 v21, vcc_lo, s7, v21, vcc_lo
	;; [unrolled: 2-line block ×8, first 2 shown]
	s_clause 0x3
	global_store_b64 v[18:19], v[46:47], off
	global_store_b64 v[20:21], v[48:49], off
	;; [unrolled: 1-line block ×4, first 2 shown]
	v_add_co_u32 v12, vcc_lo, s6, v14
	v_add_co_ci_u32_e32 v13, vcc_lo, s7, v15, vcc_lo
	v_add_co_u32 v14, vcc_lo, s6, v22
	v_add_co_ci_u32_e32 v15, vcc_lo, s7, v23, vcc_lo
	;; [unrolled: 2-line block ×3, first 2 shown]
	s_clause 0x6
	global_store_b64 v[8:9], v[26:27], off
	global_store_b64 v[6:7], v[28:29], off
	;; [unrolled: 1-line block ×7, first 2 shown]
	s_nop 0
	s_sendmsg sendmsg(MSG_DEALLOC_VGPRS)
	s_endpgm
	.section	.rodata,"a",@progbits
	.p2align	6, 0x0
	.amdhsa_kernel _Z6kernelI14exclusive_scanILN6hipcub18BlockScanAlgorithmE1EEdLj64ELj11ELj100EEvPKT0_PS4_S4_
		.amdhsa_group_segment_fixed_size 528
		.amdhsa_private_segment_fixed_size 0
		.amdhsa_kernarg_size 280
		.amdhsa_user_sgpr_count 15
		.amdhsa_user_sgpr_dispatch_ptr 0
		.amdhsa_user_sgpr_queue_ptr 0
		.amdhsa_user_sgpr_kernarg_segment_ptr 1
		.amdhsa_user_sgpr_dispatch_id 0
		.amdhsa_user_sgpr_private_segment_size 0
		.amdhsa_wavefront_size32 1
		.amdhsa_uses_dynamic_stack 0
		.amdhsa_enable_private_segment 0
		.amdhsa_system_sgpr_workgroup_id_x 1
		.amdhsa_system_sgpr_workgroup_id_y 0
		.amdhsa_system_sgpr_workgroup_id_z 0
		.amdhsa_system_sgpr_workgroup_info 0
		.amdhsa_system_vgpr_workitem_id 0
		.amdhsa_next_free_vgpr 58
		.amdhsa_next_free_sgpr 16
		.amdhsa_reserve_vcc 1
		.amdhsa_float_round_mode_32 0
		.amdhsa_float_round_mode_16_64 0
		.amdhsa_float_denorm_mode_32 3
		.amdhsa_float_denorm_mode_16_64 3
		.amdhsa_dx10_clamp 1
		.amdhsa_ieee_mode 1
		.amdhsa_fp16_overflow 0
		.amdhsa_workgroup_processor_mode 1
		.amdhsa_memory_ordered 1
		.amdhsa_forward_progress 0
		.amdhsa_shared_vgpr_count 0
		.amdhsa_exception_fp_ieee_invalid_op 0
		.amdhsa_exception_fp_denorm_src 0
		.amdhsa_exception_fp_ieee_div_zero 0
		.amdhsa_exception_fp_ieee_overflow 0
		.amdhsa_exception_fp_ieee_underflow 0
		.amdhsa_exception_fp_ieee_inexact 0
		.amdhsa_exception_int_div_zero 0
	.end_amdhsa_kernel
	.section	.text._Z6kernelI14exclusive_scanILN6hipcub18BlockScanAlgorithmE1EEdLj64ELj11ELj100EEvPKT0_PS4_S4_,"axG",@progbits,_Z6kernelI14exclusive_scanILN6hipcub18BlockScanAlgorithmE1EEdLj64ELj11ELj100EEvPKT0_PS4_S4_,comdat
.Lfunc_end124:
	.size	_Z6kernelI14exclusive_scanILN6hipcub18BlockScanAlgorithmE1EEdLj64ELj11ELj100EEvPKT0_PS4_S4_, .Lfunc_end124-_Z6kernelI14exclusive_scanILN6hipcub18BlockScanAlgorithmE1EEdLj64ELj11ELj100EEvPKT0_PS4_S4_
                                        ; -- End function
	.section	.AMDGPU.csdata,"",@progbits
; Kernel info:
; codeLenInByte = 1572
; NumSgprs: 18
; NumVgprs: 58
; ScratchSize: 0
; MemoryBound: 0
; FloatMode: 240
; IeeeMode: 1
; LDSByteSize: 528 bytes/workgroup (compile time only)
; SGPRBlocks: 2
; VGPRBlocks: 7
; NumSGPRsForWavesPerEU: 18
; NumVGPRsForWavesPerEU: 58
; Occupancy: 16
; WaveLimiterHint : 0
; COMPUTE_PGM_RSRC2:SCRATCH_EN: 0
; COMPUTE_PGM_RSRC2:USER_SGPR: 15
; COMPUTE_PGM_RSRC2:TRAP_HANDLER: 0
; COMPUTE_PGM_RSRC2:TGID_X_EN: 1
; COMPUTE_PGM_RSRC2:TGID_Y_EN: 0
; COMPUTE_PGM_RSRC2:TGID_Z_EN: 0
; COMPUTE_PGM_RSRC2:TIDIG_COMP_CNT: 0
	.section	.text._Z6kernelI14exclusive_scanILN6hipcub18BlockScanAlgorithmE1EEdLj64ELj16ELj100EEvPKT0_PS4_S4_,"axG",@progbits,_Z6kernelI14exclusive_scanILN6hipcub18BlockScanAlgorithmE1EEdLj64ELj16ELj100EEvPKT0_PS4_S4_,comdat
	.protected	_Z6kernelI14exclusive_scanILN6hipcub18BlockScanAlgorithmE1EEdLj64ELj16ELj100EEvPKT0_PS4_S4_ ; -- Begin function _Z6kernelI14exclusive_scanILN6hipcub18BlockScanAlgorithmE1EEdLj64ELj16ELj100EEvPKT0_PS4_S4_
	.globl	_Z6kernelI14exclusive_scanILN6hipcub18BlockScanAlgorithmE1EEdLj64ELj16ELj100EEvPKT0_PS4_S4_
	.p2align	8
	.type	_Z6kernelI14exclusive_scanILN6hipcub18BlockScanAlgorithmE1EEdLj64ELj16ELj100EEvPKT0_PS4_S4_,@function
_Z6kernelI14exclusive_scanILN6hipcub18BlockScanAlgorithmE1EEdLj64ELj16ELj100EEvPKT0_PS4_S4_: ; @_Z6kernelI14exclusive_scanILN6hipcub18BlockScanAlgorithmE1EEdLj64ELj16ELj100EEvPKT0_PS4_S4_
; %bb.0:
	s_clause 0x1
	s_load_b32 s2, s[0:1], 0x24
	s_load_b128 s[4:7], s[0:1], 0x0
	v_mov_b32_e32 v2, 0
	v_lshrrev_b32_e32 v33, 5, v0
	s_load_b64 s[8:9], s[0:1], 0x10
	v_add_nc_u32_e32 v34, -1, v0
	v_lshrrev_b32_e32 v35, 4, v0
	v_cmp_eq_u32_e64 s0, 0, v0
	v_add_lshl_u32 v43, v33, v0, 3
	v_lshlrev_b32_e32 v33, 1, v0
	v_lshrrev_b32_e32 v36, 5, v34
	v_cmp_ne_u32_e64 s1, 0, v0
	v_mbcnt_lo_u32_b32 v45, -1, 0
	s_movk_i32 s3, 0x64
	s_delay_alu instid0(VALU_DEP_3) | instskip(SKIP_2) | instid1(SALU_CYCLE_1)
	v_add_lshl_u32 v44, v36, v34, 3
	s_waitcnt lgkmcnt(0)
	s_and_b32 s2, s2, 0xffff
	s_mul_i32 s15, s15, s2
	s_delay_alu instid0(SALU_CYCLE_1) | instskip(NEXT) | instid1(VALU_DEP_1)
	v_add_lshl_u32 v1, s15, v0, 4
	v_lshlrev_b64 v[41:42], 3, v[1:2]
	s_delay_alu instid0(VALU_DEP_1) | instskip(NEXT) | instid1(VALU_DEP_2)
	v_add_co_u32 v29, vcc_lo, s4, v41
	v_add_co_ci_u32_e32 v30, vcc_lo, s5, v42, vcc_lo
	v_cmp_gt_u32_e32 vcc_lo, 32, v0
	v_add_lshl_u32 v0, v35, v33, 3
	s_clause 0x7
	global_load_b128 v[5:8], v[29:30], off offset:48
	global_load_b128 v[9:12], v[29:30], off offset:32
	;; [unrolled: 1-line block ×3, first 2 shown]
	global_load_b128 v[17:20], v[29:30], off
	global_load_b128 v[1:4], v[29:30], off offset:112
	global_load_b128 v[21:24], v[29:30], off offset:96
	;; [unrolled: 1-line block ×4, first 2 shown]
.LBB125_1:                              ; =>This Inner Loop Header: Depth=1
	s_waitcnt vmcnt(4)
	s_delay_alu instid0(VALU_DEP_1) | instskip(NEXT) | instid1(VALU_DEP_1)
	v_add_f64 v[33:34], v[19:20], v[17:18]
	v_add_f64 v[33:34], v[13:14], v[33:34]
	s_delay_alu instid0(VALU_DEP_1) | instskip(NEXT) | instid1(VALU_DEP_1)
	v_add_f64 v[33:34], v[15:16], v[33:34]
	v_add_f64 v[33:34], v[9:10], v[33:34]
	;; [unrolled: 3-line block ×3, first 2 shown]
	s_delay_alu instid0(VALU_DEP_1) | instskip(SKIP_1) | instid1(VALU_DEP_1)
	v_add_f64 v[33:34], v[7:8], v[33:34]
	s_waitcnt vmcnt(0)
	v_add_f64 v[33:34], v[29:30], v[33:34]
	s_delay_alu instid0(VALU_DEP_1) | instskip(NEXT) | instid1(VALU_DEP_1)
	v_add_f64 v[33:34], v[31:32], v[33:34]
	v_add_f64 v[33:34], v[25:26], v[33:34]
	s_delay_alu instid0(VALU_DEP_1) | instskip(NEXT) | instid1(VALU_DEP_1)
	v_add_f64 v[33:34], v[27:28], v[33:34]
	;; [unrolled: 3-line block ×3, first 2 shown]
	v_add_f64 v[33:34], v[1:2], v[33:34]
	s_delay_alu instid0(VALU_DEP_1)
	v_add_f64 v[3:4], v[3:4], v[33:34]
	ds_store_b64 v43, v[3:4]
	s_waitcnt lgkmcnt(0)
	s_barrier
	buffer_gl0_inv
	s_and_saveexec_b32 s4, vcc_lo
	s_cbranch_execz .LBB125_13
; %bb.2:                                ;   in Loop: Header=BB125_1 Depth=1
	ds_load_2addr_b64 v[33:36], v0 offset1:1
	v_and_b32_e32 v46, 15, v45
	s_mov_b32 s5, exec_lo
	s_waitcnt lgkmcnt(0)
	v_add_f64 v[37:38], v[33:34], v[35:36]
	s_delay_alu instid0(VALU_DEP_1) | instskip(NEXT) | instid1(VALU_DEP_2)
	v_mov_b32_dpp v39, v37 row_shr:1 row_mask:0xf bank_mask:0xf
	v_mov_b32_dpp v40, v38 row_shr:1 row_mask:0xf bank_mask:0xf
	v_cmpx_ne_u32_e32 0, v46
; %bb.3:                                ;   in Loop: Header=BB125_1 Depth=1
	s_delay_alu instid0(VALU_DEP_2)
	v_add_f64 v[37:38], v[37:38], v[39:40]
; %bb.4:                                ;   in Loop: Header=BB125_1 Depth=1
	s_or_b32 exec_lo, exec_lo, s5
	s_delay_alu instid0(VALU_DEP_1) | instskip(NEXT) | instid1(VALU_DEP_2)
	v_mov_b32_dpp v39, v37 row_shr:2 row_mask:0xf bank_mask:0xf
	v_mov_b32_dpp v40, v38 row_shr:2 row_mask:0xf bank_mask:0xf
	s_mov_b32 s5, exec_lo
	v_cmpx_lt_u32_e32 1, v46
; %bb.5:                                ;   in Loop: Header=BB125_1 Depth=1
	s_delay_alu instid0(VALU_DEP_2)
	v_add_f64 v[37:38], v[37:38], v[39:40]
; %bb.6:                                ;   in Loop: Header=BB125_1 Depth=1
	s_or_b32 exec_lo, exec_lo, s5
	s_delay_alu instid0(VALU_DEP_1) | instskip(NEXT) | instid1(VALU_DEP_2)
	v_mov_b32_dpp v39, v37 row_shr:4 row_mask:0xf bank_mask:0xf
	v_mov_b32_dpp v40, v38 row_shr:4 row_mask:0xf bank_mask:0xf
	s_mov_b32 s5, exec_lo
	v_cmpx_lt_u32_e32 3, v46
	;; [unrolled: 10-line block ×3, first 2 shown]
; %bb.9:                                ;   in Loop: Header=BB125_1 Depth=1
	s_delay_alu instid0(VALU_DEP_2)
	v_add_f64 v[37:38], v[37:38], v[39:40]
; %bb.10:                               ;   in Loop: Header=BB125_1 Depth=1
	s_or_b32 exec_lo, exec_lo, s5
	ds_swizzle_b32 v39, v37 offset:swizzle(BROADCAST,32,15)
	ds_swizzle_b32 v40, v38 offset:swizzle(BROADCAST,32,15)
	v_and_b32_e32 v46, 16, v45
	s_mov_b32 s5, exec_lo
	s_delay_alu instid0(VALU_DEP_1)
	v_cmpx_ne_u32_e32 0, v46
	s_cbranch_execz .LBB125_12
; %bb.11:                               ;   in Loop: Header=BB125_1 Depth=1
	s_waitcnt lgkmcnt(0)
	v_add_f64 v[37:38], v[37:38], v[39:40]
.LBB125_12:                             ;   in Loop: Header=BB125_1 Depth=1
	s_or_b32 exec_lo, exec_lo, s5
	s_waitcnt lgkmcnt(1)
	v_add_nc_u32_e32 v39, -1, v45
	s_delay_alu instid0(VALU_DEP_1) | instskip(NEXT) | instid1(VALU_DEP_1)
	v_cmp_gt_i32_e64 s2, 0, v39
	v_cndmask_b32_e64 v39, v39, v45, s2
	s_delay_alu instid0(VALU_DEP_1) | instskip(SKIP_4) | instid1(VALU_DEP_1)
	v_lshlrev_b32_e32 v39, 2, v39
	ds_bpermute_b32 v37, v39, v37
	ds_bpermute_b32 v38, v39, v38
	s_waitcnt lgkmcnt(0)
	v_add_f64 v[33:34], v[33:34], v[37:38]
	v_cndmask_b32_e64 v4, v34, v4, s0
	s_delay_alu instid0(VALU_DEP_2) | instskip(NEXT) | instid1(VALU_DEP_1)
	v_cndmask_b32_e64 v3, v33, v3, s0
	v_add_f64 v[33:34], v[35:36], v[3:4]
	ds_store_2addr_b64 v0, v[3:4], v[33:34] offset1:1
.LBB125_13:                             ;   in Loop: Header=BB125_1 Depth=1
	s_or_b32 exec_lo, exec_lo, s4
	v_dual_mov_b32 v34, s9 :: v_dual_mov_b32 v33, s8
	s_waitcnt lgkmcnt(0)
	s_barrier
	buffer_gl0_inv
	s_and_saveexec_b32 s2, s1
	s_cbranch_execz .LBB125_15
; %bb.14:                               ;   in Loop: Header=BB125_1 Depth=1
	ds_load_b64 v[3:4], v44
	s_waitcnt lgkmcnt(0)
	v_add_f64 v[33:34], v[3:4], s[8:9]
.LBB125_15:                             ;   in Loop: Header=BB125_1 Depth=1
	s_or_b32 exec_lo, exec_lo, s2
	s_delay_alu instid0(VALU_DEP_1) | instskip(SKIP_1) | instid1(SALU_CYCLE_1)
	v_add_f64 v[35:36], v[17:18], v[33:34]
	s_add_i32 s3, s3, -1
	s_cmp_lg_u32 s3, 0
	s_delay_alu instid0(VALU_DEP_1) | instskip(NEXT) | instid1(VALU_DEP_1)
	v_add_f64 v[37:38], v[19:20], v[35:36]
	v_add_f64 v[39:40], v[13:14], v[37:38]
	s_delay_alu instid0(VALU_DEP_1) | instskip(NEXT) | instid1(VALU_DEP_1)
	v_add_f64 v[13:14], v[15:16], v[39:40]
	v_add_f64 v[15:16], v[9:10], v[13:14]
	;; [unrolled: 3-line block ×7, first 2 shown]
	s_cbranch_scc0 .LBB125_17
; %bb.16:                               ;   in Loop: Header=BB125_1 Depth=1
	v_dual_mov_b32 v1, v21 :: v_dual_mov_b32 v2, v22
	v_dual_mov_b32 v23, v27 :: v_dual_mov_b32 v24, v28
	v_dual_mov_b32 v21, v25 :: v_dual_mov_b32 v22, v26
	v_dual_mov_b32 v28, v20 :: v_dual_mov_b32 v27, v19
	v_dual_mov_b32 v26, v18 :: v_dual_mov_b32 v25, v17
	v_dual_mov_b32 v32, v8 :: v_dual_mov_b32 v31, v7
	v_dual_mov_b32 v30, v6 :: v_dual_mov_b32 v29, v5
	v_dual_mov_b32 v7, v11 :: v_dual_mov_b32 v8, v12
	v_dual_mov_b32 v5, v9 :: v_dual_mov_b32 v6, v10
	v_dual_mov_b32 v11, v15 :: v_dual_mov_b32 v12, v16
	v_dual_mov_b32 v9, v13 :: v_dual_mov_b32 v10, v14
	v_dual_mov_b32 v15, v39 :: v_dual_mov_b32 v16, v40
	v_dual_mov_b32 v13, v37 :: v_dual_mov_b32 v14, v38
	v_dual_mov_b32 v19, v35 :: v_dual_mov_b32 v20, v36
	v_dual_mov_b32 v17, v33 :: v_dual_mov_b32 v18, v34
	s_branch .LBB125_1
.LBB125_17:
	v_add_co_u32 v0, vcc_lo, s6, v41
	v_add_co_ci_u32_e32 v1, vcc_lo, s7, v42, vcc_lo
	s_delay_alu instid0(VALU_DEP_3)
	v_dual_mov_b32 v23, v3 :: v_dual_mov_b32 v24, v4
	s_clause 0x7
	global_store_b128 v[0:1], v[33:36], off
	global_store_b128 v[0:1], v[37:40], off offset:16
	global_store_b128 v[0:1], v[13:16], off offset:32
	;; [unrolled: 1-line block ×7, first 2 shown]
	s_nop 0
	s_sendmsg sendmsg(MSG_DEALLOC_VGPRS)
	s_endpgm
	.section	.rodata,"a",@progbits
	.p2align	6, 0x0
	.amdhsa_kernel _Z6kernelI14exclusive_scanILN6hipcub18BlockScanAlgorithmE1EEdLj64ELj16ELj100EEvPKT0_PS4_S4_
		.amdhsa_group_segment_fixed_size 528
		.amdhsa_private_segment_fixed_size 0
		.amdhsa_kernarg_size 280
		.amdhsa_user_sgpr_count 15
		.amdhsa_user_sgpr_dispatch_ptr 0
		.amdhsa_user_sgpr_queue_ptr 0
		.amdhsa_user_sgpr_kernarg_segment_ptr 1
		.amdhsa_user_sgpr_dispatch_id 0
		.amdhsa_user_sgpr_private_segment_size 0
		.amdhsa_wavefront_size32 1
		.amdhsa_uses_dynamic_stack 0
		.amdhsa_enable_private_segment 0
		.amdhsa_system_sgpr_workgroup_id_x 1
		.amdhsa_system_sgpr_workgroup_id_y 0
		.amdhsa_system_sgpr_workgroup_id_z 0
		.amdhsa_system_sgpr_workgroup_info 0
		.amdhsa_system_vgpr_workitem_id 0
		.amdhsa_next_free_vgpr 47
		.amdhsa_next_free_sgpr 16
		.amdhsa_reserve_vcc 1
		.amdhsa_float_round_mode_32 0
		.amdhsa_float_round_mode_16_64 0
		.amdhsa_float_denorm_mode_32 3
		.amdhsa_float_denorm_mode_16_64 3
		.amdhsa_dx10_clamp 1
		.amdhsa_ieee_mode 1
		.amdhsa_fp16_overflow 0
		.amdhsa_workgroup_processor_mode 1
		.amdhsa_memory_ordered 1
		.amdhsa_forward_progress 0
		.amdhsa_shared_vgpr_count 0
		.amdhsa_exception_fp_ieee_invalid_op 0
		.amdhsa_exception_fp_denorm_src 0
		.amdhsa_exception_fp_ieee_div_zero 0
		.amdhsa_exception_fp_ieee_overflow 0
		.amdhsa_exception_fp_ieee_underflow 0
		.amdhsa_exception_fp_ieee_inexact 0
		.amdhsa_exception_int_div_zero 0
	.end_amdhsa_kernel
	.section	.text._Z6kernelI14exclusive_scanILN6hipcub18BlockScanAlgorithmE1EEdLj64ELj16ELj100EEvPKT0_PS4_S4_,"axG",@progbits,_Z6kernelI14exclusive_scanILN6hipcub18BlockScanAlgorithmE1EEdLj64ELj16ELj100EEvPKT0_PS4_S4_,comdat
.Lfunc_end125:
	.size	_Z6kernelI14exclusive_scanILN6hipcub18BlockScanAlgorithmE1EEdLj64ELj16ELj100EEvPKT0_PS4_S4_, .Lfunc_end125-_Z6kernelI14exclusive_scanILN6hipcub18BlockScanAlgorithmE1EEdLj64ELj16ELj100EEvPKT0_PS4_S4_
                                        ; -- End function
	.section	.AMDGPU.csdata,"",@progbits
; Kernel info:
; codeLenInByte = 1228
; NumSgprs: 18
; NumVgprs: 47
; ScratchSize: 0
; MemoryBound: 1
; FloatMode: 240
; IeeeMode: 1
; LDSByteSize: 528 bytes/workgroup (compile time only)
; SGPRBlocks: 2
; VGPRBlocks: 5
; NumSGPRsForWavesPerEU: 18
; NumVGPRsForWavesPerEU: 47
; Occupancy: 16
; WaveLimiterHint : 0
; COMPUTE_PGM_RSRC2:SCRATCH_EN: 0
; COMPUTE_PGM_RSRC2:USER_SGPR: 15
; COMPUTE_PGM_RSRC2:TRAP_HANDLER: 0
; COMPUTE_PGM_RSRC2:TGID_X_EN: 1
; COMPUTE_PGM_RSRC2:TGID_Y_EN: 0
; COMPUTE_PGM_RSRC2:TGID_Z_EN: 0
; COMPUTE_PGM_RSRC2:TIDIG_COMP_CNT: 0
	.section	.text._Z6kernelI14exclusive_scanILN6hipcub18BlockScanAlgorithmE1EEhLj64ELj1ELj100EEvPKT0_PS4_S4_,"axG",@progbits,_Z6kernelI14exclusive_scanILN6hipcub18BlockScanAlgorithmE1EEhLj64ELj1ELj100EEvPKT0_PS4_S4_,comdat
	.protected	_Z6kernelI14exclusive_scanILN6hipcub18BlockScanAlgorithmE1EEhLj64ELj1ELj100EEvPKT0_PS4_S4_ ; -- Begin function _Z6kernelI14exclusive_scanILN6hipcub18BlockScanAlgorithmE1EEhLj64ELj1ELj100EEvPKT0_PS4_S4_
	.globl	_Z6kernelI14exclusive_scanILN6hipcub18BlockScanAlgorithmE1EEhLj64ELj1ELj100EEvPKT0_PS4_S4_
	.p2align	8
	.type	_Z6kernelI14exclusive_scanILN6hipcub18BlockScanAlgorithmE1EEhLj64ELj1ELj100EEvPKT0_PS4_S4_,@function
_Z6kernelI14exclusive_scanILN6hipcub18BlockScanAlgorithmE1EEhLj64ELj1ELj100EEvPKT0_PS4_S4_: ; @_Z6kernelI14exclusive_scanILN6hipcub18BlockScanAlgorithmE1EEhLj64ELj1ELj100EEvPKT0_PS4_S4_
; %bb.0:
	s_clause 0x2
	s_load_b32 s2, s[0:1], 0x24
	s_load_b128 s[4:7], s[0:1], 0x0
	s_load_b32 s3, s[0:1], 0x10
	v_add_nc_u32_e32 v5, -1, v0
	v_lshrrev_b32_e32 v3, 5, v0
	v_lshrrev_b32_e32 v6, 4, v0
	v_mbcnt_lo_u32_b32 v4, -1, 0
	v_cmp_gt_u32_e32 vcc_lo, 32, v0
	v_lshrrev_b32_e32 v7, 5, v5
	v_add_nc_u32_e32 v3, v3, v0
	v_cmp_eq_u32_e64 s0, 0, v0
	v_cmp_ne_u32_e64 s1, 0, v0
	v_add_nc_u32_e32 v8, -1, v4
	v_add_nc_u32_e32 v5, v7, v5
	v_and_b32_e32 v7, 16, v4
	s_waitcnt lgkmcnt(0)
	s_and_b32 s2, s2, 0xffff
	s_delay_alu instid0(SALU_CYCLE_1)
	v_mad_u64_u32 v[1:2], null, s15, s2, v[0:1]
	v_lshl_add_u32 v0, v0, 1, v6
	v_and_b32_e32 v6, 15, v4
	global_load_u8 v2, v1, s[4:5]
	s_movk_i32 s4, 0x64
	s_branch .LBB126_2
.LBB126_1:                              ;   in Loop: Header=BB126_2 Depth=1
	s_or_b32 exec_lo, exec_lo, s2
	s_add_i32 s4, s4, -1
	s_delay_alu instid0(SALU_CYCLE_1)
	s_cmp_lg_u32 s4, 0
	s_cbranch_scc0 .LBB126_6
.LBB126_2:                              ; =>This Inner Loop Header: Depth=1
	s_waitcnt vmcnt(0)
	ds_store_b8 v3, v2
	s_waitcnt lgkmcnt(0)
	s_barrier
	buffer_gl0_inv
	s_and_saveexec_b32 s5, vcc_lo
	s_cbranch_execz .LBB126_4
; %bb.3:                                ;   in Loop: Header=BB126_2 Depth=1
	ds_load_u8 v9, v0
	ds_load_u8 v10, v0 offset:1
	v_cmp_ne_u32_e64 s2, 0, v6
	s_waitcnt lgkmcnt(0)
	v_add_nc_u16 v11, v10, v9
	s_delay_alu instid0(VALU_DEP_1) | instskip(NEXT) | instid1(VALU_DEP_1)
	v_and_b32_e32 v12, 0xff, v11
	v_mov_b32_dpp v12, v12 row_shr:1 row_mask:0xf bank_mask:0xf
	s_delay_alu instid0(VALU_DEP_1) | instskip(SKIP_1) | instid1(VALU_DEP_2)
	v_cndmask_b32_e64 v12, 0, v12, s2
	v_cmp_lt_u32_e64 s2, 1, v6
	v_add_nc_u16 v11, v12, v11
	s_delay_alu instid0(VALU_DEP_1) | instskip(NEXT) | instid1(VALU_DEP_1)
	v_and_b32_e32 v12, 0xff, v11
	v_mov_b32_dpp v12, v12 row_shr:2 row_mask:0xf bank_mask:0xf
	s_delay_alu instid0(VALU_DEP_1) | instskip(SKIP_1) | instid1(VALU_DEP_2)
	v_cndmask_b32_e64 v12, 0, v12, s2
	v_cmp_lt_u32_e64 s2, 3, v6
	;; [unrolled: 7-line block ×3, first 2 shown]
	v_add_nc_u16 v11, v11, v12
	s_delay_alu instid0(VALU_DEP_1) | instskip(NEXT) | instid1(VALU_DEP_1)
	v_and_b32_e32 v12, 0xff, v11
	v_mov_b32_dpp v12, v12 row_shr:8 row_mask:0xf bank_mask:0xf
	s_delay_alu instid0(VALU_DEP_1) | instskip(SKIP_1) | instid1(VALU_DEP_2)
	v_cndmask_b32_e64 v12, 0, v12, s2
	v_cmp_ne_u32_e64 s2, 0, v7
	v_add_nc_u16 v11, v11, v12
	s_delay_alu instid0(VALU_DEP_1) | instskip(SKIP_4) | instid1(VALU_DEP_2)
	v_and_b32_e32 v12, 0xff, v11
	ds_swizzle_b32 v12, v12 offset:swizzle(BROADCAST,32,15)
	s_waitcnt lgkmcnt(0)
	v_cndmask_b32_e64 v12, 0, v12, s2
	v_cmp_gt_i32_e64 s2, 0, v8
	v_add_nc_u16 v11, v11, v12
	s_delay_alu instid0(VALU_DEP_2) | instskip(NEXT) | instid1(VALU_DEP_2)
	v_cndmask_b32_e64 v12, v8, v4, s2
	v_and_b32_e32 v11, 0xff, v11
	s_delay_alu instid0(VALU_DEP_2) | instskip(SKIP_3) | instid1(VALU_DEP_1)
	v_lshlrev_b32_e32 v12, 2, v12
	ds_bpermute_b32 v11, v12, v11
	s_waitcnt lgkmcnt(0)
	v_add_nc_u16 v9, v9, v11
	v_cndmask_b32_e64 v2, v9, v2, s0
	s_delay_alu instid0(VALU_DEP_1)
	v_add_nc_u16 v9, v2, v10
	ds_store_b8 v0, v2
	ds_store_b8 v0, v9 offset:1
.LBB126_4:                              ;   in Loop: Header=BB126_2 Depth=1
	s_or_b32 exec_lo, exec_lo, s5
	v_mov_b32_e32 v2, s3
	s_waitcnt lgkmcnt(0)
	s_barrier
	buffer_gl0_inv
	s_and_saveexec_b32 s2, s1
	s_cbranch_execz .LBB126_1
; %bb.5:                                ;   in Loop: Header=BB126_2 Depth=1
	ds_load_u8 v2, v5
	s_waitcnt lgkmcnt(0)
	v_add_nc_u16 v2, v2, s3
	s_branch .LBB126_1
.LBB126_6:
	v_add_co_u32 v0, s0, s6, v1
	s_delay_alu instid0(VALU_DEP_1)
	v_add_co_ci_u32_e64 v1, null, s7, 0, s0
	global_store_b8 v[0:1], v2, off
	s_nop 0
	s_sendmsg sendmsg(MSG_DEALLOC_VGPRS)
	s_endpgm
	.section	.rodata,"a",@progbits
	.p2align	6, 0x0
	.amdhsa_kernel _Z6kernelI14exclusive_scanILN6hipcub18BlockScanAlgorithmE1EEhLj64ELj1ELj100EEvPKT0_PS4_S4_
		.amdhsa_group_segment_fixed_size 66
		.amdhsa_private_segment_fixed_size 0
		.amdhsa_kernarg_size 280
		.amdhsa_user_sgpr_count 15
		.amdhsa_user_sgpr_dispatch_ptr 0
		.amdhsa_user_sgpr_queue_ptr 0
		.amdhsa_user_sgpr_kernarg_segment_ptr 1
		.amdhsa_user_sgpr_dispatch_id 0
		.amdhsa_user_sgpr_private_segment_size 0
		.amdhsa_wavefront_size32 1
		.amdhsa_uses_dynamic_stack 0
		.amdhsa_enable_private_segment 0
		.amdhsa_system_sgpr_workgroup_id_x 1
		.amdhsa_system_sgpr_workgroup_id_y 0
		.amdhsa_system_sgpr_workgroup_id_z 0
		.amdhsa_system_sgpr_workgroup_info 0
		.amdhsa_system_vgpr_workitem_id 0
		.amdhsa_next_free_vgpr 13
		.amdhsa_next_free_sgpr 16
		.amdhsa_reserve_vcc 1
		.amdhsa_float_round_mode_32 0
		.amdhsa_float_round_mode_16_64 0
		.amdhsa_float_denorm_mode_32 3
		.amdhsa_float_denorm_mode_16_64 3
		.amdhsa_dx10_clamp 1
		.amdhsa_ieee_mode 1
		.amdhsa_fp16_overflow 0
		.amdhsa_workgroup_processor_mode 1
		.amdhsa_memory_ordered 1
		.amdhsa_forward_progress 0
		.amdhsa_shared_vgpr_count 0
		.amdhsa_exception_fp_ieee_invalid_op 0
		.amdhsa_exception_fp_denorm_src 0
		.amdhsa_exception_fp_ieee_div_zero 0
		.amdhsa_exception_fp_ieee_overflow 0
		.amdhsa_exception_fp_ieee_underflow 0
		.amdhsa_exception_fp_ieee_inexact 0
		.amdhsa_exception_int_div_zero 0
	.end_amdhsa_kernel
	.section	.text._Z6kernelI14exclusive_scanILN6hipcub18BlockScanAlgorithmE1EEhLj64ELj1ELj100EEvPKT0_PS4_S4_,"axG",@progbits,_Z6kernelI14exclusive_scanILN6hipcub18BlockScanAlgorithmE1EEhLj64ELj1ELj100EEvPKT0_PS4_S4_,comdat
.Lfunc_end126:
	.size	_Z6kernelI14exclusive_scanILN6hipcub18BlockScanAlgorithmE1EEhLj64ELj1ELj100EEvPKT0_PS4_S4_, .Lfunc_end126-_Z6kernelI14exclusive_scanILN6hipcub18BlockScanAlgorithmE1EEhLj64ELj1ELj100EEvPKT0_PS4_S4_
                                        ; -- End function
	.section	.AMDGPU.csdata,"",@progbits
; Kernel info:
; codeLenInByte = 652
; NumSgprs: 18
; NumVgprs: 13
; ScratchSize: 0
; MemoryBound: 0
; FloatMode: 240
; IeeeMode: 1
; LDSByteSize: 66 bytes/workgroup (compile time only)
; SGPRBlocks: 2
; VGPRBlocks: 1
; NumSGPRsForWavesPerEU: 18
; NumVGPRsForWavesPerEU: 13
; Occupancy: 16
; WaveLimiterHint : 0
; COMPUTE_PGM_RSRC2:SCRATCH_EN: 0
; COMPUTE_PGM_RSRC2:USER_SGPR: 15
; COMPUTE_PGM_RSRC2:TRAP_HANDLER: 0
; COMPUTE_PGM_RSRC2:TGID_X_EN: 1
; COMPUTE_PGM_RSRC2:TGID_Y_EN: 0
; COMPUTE_PGM_RSRC2:TGID_Z_EN: 0
; COMPUTE_PGM_RSRC2:TIDIG_COMP_CNT: 0
	.section	.text._Z6kernelI14exclusive_scanILN6hipcub18BlockScanAlgorithmE1EEhLj64ELj3ELj100EEvPKT0_PS4_S4_,"axG",@progbits,_Z6kernelI14exclusive_scanILN6hipcub18BlockScanAlgorithmE1EEhLj64ELj3ELj100EEvPKT0_PS4_S4_,comdat
	.protected	_Z6kernelI14exclusive_scanILN6hipcub18BlockScanAlgorithmE1EEhLj64ELj3ELj100EEvPKT0_PS4_S4_ ; -- Begin function _Z6kernelI14exclusive_scanILN6hipcub18BlockScanAlgorithmE1EEhLj64ELj3ELj100EEvPKT0_PS4_S4_
	.globl	_Z6kernelI14exclusive_scanILN6hipcub18BlockScanAlgorithmE1EEhLj64ELj3ELj100EEvPKT0_PS4_S4_
	.p2align	8
	.type	_Z6kernelI14exclusive_scanILN6hipcub18BlockScanAlgorithmE1EEhLj64ELj3ELj100EEvPKT0_PS4_S4_,@function
_Z6kernelI14exclusive_scanILN6hipcub18BlockScanAlgorithmE1EEhLj64ELj3ELj100EEvPKT0_PS4_S4_: ; @_Z6kernelI14exclusive_scanILN6hipcub18BlockScanAlgorithmE1EEhLj64ELj3ELj100EEvPKT0_PS4_S4_
; %bb.0:
	s_clause 0x2
	s_load_b32 s2, s[0:1], 0x24
	s_load_b32 s3, s[0:1], 0x10
	s_load_b128 s[4:7], s[0:1], 0x0
	v_add_nc_u32_e32 v8, -1, v0
	v_mbcnt_lo_u32_b32 v4, -1, 0
	v_lshrrev_b32_e32 v7, 5, v0
	v_lshrrev_b32_e32 v10, 4, v0
	v_cmp_gt_u32_e32 vcc_lo, 32, v0
	v_lshrrev_b32_e32 v11, 5, v8
	v_cmp_eq_u32_e64 s0, 0, v0
	v_cmp_ne_u32_e64 s1, 0, v0
	v_add_nc_u32_e32 v7, v7, v0
	s_delay_alu instid0(VALU_DEP_4) | instskip(SKIP_2) | instid1(SALU_CYCLE_1)
	v_add_nc_u32_e32 v8, v11, v8
	s_waitcnt lgkmcnt(0)
	s_and_b32 s2, s2, 0xffff
	v_mad_u64_u32 v[1:2], null, s15, s2, v[0:1]
	v_lshl_add_u32 v0, v0, 1, v10
	s_delay_alu instid0(VALU_DEP_2) | instskip(NEXT) | instid1(VALU_DEP_1)
	v_lshl_add_u32 v3, v1, 1, v1
	v_add_nc_u32_e32 v2, 1, v3
	v_add_nc_u32_e32 v1, 2, v3
	s_clause 0x2
	global_load_u8 v5, v2, s[4:5]
	global_load_u8 v6, v3, s[4:5]
	;; [unrolled: 1-line block ×3, first 2 shown]
	s_movk_i32 s4, 0x64
	s_waitcnt vmcnt(2)
	v_lshlrev_b16 v5, 8, v5
	s_waitcnt vmcnt(1)
	s_delay_alu instid0(VALU_DEP_1) | instskip(SKIP_1) | instid1(VALU_DEP_2)
	v_or_b32_e32 v6, v6, v5
	v_and_b32_e32 v5, 15, v4
	v_and_b32_e32 v12, 0xffff, v6
	;; [unrolled: 1-line block ×3, first 2 shown]
	s_waitcnt vmcnt(0)
	s_delay_alu instid0(VALU_DEP_2)
	v_lshl_or_b32 v10, v9, 16, v12
	v_add_nc_u32_e32 v9, -1, v4
	s_branch .LBB127_2
.LBB127_1:                              ;   in Loop: Header=BB127_2 Depth=1
	s_or_b32 exec_lo, exec_lo, s2
	s_delay_alu instid0(VALU_DEP_1) | instskip(SKIP_2) | instid1(SALU_CYCLE_1)
	v_add_nc_u16 v13, v12, v10
	v_and_b32_e32 v10, 0xff, v12
	s_add_i32 s4, s4, -1
	s_cmp_lg_u32 s4, 0
	s_delay_alu instid0(VALU_DEP_2) | instskip(SKIP_1) | instid1(VALU_DEP_2)
	v_lshlrev_b16 v14, 8, v13
	v_add_nc_u16 v11, v13, v11
	v_or_b32_e32 v10, v10, v14
	s_delay_alu instid0(VALU_DEP_2) | instskip(NEXT) | instid1(VALU_DEP_2)
	v_and_b32_e32 v14, 0xff, v11
	v_and_b32_e32 v10, 0xffff, v10
	s_delay_alu instid0(VALU_DEP_2) | instskip(NEXT) | instid1(VALU_DEP_1)
	v_lshlrev_b32_e32 v14, 16, v14
	v_or_b32_e32 v10, v10, v14
	s_cbranch_scc0 .LBB127_6
.LBB127_2:                              ; =>This Inner Loop Header: Depth=1
	s_delay_alu instid0(VALU_DEP_1) | instskip(SKIP_1) | instid1(VALU_DEP_2)
	v_lshrrev_b32_e32 v11, 8, v10
	v_lshrrev_b32_e32 v12, 16, v10
	v_add_nc_u16 v13, v11, v10
	s_delay_alu instid0(VALU_DEP_1)
	v_add_nc_u16 v12, v13, v12
	ds_store_b8 v7, v12
	s_waitcnt lgkmcnt(0)
	s_barrier
	buffer_gl0_inv
	s_and_saveexec_b32 s5, vcc_lo
	s_cbranch_execz .LBB127_4
; %bb.3:                                ;   in Loop: Header=BB127_2 Depth=1
	ds_load_u8 v13, v0
	ds_load_u8 v14, v0 offset:1
	v_cmp_ne_u32_e64 s2, 0, v5
	s_waitcnt lgkmcnt(0)
	v_add_nc_u16 v15, v14, v13
	s_delay_alu instid0(VALU_DEP_1) | instskip(NEXT) | instid1(VALU_DEP_1)
	v_and_b32_e32 v16, 0xff, v15
	v_mov_b32_dpp v16, v16 row_shr:1 row_mask:0xf bank_mask:0xf
	s_delay_alu instid0(VALU_DEP_1) | instskip(SKIP_1) | instid1(VALU_DEP_2)
	v_cndmask_b32_e64 v16, 0, v16, s2
	v_cmp_lt_u32_e64 s2, 1, v5
	v_add_nc_u16 v15, v16, v15
	s_delay_alu instid0(VALU_DEP_1) | instskip(NEXT) | instid1(VALU_DEP_1)
	v_and_b32_e32 v16, 0xff, v15
	v_mov_b32_dpp v16, v16 row_shr:2 row_mask:0xf bank_mask:0xf
	s_delay_alu instid0(VALU_DEP_1) | instskip(SKIP_1) | instid1(VALU_DEP_2)
	v_cndmask_b32_e64 v16, 0, v16, s2
	v_cmp_lt_u32_e64 s2, 3, v5
	;; [unrolled: 7-line block ×3, first 2 shown]
	v_add_nc_u16 v15, v15, v16
	s_delay_alu instid0(VALU_DEP_1) | instskip(NEXT) | instid1(VALU_DEP_1)
	v_and_b32_e32 v16, 0xff, v15
	v_mov_b32_dpp v16, v16 row_shr:8 row_mask:0xf bank_mask:0xf
	s_delay_alu instid0(VALU_DEP_1) | instskip(SKIP_1) | instid1(VALU_DEP_2)
	v_cndmask_b32_e64 v16, 0, v16, s2
	v_cmp_ne_u32_e64 s2, 0, v6
	v_add_nc_u16 v15, v15, v16
	s_delay_alu instid0(VALU_DEP_1) | instskip(SKIP_4) | instid1(VALU_DEP_2)
	v_and_b32_e32 v16, 0xff, v15
	ds_swizzle_b32 v16, v16 offset:swizzle(BROADCAST,32,15)
	s_waitcnt lgkmcnt(0)
	v_cndmask_b32_e64 v16, 0, v16, s2
	v_cmp_gt_i32_e64 s2, 0, v9
	v_add_nc_u16 v15, v15, v16
	s_delay_alu instid0(VALU_DEP_2) | instskip(NEXT) | instid1(VALU_DEP_2)
	v_cndmask_b32_e64 v16, v9, v4, s2
	v_and_b32_e32 v15, 0xff, v15
	s_delay_alu instid0(VALU_DEP_2) | instskip(SKIP_3) | instid1(VALU_DEP_1)
	v_lshlrev_b32_e32 v16, 2, v16
	ds_bpermute_b32 v15, v16, v15
	s_waitcnt lgkmcnt(0)
	v_add_nc_u16 v13, v13, v15
	v_cndmask_b32_e64 v12, v13, v12, s0
	s_delay_alu instid0(VALU_DEP_1)
	v_add_nc_u16 v13, v12, v14
	ds_store_b8 v0, v12
	ds_store_b8 v0, v13 offset:1
.LBB127_4:                              ;   in Loop: Header=BB127_2 Depth=1
	s_or_b32 exec_lo, exec_lo, s5
	v_mov_b32_e32 v12, s3
	s_waitcnt lgkmcnt(0)
	s_barrier
	buffer_gl0_inv
	s_and_saveexec_b32 s2, s1
	s_cbranch_execz .LBB127_1
; %bb.5:                                ;   in Loop: Header=BB127_2 Depth=1
	ds_load_u8 v12, v8
	s_waitcnt lgkmcnt(0)
	v_add_nc_u16 v12, v12, s3
	s_branch .LBB127_1
.LBB127_6:
	v_add_co_u32 v3, s0, s6, v3
	s_delay_alu instid0(VALU_DEP_1) | instskip(SKIP_1) | instid1(VALU_DEP_1)
	v_add_co_ci_u32_e64 v4, null, s7, 0, s0
	v_add_co_u32 v5, s0, s6, v2
	v_add_co_ci_u32_e64 v6, null, s7, 0, s0
	v_add_co_u32 v0, s0, s6, v1
	s_delay_alu instid0(VALU_DEP_1)
	v_add_co_ci_u32_e64 v1, null, s7, 0, s0
	s_clause 0x2
	global_store_b8 v[3:4], v12, off
	global_store_b8 v[5:6], v13, off
	;; [unrolled: 1-line block ×3, first 2 shown]
	s_nop 0
	s_sendmsg sendmsg(MSG_DEALLOC_VGPRS)
	s_endpgm
	.section	.rodata,"a",@progbits
	.p2align	6, 0x0
	.amdhsa_kernel _Z6kernelI14exclusive_scanILN6hipcub18BlockScanAlgorithmE1EEhLj64ELj3ELj100EEvPKT0_PS4_S4_
		.amdhsa_group_segment_fixed_size 66
		.amdhsa_private_segment_fixed_size 0
		.amdhsa_kernarg_size 280
		.amdhsa_user_sgpr_count 15
		.amdhsa_user_sgpr_dispatch_ptr 0
		.amdhsa_user_sgpr_queue_ptr 0
		.amdhsa_user_sgpr_kernarg_segment_ptr 1
		.amdhsa_user_sgpr_dispatch_id 0
		.amdhsa_user_sgpr_private_segment_size 0
		.amdhsa_wavefront_size32 1
		.amdhsa_uses_dynamic_stack 0
		.amdhsa_enable_private_segment 0
		.amdhsa_system_sgpr_workgroup_id_x 1
		.amdhsa_system_sgpr_workgroup_id_y 0
		.amdhsa_system_sgpr_workgroup_id_z 0
		.amdhsa_system_sgpr_workgroup_info 0
		.amdhsa_system_vgpr_workitem_id 0
		.amdhsa_next_free_vgpr 17
		.amdhsa_next_free_sgpr 16
		.amdhsa_reserve_vcc 1
		.amdhsa_float_round_mode_32 0
		.amdhsa_float_round_mode_16_64 0
		.amdhsa_float_denorm_mode_32 3
		.amdhsa_float_denorm_mode_16_64 3
		.amdhsa_dx10_clamp 1
		.amdhsa_ieee_mode 1
		.amdhsa_fp16_overflow 0
		.amdhsa_workgroup_processor_mode 1
		.amdhsa_memory_ordered 1
		.amdhsa_forward_progress 0
		.amdhsa_shared_vgpr_count 0
		.amdhsa_exception_fp_ieee_invalid_op 0
		.amdhsa_exception_fp_denorm_src 0
		.amdhsa_exception_fp_ieee_div_zero 0
		.amdhsa_exception_fp_ieee_overflow 0
		.amdhsa_exception_fp_ieee_underflow 0
		.amdhsa_exception_fp_ieee_inexact 0
		.amdhsa_exception_int_div_zero 0
	.end_amdhsa_kernel
	.section	.text._Z6kernelI14exclusive_scanILN6hipcub18BlockScanAlgorithmE1EEhLj64ELj3ELj100EEvPKT0_PS4_S4_,"axG",@progbits,_Z6kernelI14exclusive_scanILN6hipcub18BlockScanAlgorithmE1EEhLj64ELj3ELj100EEvPKT0_PS4_S4_,comdat
.Lfunc_end127:
	.size	_Z6kernelI14exclusive_scanILN6hipcub18BlockScanAlgorithmE1EEhLj64ELj3ELj100EEvPKT0_PS4_S4_, .Lfunc_end127-_Z6kernelI14exclusive_scanILN6hipcub18BlockScanAlgorithmE1EEhLj64ELj3ELj100EEvPKT0_PS4_S4_
                                        ; -- End function
	.section	.AMDGPU.csdata,"",@progbits
; Kernel info:
; codeLenInByte = 896
; NumSgprs: 18
; NumVgprs: 17
; ScratchSize: 0
; MemoryBound: 0
; FloatMode: 240
; IeeeMode: 1
; LDSByteSize: 66 bytes/workgroup (compile time only)
; SGPRBlocks: 2
; VGPRBlocks: 2
; NumSGPRsForWavesPerEU: 18
; NumVGPRsForWavesPerEU: 17
; Occupancy: 16
; WaveLimiterHint : 0
; COMPUTE_PGM_RSRC2:SCRATCH_EN: 0
; COMPUTE_PGM_RSRC2:USER_SGPR: 15
; COMPUTE_PGM_RSRC2:TRAP_HANDLER: 0
; COMPUTE_PGM_RSRC2:TGID_X_EN: 1
; COMPUTE_PGM_RSRC2:TGID_Y_EN: 0
; COMPUTE_PGM_RSRC2:TGID_Z_EN: 0
; COMPUTE_PGM_RSRC2:TIDIG_COMP_CNT: 0
	.section	.text._Z6kernelI14exclusive_scanILN6hipcub18BlockScanAlgorithmE1EEhLj64ELj4ELj100EEvPKT0_PS4_S4_,"axG",@progbits,_Z6kernelI14exclusive_scanILN6hipcub18BlockScanAlgorithmE1EEhLj64ELj4ELj100EEvPKT0_PS4_S4_,comdat
	.protected	_Z6kernelI14exclusive_scanILN6hipcub18BlockScanAlgorithmE1EEhLj64ELj4ELj100EEvPKT0_PS4_S4_ ; -- Begin function _Z6kernelI14exclusive_scanILN6hipcub18BlockScanAlgorithmE1EEhLj64ELj4ELj100EEvPKT0_PS4_S4_
	.globl	_Z6kernelI14exclusive_scanILN6hipcub18BlockScanAlgorithmE1EEhLj64ELj4ELj100EEvPKT0_PS4_S4_
	.p2align	8
	.type	_Z6kernelI14exclusive_scanILN6hipcub18BlockScanAlgorithmE1EEhLj64ELj4ELj100EEvPKT0_PS4_S4_,@function
_Z6kernelI14exclusive_scanILN6hipcub18BlockScanAlgorithmE1EEhLj64ELj4ELj100EEvPKT0_PS4_S4_: ; @_Z6kernelI14exclusive_scanILN6hipcub18BlockScanAlgorithmE1EEhLj64ELj4ELj100EEvPKT0_PS4_S4_
; %bb.0:
	s_clause 0x2
	s_load_b32 s2, s[0:1], 0x24
	s_load_b128 s[4:7], s[0:1], 0x0
	s_load_b32 s3, s[0:1], 0x10
	v_add_nc_u32_e32 v5, -1, v0
	v_lshrrev_b32_e32 v2, 5, v0
	v_lshrrev_b32_e32 v6, 4, v0
	v_mbcnt_lo_u32_b32 v4, -1, 0
	v_cmp_gt_u32_e32 vcc_lo, 32, v0
	v_lshrrev_b32_e32 v7, 5, v5
	v_add_nc_u32_e32 v2, v2, v0
	v_cmp_eq_u32_e64 s0, 0, v0
	v_cmp_ne_u32_e64 s1, 0, v0
	v_add_nc_u32_e32 v8, -1, v4
	v_add_nc_u32_e32 v5, v7, v5
	v_and_b32_e32 v7, 16, v4
	s_waitcnt lgkmcnt(0)
	s_and_b32 s2, s2, 0xffff
	s_delay_alu instid0(SALU_CYCLE_1) | instskip(NEXT) | instid1(SALU_CYCLE_1)
	s_mul_i32 s15, s15, s2
	v_add_lshl_u32 v1, s15, v0, 2
	v_lshl_add_u32 v0, v0, 1, v6
	v_and_b32_e32 v6, 15, v4
	global_load_b32 v3, v1, s[4:5]
	s_movk_i32 s4, 0x64
	s_branch .LBB128_2
.LBB128_1:                              ;   in Loop: Header=BB128_2 Depth=1
	s_or_b32 exec_lo, exec_lo, s2
	s_delay_alu instid0(VALU_DEP_1) | instskip(SKIP_2) | instid1(SALU_CYCLE_1)
	v_add_nc_u16 v3, v11, v3
	v_and_b32_e32 v13, 0xff, v11
	s_add_i32 s4, s4, -1
	s_cmp_lg_u32 s4, 0
	s_delay_alu instid0(VALU_DEP_2) | instskip(NEXT) | instid1(VALU_DEP_1)
	v_add_nc_u16 v10, v3, v10
	v_add_nc_u16 v12, v10, v9
	v_lshlrev_b16 v9, 8, v3
	v_and_b32_e32 v3, 0xff, v10
	s_delay_alu instid0(VALU_DEP_3) | instskip(NEXT) | instid1(VALU_DEP_3)
	v_lshlrev_b16 v10, 8, v12
	v_or_b32_e32 v12, v13, v9
	s_delay_alu instid0(VALU_DEP_2) | instskip(NEXT) | instid1(VALU_DEP_2)
	v_or_b32_e32 v3, v3, v10
	v_and_b32_e32 v12, 0xffff, v12
	s_delay_alu instid0(VALU_DEP_2) | instskip(NEXT) | instid1(VALU_DEP_1)
	v_lshlrev_b32_e32 v10, 16, v3
	v_or_b32_e32 v3, v12, v10
	s_cbranch_scc0 .LBB128_6
.LBB128_2:                              ; =>This Inner Loop Header: Depth=1
	s_waitcnt vmcnt(0)
	s_delay_alu instid0(VALU_DEP_1) | instskip(SKIP_2) | instid1(VALU_DEP_3)
	v_lshrrev_b32_e32 v10, 8, v3
	v_lshrrev_b32_e32 v9, 16, v3
	;; [unrolled: 1-line block ×3, first 2 shown]
	v_add_nc_u16 v11, v10, v3
	s_delay_alu instid0(VALU_DEP_1) | instskip(NEXT) | instid1(VALU_DEP_1)
	v_add_nc_u16 v11, v11, v9
	v_add_nc_u16 v11, v11, v12
	ds_store_b8 v2, v11
	s_waitcnt lgkmcnt(0)
	s_barrier
	buffer_gl0_inv
	s_and_saveexec_b32 s5, vcc_lo
	s_cbranch_execz .LBB128_4
; %bb.3:                                ;   in Loop: Header=BB128_2 Depth=1
	ds_load_u8 v12, v0
	ds_load_u8 v13, v0 offset:1
	v_cmp_ne_u32_e64 s2, 0, v6
	s_waitcnt lgkmcnt(0)
	v_add_nc_u16 v14, v13, v12
	s_delay_alu instid0(VALU_DEP_1) | instskip(NEXT) | instid1(VALU_DEP_1)
	v_and_b32_e32 v15, 0xff, v14
	v_mov_b32_dpp v15, v15 row_shr:1 row_mask:0xf bank_mask:0xf
	s_delay_alu instid0(VALU_DEP_1) | instskip(SKIP_1) | instid1(VALU_DEP_2)
	v_cndmask_b32_e64 v15, 0, v15, s2
	v_cmp_lt_u32_e64 s2, 1, v6
	v_add_nc_u16 v14, v15, v14
	s_delay_alu instid0(VALU_DEP_1) | instskip(NEXT) | instid1(VALU_DEP_1)
	v_and_b32_e32 v15, 0xff, v14
	v_mov_b32_dpp v15, v15 row_shr:2 row_mask:0xf bank_mask:0xf
	s_delay_alu instid0(VALU_DEP_1) | instskip(SKIP_1) | instid1(VALU_DEP_2)
	v_cndmask_b32_e64 v15, 0, v15, s2
	v_cmp_lt_u32_e64 s2, 3, v6
	;; [unrolled: 7-line block ×3, first 2 shown]
	v_add_nc_u16 v14, v14, v15
	s_delay_alu instid0(VALU_DEP_1) | instskip(NEXT) | instid1(VALU_DEP_1)
	v_and_b32_e32 v15, 0xff, v14
	v_mov_b32_dpp v15, v15 row_shr:8 row_mask:0xf bank_mask:0xf
	s_delay_alu instid0(VALU_DEP_1) | instskip(SKIP_1) | instid1(VALU_DEP_2)
	v_cndmask_b32_e64 v15, 0, v15, s2
	v_cmp_ne_u32_e64 s2, 0, v7
	v_add_nc_u16 v14, v14, v15
	s_delay_alu instid0(VALU_DEP_1) | instskip(SKIP_4) | instid1(VALU_DEP_2)
	v_and_b32_e32 v15, 0xff, v14
	ds_swizzle_b32 v15, v15 offset:swizzle(BROADCAST,32,15)
	s_waitcnt lgkmcnt(0)
	v_cndmask_b32_e64 v15, 0, v15, s2
	v_cmp_gt_i32_e64 s2, 0, v8
	v_add_nc_u16 v14, v14, v15
	s_delay_alu instid0(VALU_DEP_2) | instskip(NEXT) | instid1(VALU_DEP_2)
	v_cndmask_b32_e64 v15, v8, v4, s2
	v_and_b32_e32 v14, 0xff, v14
	s_delay_alu instid0(VALU_DEP_2) | instskip(SKIP_3) | instid1(VALU_DEP_1)
	v_lshlrev_b32_e32 v15, 2, v15
	ds_bpermute_b32 v14, v15, v14
	s_waitcnt lgkmcnt(0)
	v_add_nc_u16 v12, v12, v14
	v_cndmask_b32_e64 v11, v12, v11, s0
	s_delay_alu instid0(VALU_DEP_1)
	v_add_nc_u16 v12, v11, v13
	ds_store_b8 v0, v11
	ds_store_b8 v0, v12 offset:1
.LBB128_4:                              ;   in Loop: Header=BB128_2 Depth=1
	s_or_b32 exec_lo, exec_lo, s5
	v_mov_b32_e32 v11, s3
	s_waitcnt lgkmcnt(0)
	s_barrier
	buffer_gl0_inv
	s_and_saveexec_b32 s2, s1
	s_cbranch_execz .LBB128_1
; %bb.5:                                ;   in Loop: Header=BB128_2 Depth=1
	ds_load_u8 v11, v5
	s_waitcnt lgkmcnt(0)
	v_add_nc_u16 v11, v11, s3
	s_branch .LBB128_1
.LBB128_6:
	v_and_b32_e32 v0, 0xff, v11
	s_delay_alu instid0(VALU_DEP_1) | instskip(NEXT) | instid1(VALU_DEP_1)
	v_or_b32_e32 v0, v0, v9
	v_and_b32_e32 v2, 0xffff, v0
	v_add_co_u32 v0, s0, s6, v1
	s_delay_alu instid0(VALU_DEP_1) | instskip(NEXT) | instid1(VALU_DEP_3)
	v_add_co_ci_u32_e64 v1, null, s7, 0, s0
	v_or_b32_e32 v2, v2, v10
	global_store_b32 v[0:1], v2, off
	s_nop 0
	s_sendmsg sendmsg(MSG_DEALLOC_VGPRS)
	s_endpgm
	.section	.rodata,"a",@progbits
	.p2align	6, 0x0
	.amdhsa_kernel _Z6kernelI14exclusive_scanILN6hipcub18BlockScanAlgorithmE1EEhLj64ELj4ELj100EEvPKT0_PS4_S4_
		.amdhsa_group_segment_fixed_size 66
		.amdhsa_private_segment_fixed_size 0
		.amdhsa_kernarg_size 280
		.amdhsa_user_sgpr_count 15
		.amdhsa_user_sgpr_dispatch_ptr 0
		.amdhsa_user_sgpr_queue_ptr 0
		.amdhsa_user_sgpr_kernarg_segment_ptr 1
		.amdhsa_user_sgpr_dispatch_id 0
		.amdhsa_user_sgpr_private_segment_size 0
		.amdhsa_wavefront_size32 1
		.amdhsa_uses_dynamic_stack 0
		.amdhsa_enable_private_segment 0
		.amdhsa_system_sgpr_workgroup_id_x 1
		.amdhsa_system_sgpr_workgroup_id_y 0
		.amdhsa_system_sgpr_workgroup_id_z 0
		.amdhsa_system_sgpr_workgroup_info 0
		.amdhsa_system_vgpr_workitem_id 0
		.amdhsa_next_free_vgpr 16
		.amdhsa_next_free_sgpr 16
		.amdhsa_reserve_vcc 1
		.amdhsa_float_round_mode_32 0
		.amdhsa_float_round_mode_16_64 0
		.amdhsa_float_denorm_mode_32 3
		.amdhsa_float_denorm_mode_16_64 3
		.amdhsa_dx10_clamp 1
		.amdhsa_ieee_mode 1
		.amdhsa_fp16_overflow 0
		.amdhsa_workgroup_processor_mode 1
		.amdhsa_memory_ordered 1
		.amdhsa_forward_progress 0
		.amdhsa_shared_vgpr_count 0
		.amdhsa_exception_fp_ieee_invalid_op 0
		.amdhsa_exception_fp_denorm_src 0
		.amdhsa_exception_fp_ieee_div_zero 0
		.amdhsa_exception_fp_ieee_overflow 0
		.amdhsa_exception_fp_ieee_underflow 0
		.amdhsa_exception_fp_ieee_inexact 0
		.amdhsa_exception_int_div_zero 0
	.end_amdhsa_kernel
	.section	.text._Z6kernelI14exclusive_scanILN6hipcub18BlockScanAlgorithmE1EEhLj64ELj4ELj100EEvPKT0_PS4_S4_,"axG",@progbits,_Z6kernelI14exclusive_scanILN6hipcub18BlockScanAlgorithmE1EEhLj64ELj4ELj100EEvPKT0_PS4_S4_,comdat
.Lfunc_end128:
	.size	_Z6kernelI14exclusive_scanILN6hipcub18BlockScanAlgorithmE1EEhLj64ELj4ELj100EEvPKT0_PS4_S4_, .Lfunc_end128-_Z6kernelI14exclusive_scanILN6hipcub18BlockScanAlgorithmE1EEhLj64ELj4ELj100EEvPKT0_PS4_S4_
                                        ; -- End function
	.section	.AMDGPU.csdata,"",@progbits
; Kernel info:
; codeLenInByte = 824
; NumSgprs: 18
; NumVgprs: 16
; ScratchSize: 0
; MemoryBound: 0
; FloatMode: 240
; IeeeMode: 1
; LDSByteSize: 66 bytes/workgroup (compile time only)
; SGPRBlocks: 2
; VGPRBlocks: 1
; NumSGPRsForWavesPerEU: 18
; NumVGPRsForWavesPerEU: 16
; Occupancy: 16
; WaveLimiterHint : 0
; COMPUTE_PGM_RSRC2:SCRATCH_EN: 0
; COMPUTE_PGM_RSRC2:USER_SGPR: 15
; COMPUTE_PGM_RSRC2:TRAP_HANDLER: 0
; COMPUTE_PGM_RSRC2:TGID_X_EN: 1
; COMPUTE_PGM_RSRC2:TGID_Y_EN: 0
; COMPUTE_PGM_RSRC2:TGID_Z_EN: 0
; COMPUTE_PGM_RSRC2:TIDIG_COMP_CNT: 0
	.section	.text._Z6kernelI14exclusive_scanILN6hipcub18BlockScanAlgorithmE1EEhLj64ELj8ELj100EEvPKT0_PS4_S4_,"axG",@progbits,_Z6kernelI14exclusive_scanILN6hipcub18BlockScanAlgorithmE1EEhLj64ELj8ELj100EEvPKT0_PS4_S4_,comdat
	.protected	_Z6kernelI14exclusive_scanILN6hipcub18BlockScanAlgorithmE1EEhLj64ELj8ELj100EEvPKT0_PS4_S4_ ; -- Begin function _Z6kernelI14exclusive_scanILN6hipcub18BlockScanAlgorithmE1EEhLj64ELj8ELj100EEvPKT0_PS4_S4_
	.globl	_Z6kernelI14exclusive_scanILN6hipcub18BlockScanAlgorithmE1EEhLj64ELj8ELj100EEvPKT0_PS4_S4_
	.p2align	8
	.type	_Z6kernelI14exclusive_scanILN6hipcub18BlockScanAlgorithmE1EEhLj64ELj8ELj100EEvPKT0_PS4_S4_,@function
_Z6kernelI14exclusive_scanILN6hipcub18BlockScanAlgorithmE1EEhLj64ELj8ELj100EEvPKT0_PS4_S4_: ; @_Z6kernelI14exclusive_scanILN6hipcub18BlockScanAlgorithmE1EEhLj64ELj8ELj100EEvPKT0_PS4_S4_
; %bb.0:
	s_clause 0x2
	s_load_b32 s2, s[0:1], 0x24
	s_load_b128 s[4:7], s[0:1], 0x0
	s_load_b32 s3, s[0:1], 0x10
	v_add_nc_u32_e32 v6, -1, v0
	v_lshrrev_b32_e32 v4, 5, v0
	v_lshrrev_b32_e32 v7, 4, v0
	v_mbcnt_lo_u32_b32 v5, -1, 0
	v_cmp_gt_u32_e32 vcc_lo, 32, v0
	v_lshrrev_b32_e32 v8, 5, v6
	v_add_nc_u32_e32 v4, v4, v0
	v_cmp_eq_u32_e64 s0, 0, v0
	v_cmp_ne_u32_e64 s1, 0, v0
	v_add_nc_u32_e32 v9, -1, v5
	v_add_nc_u32_e32 v6, v8, v6
	v_and_b32_e32 v8, 16, v5
	s_waitcnt lgkmcnt(0)
	s_and_b32 s2, s2, 0xffff
	s_delay_alu instid0(SALU_CYCLE_1) | instskip(NEXT) | instid1(SALU_CYCLE_1)
	s_mul_i32 s15, s15, s2
	v_add_lshl_u32 v3, s15, v0, 3
	v_lshl_add_u32 v0, v0, 1, v7
	v_and_b32_e32 v7, 15, v5
	global_load_b64 v[1:2], v3, s[4:5]
	s_movk_i32 s4, 0x64
	s_branch .LBB129_2
.LBB129_1:                              ;   in Loop: Header=BB129_2 Depth=1
	s_or_b32 exec_lo, exec_lo, s2
	s_delay_alu instid0(VALU_DEP_1) | instskip(SKIP_2) | instid1(SALU_CYCLE_1)
	v_add_nc_u16 v1, v15, v1
	v_and_b32_e32 v17, 0xff, v15
	s_add_i32 s4, s4, -1
	s_cmp_lg_u32 s4, 0
	s_delay_alu instid0(VALU_DEP_2) | instskip(SKIP_1) | instid1(VALU_DEP_2)
	v_add_nc_u16 v16, v1, v10
	v_lshlrev_b16 v10, 8, v1
	v_add_nc_u16 v11, v16, v11
	v_and_b32_e32 v1, 0xff, v16
	s_delay_alu instid0(VALU_DEP_3) | instskip(NEXT) | instid1(VALU_DEP_3)
	v_or_b32_e32 v16, v17, v10
	v_add_nc_u16 v13, v11, v13
	v_lshlrev_b16 v11, 8, v11
	s_delay_alu instid0(VALU_DEP_2) | instskip(SKIP_1) | instid1(VALU_DEP_3)
	v_add_nc_u16 v2, v13, v2
	v_and_b32_e32 v13, 0xff, v13
	v_or_b32_e32 v1, v1, v11
	s_delay_alu instid0(VALU_DEP_3) | instskip(SKIP_1) | instid1(VALU_DEP_3)
	v_add_nc_u16 v14, v2, v14
	v_lshlrev_b16 v2, 8, v2
	v_lshlrev_b32_e32 v11, 16, v1
	s_delay_alu instid0(VALU_DEP_3) | instskip(SKIP_1) | instid1(VALU_DEP_4)
	v_add_nc_u16 v12, v14, v12
	v_and_b32_e32 v14, 0xff, v14
	v_or_b32_e32 v2, v13, v2
	s_delay_alu instid0(VALU_DEP_3) | instskip(NEXT) | instid1(VALU_DEP_1)
	v_lshlrev_b16 v12, 8, v12
	v_or_b32_e32 v13, v14, v12
	v_and_b32_e32 v14, 0xffff, v16
	s_delay_alu instid0(VALU_DEP_4) | instskip(NEXT) | instid1(VALU_DEP_3)
	v_and_b32_e32 v12, 0xffff, v2
	v_lshlrev_b32_e32 v13, 16, v13
	s_delay_alu instid0(VALU_DEP_3) | instskip(NEXT) | instid1(VALU_DEP_2)
	v_or_b32_e32 v1, v14, v11
	v_or_b32_e32 v2, v12, v13
	s_cbranch_scc0 .LBB129_6
.LBB129_2:                              ; =>This Inner Loop Header: Depth=1
	s_waitcnt vmcnt(0)
	s_delay_alu instid0(VALU_DEP_2)
	v_lshrrev_b32_e32 v10, 8, v1
	v_lshrrev_b32_e32 v11, 16, v1
	;; [unrolled: 1-line block ×5, first 2 shown]
	v_add_nc_u16 v12, v10, v1
	s_delay_alu instid0(VALU_DEP_1) | instskip(NEXT) | instid1(VALU_DEP_1)
	v_add_nc_u16 v12, v12, v11
	v_add_nc_u16 v12, v12, v13
	s_delay_alu instid0(VALU_DEP_1) | instskip(SKIP_1) | instid1(VALU_DEP_2)
	v_add_nc_u16 v15, v12, v2
	v_lshrrev_b32_e32 v12, 16, v2
	v_add_nc_u16 v15, v15, v14
	s_delay_alu instid0(VALU_DEP_1) | instskip(NEXT) | instid1(VALU_DEP_1)
	v_add_nc_u16 v15, v15, v12
	v_add_nc_u16 v15, v15, v16
	ds_store_b8 v4, v15
	s_waitcnt lgkmcnt(0)
	s_barrier
	buffer_gl0_inv
	s_and_saveexec_b32 s5, vcc_lo
	s_cbranch_execz .LBB129_4
; %bb.3:                                ;   in Loop: Header=BB129_2 Depth=1
	ds_load_u8 v16, v0
	ds_load_u8 v17, v0 offset:1
	v_cmp_ne_u32_e64 s2, 0, v7
	s_waitcnt lgkmcnt(0)
	v_add_nc_u16 v18, v17, v16
	s_delay_alu instid0(VALU_DEP_1) | instskip(NEXT) | instid1(VALU_DEP_1)
	v_and_b32_e32 v19, 0xff, v18
	v_mov_b32_dpp v19, v19 row_shr:1 row_mask:0xf bank_mask:0xf
	s_delay_alu instid0(VALU_DEP_1) | instskip(SKIP_1) | instid1(VALU_DEP_2)
	v_cndmask_b32_e64 v19, 0, v19, s2
	v_cmp_lt_u32_e64 s2, 1, v7
	v_add_nc_u16 v18, v19, v18
	s_delay_alu instid0(VALU_DEP_1) | instskip(NEXT) | instid1(VALU_DEP_1)
	v_and_b32_e32 v19, 0xff, v18
	v_mov_b32_dpp v19, v19 row_shr:2 row_mask:0xf bank_mask:0xf
	s_delay_alu instid0(VALU_DEP_1) | instskip(SKIP_1) | instid1(VALU_DEP_2)
	v_cndmask_b32_e64 v19, 0, v19, s2
	v_cmp_lt_u32_e64 s2, 3, v7
	;; [unrolled: 7-line block ×3, first 2 shown]
	v_add_nc_u16 v18, v18, v19
	s_delay_alu instid0(VALU_DEP_1) | instskip(NEXT) | instid1(VALU_DEP_1)
	v_and_b32_e32 v19, 0xff, v18
	v_mov_b32_dpp v19, v19 row_shr:8 row_mask:0xf bank_mask:0xf
	s_delay_alu instid0(VALU_DEP_1) | instskip(SKIP_1) | instid1(VALU_DEP_2)
	v_cndmask_b32_e64 v19, 0, v19, s2
	v_cmp_ne_u32_e64 s2, 0, v8
	v_add_nc_u16 v18, v18, v19
	s_delay_alu instid0(VALU_DEP_1) | instskip(SKIP_4) | instid1(VALU_DEP_2)
	v_and_b32_e32 v19, 0xff, v18
	ds_swizzle_b32 v19, v19 offset:swizzle(BROADCAST,32,15)
	s_waitcnt lgkmcnt(0)
	v_cndmask_b32_e64 v19, 0, v19, s2
	v_cmp_gt_i32_e64 s2, 0, v9
	v_add_nc_u16 v18, v18, v19
	s_delay_alu instid0(VALU_DEP_2) | instskip(NEXT) | instid1(VALU_DEP_2)
	v_cndmask_b32_e64 v19, v9, v5, s2
	v_and_b32_e32 v18, 0xff, v18
	s_delay_alu instid0(VALU_DEP_2) | instskip(SKIP_3) | instid1(VALU_DEP_1)
	v_lshlrev_b32_e32 v19, 2, v19
	ds_bpermute_b32 v18, v19, v18
	s_waitcnt lgkmcnt(0)
	v_add_nc_u16 v16, v16, v18
	v_cndmask_b32_e64 v15, v16, v15, s0
	s_delay_alu instid0(VALU_DEP_1)
	v_add_nc_u16 v16, v15, v17
	ds_store_b8 v0, v15
	ds_store_b8 v0, v16 offset:1
.LBB129_4:                              ;   in Loop: Header=BB129_2 Depth=1
	s_or_b32 exec_lo, exec_lo, s5
	v_mov_b32_e32 v15, s3
	s_waitcnt lgkmcnt(0)
	s_barrier
	buffer_gl0_inv
	s_and_saveexec_b32 s2, s1
	s_cbranch_execz .LBB129_1
; %bb.5:                                ;   in Loop: Header=BB129_2 Depth=1
	ds_load_u8 v15, v6
	s_waitcnt lgkmcnt(0)
	v_add_nc_u16 v15, v15, s3
	s_branch .LBB129_1
.LBB129_6:
	v_and_b32_e32 v0, 0xff, v15
	s_delay_alu instid0(VALU_DEP_1) | instskip(NEXT) | instid1(VALU_DEP_1)
	v_or_b32_e32 v0, v0, v10
	v_and_b32_e32 v2, 0xffff, v0
	v_add_co_u32 v0, s0, s6, v3
	s_delay_alu instid0(VALU_DEP_1) | instskip(SKIP_1) | instid1(VALU_DEP_4)
	v_add_co_ci_u32_e64 v1, null, s7, 0, s0
	v_or_b32_e32 v3, v12, v13
	v_or_b32_e32 v2, v2, v11
	global_store_b64 v[0:1], v[2:3], off
	s_nop 0
	s_sendmsg sendmsg(MSG_DEALLOC_VGPRS)
	s_endpgm
	.section	.rodata,"a",@progbits
	.p2align	6, 0x0
	.amdhsa_kernel _Z6kernelI14exclusive_scanILN6hipcub18BlockScanAlgorithmE1EEhLj64ELj8ELj100EEvPKT0_PS4_S4_
		.amdhsa_group_segment_fixed_size 66
		.amdhsa_private_segment_fixed_size 0
		.amdhsa_kernarg_size 280
		.amdhsa_user_sgpr_count 15
		.amdhsa_user_sgpr_dispatch_ptr 0
		.amdhsa_user_sgpr_queue_ptr 0
		.amdhsa_user_sgpr_kernarg_segment_ptr 1
		.amdhsa_user_sgpr_dispatch_id 0
		.amdhsa_user_sgpr_private_segment_size 0
		.amdhsa_wavefront_size32 1
		.amdhsa_uses_dynamic_stack 0
		.amdhsa_enable_private_segment 0
		.amdhsa_system_sgpr_workgroup_id_x 1
		.amdhsa_system_sgpr_workgroup_id_y 0
		.amdhsa_system_sgpr_workgroup_id_z 0
		.amdhsa_system_sgpr_workgroup_info 0
		.amdhsa_system_vgpr_workitem_id 0
		.amdhsa_next_free_vgpr 20
		.amdhsa_next_free_sgpr 16
		.amdhsa_reserve_vcc 1
		.amdhsa_float_round_mode_32 0
		.amdhsa_float_round_mode_16_64 0
		.amdhsa_float_denorm_mode_32 3
		.amdhsa_float_denorm_mode_16_64 3
		.amdhsa_dx10_clamp 1
		.amdhsa_ieee_mode 1
		.amdhsa_fp16_overflow 0
		.amdhsa_workgroup_processor_mode 1
		.amdhsa_memory_ordered 1
		.amdhsa_forward_progress 0
		.amdhsa_shared_vgpr_count 0
		.amdhsa_exception_fp_ieee_invalid_op 0
		.amdhsa_exception_fp_denorm_src 0
		.amdhsa_exception_fp_ieee_div_zero 0
		.amdhsa_exception_fp_ieee_overflow 0
		.amdhsa_exception_fp_ieee_underflow 0
		.amdhsa_exception_fp_ieee_inexact 0
		.amdhsa_exception_int_div_zero 0
	.end_amdhsa_kernel
	.section	.text._Z6kernelI14exclusive_scanILN6hipcub18BlockScanAlgorithmE1EEhLj64ELj8ELj100EEvPKT0_PS4_S4_,"axG",@progbits,_Z6kernelI14exclusive_scanILN6hipcub18BlockScanAlgorithmE1EEhLj64ELj8ELj100EEvPKT0_PS4_S4_,comdat
.Lfunc_end129:
	.size	_Z6kernelI14exclusive_scanILN6hipcub18BlockScanAlgorithmE1EEhLj64ELj8ELj100EEvPKT0_PS4_S4_, .Lfunc_end129-_Z6kernelI14exclusive_scanILN6hipcub18BlockScanAlgorithmE1EEhLj64ELj8ELj100EEvPKT0_PS4_S4_
                                        ; -- End function
	.section	.AMDGPU.csdata,"",@progbits
; Kernel info:
; codeLenInByte = 984
; NumSgprs: 18
; NumVgprs: 20
; ScratchSize: 0
; MemoryBound: 0
; FloatMode: 240
; IeeeMode: 1
; LDSByteSize: 66 bytes/workgroup (compile time only)
; SGPRBlocks: 2
; VGPRBlocks: 2
; NumSGPRsForWavesPerEU: 18
; NumVGPRsForWavesPerEU: 20
; Occupancy: 16
; WaveLimiterHint : 0
; COMPUTE_PGM_RSRC2:SCRATCH_EN: 0
; COMPUTE_PGM_RSRC2:USER_SGPR: 15
; COMPUTE_PGM_RSRC2:TRAP_HANDLER: 0
; COMPUTE_PGM_RSRC2:TGID_X_EN: 1
; COMPUTE_PGM_RSRC2:TGID_Y_EN: 0
; COMPUTE_PGM_RSRC2:TGID_Z_EN: 0
; COMPUTE_PGM_RSRC2:TIDIG_COMP_CNT: 0
	.section	.text._Z6kernelI14exclusive_scanILN6hipcub18BlockScanAlgorithmE1EEhLj64ELj11ELj100EEvPKT0_PS4_S4_,"axG",@progbits,_Z6kernelI14exclusive_scanILN6hipcub18BlockScanAlgorithmE1EEhLj64ELj11ELj100EEvPKT0_PS4_S4_,comdat
	.protected	_Z6kernelI14exclusive_scanILN6hipcub18BlockScanAlgorithmE1EEhLj64ELj11ELj100EEvPKT0_PS4_S4_ ; -- Begin function _Z6kernelI14exclusive_scanILN6hipcub18BlockScanAlgorithmE1EEhLj64ELj11ELj100EEvPKT0_PS4_S4_
	.globl	_Z6kernelI14exclusive_scanILN6hipcub18BlockScanAlgorithmE1EEhLj64ELj11ELj100EEvPKT0_PS4_S4_
	.p2align	8
	.type	_Z6kernelI14exclusive_scanILN6hipcub18BlockScanAlgorithmE1EEhLj64ELj11ELj100EEvPKT0_PS4_S4_,@function
_Z6kernelI14exclusive_scanILN6hipcub18BlockScanAlgorithmE1EEhLj64ELj11ELj100EEvPKT0_PS4_S4_: ; @_Z6kernelI14exclusive_scanILN6hipcub18BlockScanAlgorithmE1EEhLj64ELj11ELj100EEvPKT0_PS4_S4_
; %bb.0:
	s_clause 0x2
	s_load_b32 s2, s[0:1], 0x24
	s_load_b32 s3, s[0:1], 0x10
	s_load_b128 s[4:7], s[0:1], 0x0
	v_add_nc_u32_e32 v27, -1, v0
	v_mbcnt_lo_u32_b32 v14, -1, 0
	v_lshrrev_b32_e32 v25, 5, v0
	v_lshrrev_b32_e32 v26, 4, v0
	v_cmp_gt_u32_e32 vcc_lo, 32, v0
	v_cmp_eq_u32_e64 s0, 0, v0
	v_cmp_ne_u32_e64 s1, 0, v0
	v_and_b32_e32 v15, 15, v14
	s_waitcnt lgkmcnt(0)
	s_and_b32 s2, s2, 0xffff
	s_delay_alu instid0(SALU_CYCLE_1) | instskip(NEXT) | instid1(VALU_DEP_1)
	v_mad_u64_u32 v[1:2], null, s15, s2, v[0:1]
	v_mul_lo_u32 v11, v1, 11
	s_delay_alu instid0(VALU_DEP_1)
	v_add_nc_u32_e32 v10, 1, v11
	v_add_nc_u32_e32 v8, 3, v11
	;; [unrolled: 1-line block ×7, first 2 shown]
	s_clause 0x7
	global_load_u8 v16, v10, s[4:5]
	global_load_u8 v18, v8, s[4:5]
	;; [unrolled: 1-line block ×8, first 2 shown]
	v_add_nc_u32_e32 v5, 8, v11
	v_add_nc_u32_e32 v3, 9, v11
	;; [unrolled: 1-line block ×3, first 2 shown]
	s_clause 0x2
	global_load_u8 v13, v5, s[4:5]
	global_load_u8 v12, v3, s[4:5]
	;; [unrolled: 1-line block ×3, first 2 shown]
	s_movk_i32 s4, 0x64
	s_waitcnt vmcnt(10)
	v_lshlrev_b16 v28, 8, v16
	s_waitcnt vmcnt(9)
	v_lshlrev_b16 v18, 8, v18
	;; [unrolled: 2-line block ×4, first 2 shown]
	v_and_b32_e32 v16, 16, v14
	s_waitcnt vmcnt(6)
	v_or_b32_e32 v21, v21, v28
	s_waitcnt vmcnt(5)
	v_or_b32_e32 v18, v22, v18
	;; [unrolled: 2-line block ×4, first 2 shown]
	v_lshrrev_b32_e32 v22, 5, v27
	v_and_b32_e32 v21, 0xffff, v21
	v_lshlrev_b32_e32 v23, 16, v18
	v_and_b32_e32 v24, 0xffff, v19
	v_lshlrev_b32_e32 v20, 16, v20
	v_add_nc_u32_e32 v18, v25, v0
	v_lshl_add_u32 v0, v0, 1, v26
	v_add_nc_u32_e32 v19, v22, v27
	v_or_b32_e32 v22, v21, v23
	v_or_b32_e32 v21, v24, v20
	v_add_nc_u32_e32 v20, -1, v14
.LBB130_1:                              ; =>This Inner Loop Header: Depth=1
	s_delay_alu instid0(VALU_DEP_3)
	v_lshrrev_b32_e32 v27, 8, v22
	v_lshrrev_b32_e32 v28, 16, v22
	;; [unrolled: 1-line block ×5, first 2 shown]
	v_add_nc_u16 v23, v27, v22
	v_lshrrev_b32_e32 v24, 24, v21
	s_delay_alu instid0(VALU_DEP_2) | instskip(NEXT) | instid1(VALU_DEP_1)
	v_add_nc_u16 v23, v23, v28
	v_add_nc_u16 v23, v23, v29
	s_delay_alu instid0(VALU_DEP_1) | instskip(NEXT) | instid1(VALU_DEP_1)
	v_add_nc_u16 v23, v23, v21
	v_add_nc_u16 v23, v23, v31
	s_delay_alu instid0(VALU_DEP_1) | instskip(NEXT) | instid1(VALU_DEP_1)
	v_add_nc_u16 v23, v23, v25
	v_add_nc_u16 v23, v23, v24
	s_waitcnt vmcnt(2)
	s_delay_alu instid0(VALU_DEP_1) | instskip(SKIP_1) | instid1(VALU_DEP_1)
	v_add_nc_u16 v23, v23, v13
	s_waitcnt vmcnt(1)
	v_add_nc_u16 v23, v23, v12
	s_waitcnt vmcnt(0)
	s_delay_alu instid0(VALU_DEP_1)
	v_add_nc_u16 v17, v23, v17
	ds_store_b8 v18, v17
	s_waitcnt lgkmcnt(0)
	s_barrier
	buffer_gl0_inv
	s_and_saveexec_b32 s5, vcc_lo
	s_cbranch_execz .LBB130_3
; %bb.2:                                ;   in Loop: Header=BB130_1 Depth=1
	ds_load_u8 v23, v0
	ds_load_u8 v26, v0 offset:1
	v_cmp_ne_u32_e64 s2, 0, v15
	s_waitcnt lgkmcnt(0)
	v_add_nc_u16 v30, v26, v23
	s_delay_alu instid0(VALU_DEP_1) | instskip(NEXT) | instid1(VALU_DEP_1)
	v_and_b32_e32 v32, 0xff, v30
	v_mov_b32_dpp v32, v32 row_shr:1 row_mask:0xf bank_mask:0xf
	s_delay_alu instid0(VALU_DEP_1) | instskip(SKIP_1) | instid1(VALU_DEP_2)
	v_cndmask_b32_e64 v32, 0, v32, s2
	v_cmp_lt_u32_e64 s2, 1, v15
	v_add_nc_u16 v30, v32, v30
	s_delay_alu instid0(VALU_DEP_1) | instskip(NEXT) | instid1(VALU_DEP_1)
	v_and_b32_e32 v32, 0xff, v30
	v_mov_b32_dpp v32, v32 row_shr:2 row_mask:0xf bank_mask:0xf
	s_delay_alu instid0(VALU_DEP_1) | instskip(SKIP_1) | instid1(VALU_DEP_2)
	v_cndmask_b32_e64 v32, 0, v32, s2
	v_cmp_lt_u32_e64 s2, 3, v15
	;; [unrolled: 7-line block ×3, first 2 shown]
	v_add_nc_u16 v30, v30, v32
	s_delay_alu instid0(VALU_DEP_1) | instskip(NEXT) | instid1(VALU_DEP_1)
	v_and_b32_e32 v32, 0xff, v30
	v_mov_b32_dpp v32, v32 row_shr:8 row_mask:0xf bank_mask:0xf
	s_delay_alu instid0(VALU_DEP_1) | instskip(SKIP_1) | instid1(VALU_DEP_2)
	v_cndmask_b32_e64 v32, 0, v32, s2
	v_cmp_ne_u32_e64 s2, 0, v16
	v_add_nc_u16 v30, v30, v32
	s_delay_alu instid0(VALU_DEP_1) | instskip(SKIP_4) | instid1(VALU_DEP_2)
	v_and_b32_e32 v32, 0xff, v30
	ds_swizzle_b32 v32, v32 offset:swizzle(BROADCAST,32,15)
	s_waitcnt lgkmcnt(0)
	v_cndmask_b32_e64 v32, 0, v32, s2
	v_cmp_gt_i32_e64 s2, 0, v20
	v_add_nc_u16 v30, v30, v32
	s_delay_alu instid0(VALU_DEP_2) | instskip(NEXT) | instid1(VALU_DEP_2)
	v_cndmask_b32_e64 v32, v20, v14, s2
	v_and_b32_e32 v30, 0xff, v30
	s_delay_alu instid0(VALU_DEP_2) | instskip(SKIP_3) | instid1(VALU_DEP_1)
	v_lshlrev_b32_e32 v32, 2, v32
	ds_bpermute_b32 v30, v32, v30
	s_waitcnt lgkmcnt(0)
	v_add_nc_u16 v23, v23, v30
	v_cndmask_b32_e64 v17, v23, v17, s0
	s_delay_alu instid0(VALU_DEP_1)
	v_add_nc_u16 v23, v17, v26
	ds_store_b8 v0, v17
	ds_store_b8 v0, v23 offset:1
.LBB130_3:                              ;   in Loop: Header=BB130_1 Depth=1
	s_or_b32 exec_lo, exec_lo, s5
	v_mov_b32_e32 v23, s3
	s_waitcnt lgkmcnt(0)
	s_barrier
	buffer_gl0_inv
	s_and_saveexec_b32 s2, s1
	s_cbranch_execz .LBB130_5
; %bb.4:                                ;   in Loop: Header=BB130_1 Depth=1
	ds_load_u8 v17, v19
	s_waitcnt lgkmcnt(0)
	v_add_nc_u16 v23, v17, s3
.LBB130_5:                              ;   in Loop: Header=BB130_1 Depth=1
	s_or_b32 exec_lo, exec_lo, s2
	s_delay_alu instid0(VALU_DEP_1) | instskip(SKIP_2) | instid1(SALU_CYCLE_1)
	v_add_nc_u16 v26, v23, v22
	v_and_b32_e32 v17, 0xff, v23
	s_add_i32 s4, s4, -1
	s_cmp_lg_u32 s4, 0
	s_delay_alu instid0(VALU_DEP_2) | instskip(NEXT) | instid1(VALU_DEP_1)
	v_add_nc_u16 v27, v26, v27
	v_add_nc_u16 v28, v27, v28
	v_and_b32_e32 v22, 0xff, v27
	s_delay_alu instid0(VALU_DEP_2) | instskip(SKIP_1) | instid1(VALU_DEP_2)
	v_add_nc_u16 v29, v28, v29
	v_lshlrev_b16 v32, 8, v28
	v_add_nc_u16 v30, v29, v21
	v_lshlrev_b16 v21, 8, v26
	v_and_b32_e32 v33, 0xff, v29
	s_delay_alu instid0(VALU_DEP_3) | instskip(SKIP_1) | instid1(VALU_DEP_4)
	v_add_nc_u16 v31, v30, v31
	v_lshlrev_b16 v34, 8, v30
	v_or_b32_e32 v17, v17, v21
	v_or_b32_e32 v21, v22, v32
	s_delay_alu instid0(VALU_DEP_4)
	v_add_nc_u16 v25, v31, v25
	v_and_b32_e32 v35, 0xff, v31
	v_or_b32_e32 v22, v33, v34
	v_and_b32_e32 v17, 0xffff, v17
	v_lshlrev_b32_e32 v21, 16, v21
	v_lshlrev_b16 v36, 8, v25
	v_add_nc_u16 v24, v25, v24
	v_and_b32_e32 v34, 0xffff, v22
	s_delay_alu instid0(VALU_DEP_4) | instskip(NEXT) | instid1(VALU_DEP_4)
	v_or_b32_e32 v22, v17, v21
	v_or_b32_e32 v33, v35, v36
	s_delay_alu instid0(VALU_DEP_4) | instskip(NEXT) | instid1(VALU_DEP_2)
	v_add_nc_u16 v32, v24, v13
	v_lshlrev_b32_e32 v13, 16, v33
	s_delay_alu instid0(VALU_DEP_2) | instskip(NEXT) | instid1(VALU_DEP_2)
	v_add_nc_u16 v17, v32, v12
	v_or_b32_e32 v21, v34, v13
	s_cbranch_scc0 .LBB130_7
; %bb.6:                                ;   in Loop: Header=BB130_1 Depth=1
	v_mov_b32_e32 v13, v24
	v_mov_b32_e32 v12, v32
	s_branch .LBB130_1
.LBB130_7:
	v_add_co_u32 v11, s0, s6, v11
	s_delay_alu instid0(VALU_DEP_1) | instskip(SKIP_1) | instid1(VALU_DEP_1)
	v_add_co_ci_u32_e64 v12, null, s7, 0, s0
	v_add_co_u32 v13, s0, s6, v10
	v_add_co_ci_u32_e64 v14, null, s7, 0, s0
	v_add_co_u32 v9, s0, s6, v9
	s_delay_alu instid0(VALU_DEP_1) | instskip(SKIP_1) | instid1(VALU_DEP_1)
	v_add_co_ci_u32_e64 v10, null, s7, 0, s0
	v_add_co_u32 v15, s0, s6, v8
	v_add_co_ci_u32_e64 v16, null, s7, 0, s0
	;; [unrolled: 5-line block ×5, first 2 shown]
	v_add_co_u32 v2, s0, s6, v2
	s_delay_alu instid0(VALU_DEP_1)
	v_add_co_ci_u32_e64 v3, null, s7, 0, s0
	s_clause 0xa
	global_store_b8 v[11:12], v23, off
	global_store_b8 v[13:14], v26, off
	;; [unrolled: 1-line block ×11, first 2 shown]
	s_nop 0
	s_sendmsg sendmsg(MSG_DEALLOC_VGPRS)
	s_endpgm
	.section	.rodata,"a",@progbits
	.p2align	6, 0x0
	.amdhsa_kernel _Z6kernelI14exclusive_scanILN6hipcub18BlockScanAlgorithmE1EEhLj64ELj11ELj100EEvPKT0_PS4_S4_
		.amdhsa_group_segment_fixed_size 66
		.amdhsa_private_segment_fixed_size 0
		.amdhsa_kernarg_size 280
		.amdhsa_user_sgpr_count 15
		.amdhsa_user_sgpr_dispatch_ptr 0
		.amdhsa_user_sgpr_queue_ptr 0
		.amdhsa_user_sgpr_kernarg_segment_ptr 1
		.amdhsa_user_sgpr_dispatch_id 0
		.amdhsa_user_sgpr_private_segment_size 0
		.amdhsa_wavefront_size32 1
		.amdhsa_uses_dynamic_stack 0
		.amdhsa_enable_private_segment 0
		.amdhsa_system_sgpr_workgroup_id_x 1
		.amdhsa_system_sgpr_workgroup_id_y 0
		.amdhsa_system_sgpr_workgroup_id_z 0
		.amdhsa_system_sgpr_workgroup_info 0
		.amdhsa_system_vgpr_workitem_id 0
		.amdhsa_next_free_vgpr 37
		.amdhsa_next_free_sgpr 16
		.amdhsa_reserve_vcc 1
		.amdhsa_float_round_mode_32 0
		.amdhsa_float_round_mode_16_64 0
		.amdhsa_float_denorm_mode_32 3
		.amdhsa_float_denorm_mode_16_64 3
		.amdhsa_dx10_clamp 1
		.amdhsa_ieee_mode 1
		.amdhsa_fp16_overflow 0
		.amdhsa_workgroup_processor_mode 1
		.amdhsa_memory_ordered 1
		.amdhsa_forward_progress 0
		.amdhsa_shared_vgpr_count 0
		.amdhsa_exception_fp_ieee_invalid_op 0
		.amdhsa_exception_fp_denorm_src 0
		.amdhsa_exception_fp_ieee_div_zero 0
		.amdhsa_exception_fp_ieee_overflow 0
		.amdhsa_exception_fp_ieee_underflow 0
		.amdhsa_exception_fp_ieee_inexact 0
		.amdhsa_exception_int_div_zero 0
	.end_amdhsa_kernel
	.section	.text._Z6kernelI14exclusive_scanILN6hipcub18BlockScanAlgorithmE1EEhLj64ELj11ELj100EEvPKT0_PS4_S4_,"axG",@progbits,_Z6kernelI14exclusive_scanILN6hipcub18BlockScanAlgorithmE1EEhLj64ELj11ELj100EEvPKT0_PS4_S4_,comdat
.Lfunc_end130:
	.size	_Z6kernelI14exclusive_scanILN6hipcub18BlockScanAlgorithmE1EEhLj64ELj11ELj100EEvPKT0_PS4_S4_, .Lfunc_end130-_Z6kernelI14exclusive_scanILN6hipcub18BlockScanAlgorithmE1EEhLj64ELj11ELj100EEvPKT0_PS4_S4_
                                        ; -- End function
	.section	.AMDGPU.csdata,"",@progbits
; Kernel info:
; codeLenInByte = 1528
; NumSgprs: 18
; NumVgprs: 37
; ScratchSize: 0
; MemoryBound: 0
; FloatMode: 240
; IeeeMode: 1
; LDSByteSize: 66 bytes/workgroup (compile time only)
; SGPRBlocks: 2
; VGPRBlocks: 4
; NumSGPRsForWavesPerEU: 18
; NumVGPRsForWavesPerEU: 37
; Occupancy: 16
; WaveLimiterHint : 0
; COMPUTE_PGM_RSRC2:SCRATCH_EN: 0
; COMPUTE_PGM_RSRC2:USER_SGPR: 15
; COMPUTE_PGM_RSRC2:TRAP_HANDLER: 0
; COMPUTE_PGM_RSRC2:TGID_X_EN: 1
; COMPUTE_PGM_RSRC2:TGID_Y_EN: 0
; COMPUTE_PGM_RSRC2:TGID_Z_EN: 0
; COMPUTE_PGM_RSRC2:TIDIG_COMP_CNT: 0
	.section	.text._Z6kernelI14exclusive_scanILN6hipcub18BlockScanAlgorithmE1EEhLj64ELj16ELj100EEvPKT0_PS4_S4_,"axG",@progbits,_Z6kernelI14exclusive_scanILN6hipcub18BlockScanAlgorithmE1EEhLj64ELj16ELj100EEvPKT0_PS4_S4_,comdat
	.protected	_Z6kernelI14exclusive_scanILN6hipcub18BlockScanAlgorithmE1EEhLj64ELj16ELj100EEvPKT0_PS4_S4_ ; -- Begin function _Z6kernelI14exclusive_scanILN6hipcub18BlockScanAlgorithmE1EEhLj64ELj16ELj100EEvPKT0_PS4_S4_
	.globl	_Z6kernelI14exclusive_scanILN6hipcub18BlockScanAlgorithmE1EEhLj64ELj16ELj100EEvPKT0_PS4_S4_
	.p2align	8
	.type	_Z6kernelI14exclusive_scanILN6hipcub18BlockScanAlgorithmE1EEhLj64ELj16ELj100EEvPKT0_PS4_S4_,@function
_Z6kernelI14exclusive_scanILN6hipcub18BlockScanAlgorithmE1EEhLj64ELj16ELj100EEvPKT0_PS4_S4_: ; @_Z6kernelI14exclusive_scanILN6hipcub18BlockScanAlgorithmE1EEhLj64ELj16ELj100EEvPKT0_PS4_S4_
; %bb.0:
	s_clause 0x2
	s_load_b32 s2, s[0:1], 0x24
	s_load_b128 s[4:7], s[0:1], 0x0
	s_load_b32 s3, s[0:1], 0x10
	v_add_nc_u32_e32 v8, -1, v0
	v_lshrrev_b32_e32 v6, 5, v0
	v_lshrrev_b32_e32 v9, 4, v0
	v_mbcnt_lo_u32_b32 v7, -1, 0
	v_cmp_gt_u32_e32 vcc_lo, 32, v0
	v_lshrrev_b32_e32 v10, 5, v8
	v_add_nc_u32_e32 v6, v6, v0
	v_cmp_eq_u32_e64 s0, 0, v0
	v_cmp_ne_u32_e64 s1, 0, v0
	v_add_nc_u32_e32 v11, -1, v7
	v_add_nc_u32_e32 v8, v10, v8
	v_and_b32_e32 v10, 16, v7
	s_waitcnt lgkmcnt(0)
	s_and_b32 s2, s2, 0xffff
	s_delay_alu instid0(SALU_CYCLE_1) | instskip(NEXT) | instid1(SALU_CYCLE_1)
	s_mul_i32 s15, s15, s2
	v_add_lshl_u32 v5, s15, v0, 4
	v_lshl_add_u32 v0, v0, 1, v9
	v_and_b32_e32 v9, 15, v7
	global_load_b128 v[1:4], v5, s[4:5]
	s_movk_i32 s4, 0x64
	s_branch .LBB131_2
.LBB131_1:                              ;   in Loop: Header=BB131_2 Depth=1
	s_or_b32 exec_lo, exec_lo, s2
	s_delay_alu instid0(VALU_DEP_1) | instskip(SKIP_2) | instid1(SALU_CYCLE_1)
	v_add_nc_u16 v1, v20, v1
	v_and_b32_e32 v25, 0xff, v20
	s_add_i32 s4, s4, -1
	s_cmp_lg_u32 s4, 0
	s_delay_alu instid0(VALU_DEP_2) | instskip(SKIP_1) | instid1(VALU_DEP_2)
	v_add_nc_u16 v24, v1, v15
	v_lshlrev_b16 v15, 8, v1
	v_add_nc_u16 v16, v24, v16
	s_delay_alu instid0(VALU_DEP_1) | instskip(SKIP_1) | instid1(VALU_DEP_2)
	v_add_nc_u16 v17, v16, v17
	v_lshlrev_b16 v16, 8, v16
	v_add_nc_u16 v2, v17, v2
	v_and_b32_e32 v17, 0xff, v17
	s_delay_alu instid0(VALU_DEP_2) | instskip(SKIP_1) | instid1(VALU_DEP_2)
	v_add_nc_u16 v18, v2, v18
	v_lshlrev_b16 v2, 8, v2
	v_add_nc_u16 v21, v18, v21
	s_delay_alu instid0(VALU_DEP_2) | instskip(SKIP_1) | instid1(VALU_DEP_3)
	v_or_b32_e32 v2, v17, v2
	v_and_b32_e32 v17, 0xff, v18
	v_add_nc_u16 v22, v21, v22
	s_delay_alu instid0(VALU_DEP_1) | instskip(SKIP_1) | instid1(VALU_DEP_2)
	v_add_nc_u16 v3, v22, v3
	v_and_b32_e32 v18, 0xff, v22
	v_add_nc_u16 v23, v3, v23
	v_lshlrev_b16 v3, 8, v3
	s_delay_alu instid0(VALU_DEP_2) | instskip(SKIP_1) | instid1(VALU_DEP_3)
	v_add_nc_u16 v1, v23, v19
	v_and_b32_e32 v19, 0xff, v24
	v_or_b32_e32 v3, v18, v3
	s_delay_alu instid0(VALU_DEP_3) | instskip(SKIP_1) | instid1(VALU_DEP_4)
	v_add_nc_u16 v24, v1, v14
	v_or_b32_e32 v14, v25, v15
	v_or_b32_e32 v16, v19, v16
	v_and_b32_e32 v19, 0xff, v23
	v_lshlrev_b16 v1, 8, v1
	v_add_nc_u16 v4, v24, v4
	v_and_b32_e32 v25, 0xffff, v14
	v_lshlrev_b32_e32 v14, 16, v16
	v_and_b32_e32 v16, 0xffff, v2
	v_or_b32_e32 v1, v19, v1
	v_add_nc_u16 v2, v4, v13
	v_lshlrev_b16 v13, 8, v21
	v_and_b32_e32 v21, 0xff, v24
	v_lshlrev_b16 v4, 8, v4
	s_delay_alu instid0(VALU_DEP_4) | instskip(SKIP_2) | instid1(VALU_DEP_4)
	v_add_nc_u16 v12, v2, v12
	v_and_b32_e32 v2, 0xff, v2
	v_or_b32_e32 v13, v17, v13
	v_or_b32_e32 v4, v21, v4
	v_lshlrev_b32_e32 v17, 16, v1
	v_lshlrev_b16 v12, 8, v12
	v_or_b32_e32 v1, v25, v14
	s_delay_alu instid0(VALU_DEP_4) | instskip(NEXT) | instid1(VALU_DEP_3)
	v_and_b32_e32 v18, 0xffff, v4
	v_or_b32_e32 v2, v2, v12
	v_lshlrev_b32_e32 v12, 16, v13
	v_and_b32_e32 v13, 0xffff, v3
	s_delay_alu instid0(VALU_DEP_3) | instskip(NEXT) | instid1(VALU_DEP_3)
	v_lshlrev_b32_e32 v19, 16, v2
	v_or_b32_e32 v2, v16, v12
	s_delay_alu instid0(VALU_DEP_3) | instskip(NEXT) | instid1(VALU_DEP_3)
	v_or_b32_e32 v3, v13, v17
	v_or_b32_e32 v4, v18, v19
	s_cbranch_scc0 .LBB131_6
.LBB131_2:                              ; =>This Inner Loop Header: Depth=1
	s_waitcnt vmcnt(0)
	v_lshrrev_b32_e32 v15, 8, v1
	v_lshrrev_b32_e32 v16, 16, v1
	;; [unrolled: 1-line block ×5, first 2 shown]
	v_add_nc_u16 v12, v15, v1
	v_lshrrev_b32_e32 v22, 24, v2
	v_lshrrev_b32_e32 v23, 8, v3
	;; [unrolled: 1-line block ×4, first 2 shown]
	v_add_nc_u16 v12, v12, v16
	v_lshrrev_b32_e32 v13, 8, v4
	v_lshrrev_b32_e32 v24, 24, v4
	s_delay_alu instid0(VALU_DEP_3) | instskip(NEXT) | instid1(VALU_DEP_1)
	v_add_nc_u16 v12, v12, v17
	v_add_nc_u16 v12, v12, v2
	s_delay_alu instid0(VALU_DEP_1) | instskip(NEXT) | instid1(VALU_DEP_1)
	v_add_nc_u16 v12, v12, v18
	v_add_nc_u16 v12, v12, v21
	s_delay_alu instid0(VALU_DEP_1) | instskip(NEXT) | instid1(VALU_DEP_1)
	;; [unrolled: 3-line block ×4, first 2 shown]
	v_add_nc_u16 v12, v12, v14
	v_add_nc_u16 v20, v12, v4
	v_lshrrev_b32_e32 v12, 16, v4
	s_delay_alu instid0(VALU_DEP_2) | instskip(NEXT) | instid1(VALU_DEP_1)
	v_add_nc_u16 v20, v20, v13
	v_add_nc_u16 v20, v20, v12
	s_delay_alu instid0(VALU_DEP_1)
	v_add_nc_u16 v20, v20, v24
	ds_store_b8 v6, v20
	s_waitcnt lgkmcnt(0)
	s_barrier
	buffer_gl0_inv
	s_and_saveexec_b32 s5, vcc_lo
	s_cbranch_execz .LBB131_4
; %bb.3:                                ;   in Loop: Header=BB131_2 Depth=1
	ds_load_u8 v24, v0
	ds_load_u8 v25, v0 offset:1
	v_cmp_ne_u32_e64 s2, 0, v9
	s_waitcnt lgkmcnt(0)
	v_add_nc_u16 v26, v25, v24
	s_delay_alu instid0(VALU_DEP_1) | instskip(NEXT) | instid1(VALU_DEP_1)
	v_and_b32_e32 v27, 0xff, v26
	v_mov_b32_dpp v27, v27 row_shr:1 row_mask:0xf bank_mask:0xf
	s_delay_alu instid0(VALU_DEP_1) | instskip(SKIP_1) | instid1(VALU_DEP_2)
	v_cndmask_b32_e64 v27, 0, v27, s2
	v_cmp_lt_u32_e64 s2, 1, v9
	v_add_nc_u16 v26, v27, v26
	s_delay_alu instid0(VALU_DEP_1) | instskip(NEXT) | instid1(VALU_DEP_1)
	v_and_b32_e32 v27, 0xff, v26
	v_mov_b32_dpp v27, v27 row_shr:2 row_mask:0xf bank_mask:0xf
	s_delay_alu instid0(VALU_DEP_1) | instskip(SKIP_1) | instid1(VALU_DEP_2)
	v_cndmask_b32_e64 v27, 0, v27, s2
	v_cmp_lt_u32_e64 s2, 3, v9
	;; [unrolled: 7-line block ×3, first 2 shown]
	v_add_nc_u16 v26, v26, v27
	s_delay_alu instid0(VALU_DEP_1) | instskip(NEXT) | instid1(VALU_DEP_1)
	v_and_b32_e32 v27, 0xff, v26
	v_mov_b32_dpp v27, v27 row_shr:8 row_mask:0xf bank_mask:0xf
	s_delay_alu instid0(VALU_DEP_1) | instskip(SKIP_1) | instid1(VALU_DEP_2)
	v_cndmask_b32_e64 v27, 0, v27, s2
	v_cmp_ne_u32_e64 s2, 0, v10
	v_add_nc_u16 v26, v26, v27
	s_delay_alu instid0(VALU_DEP_1) | instskip(SKIP_4) | instid1(VALU_DEP_2)
	v_and_b32_e32 v27, 0xff, v26
	ds_swizzle_b32 v27, v27 offset:swizzle(BROADCAST,32,15)
	s_waitcnt lgkmcnt(0)
	v_cndmask_b32_e64 v27, 0, v27, s2
	v_cmp_gt_i32_e64 s2, 0, v11
	v_add_nc_u16 v26, v26, v27
	s_delay_alu instid0(VALU_DEP_2) | instskip(NEXT) | instid1(VALU_DEP_2)
	v_cndmask_b32_e64 v27, v11, v7, s2
	v_and_b32_e32 v26, 0xff, v26
	s_delay_alu instid0(VALU_DEP_2) | instskip(SKIP_3) | instid1(VALU_DEP_1)
	v_lshlrev_b32_e32 v27, 2, v27
	ds_bpermute_b32 v26, v27, v26
	s_waitcnt lgkmcnt(0)
	v_add_nc_u16 v24, v24, v26
	v_cndmask_b32_e64 v20, v24, v20, s0
	s_delay_alu instid0(VALU_DEP_1)
	v_add_nc_u16 v24, v20, v25
	ds_store_b8 v0, v20
	ds_store_b8 v0, v24 offset:1
.LBB131_4:                              ;   in Loop: Header=BB131_2 Depth=1
	s_or_b32 exec_lo, exec_lo, s5
	v_mov_b32_e32 v20, s3
	s_waitcnt lgkmcnt(0)
	s_barrier
	buffer_gl0_inv
	s_and_saveexec_b32 s2, s1
	s_cbranch_execz .LBB131_1
; %bb.5:                                ;   in Loop: Header=BB131_2 Depth=1
	ds_load_u8 v20, v8
	s_waitcnt lgkmcnt(0)
	v_add_nc_u16 v20, v20, s3
	s_branch .LBB131_1
.LBB131_6:
	v_and_b32_e32 v0, 0xff, v20
	v_add_co_u32 v4, s0, s6, v5
	s_delay_alu instid0(VALU_DEP_1) | instskip(NEXT) | instid1(VALU_DEP_3)
	v_add_co_ci_u32_e64 v5, null, s7, 0, s0
	v_or_b32_e32 v0, v0, v15
	v_or_b32_e32 v3, v18, v19
	;; [unrolled: 1-line block ×4, first 2 shown]
	s_delay_alu instid0(VALU_DEP_4) | instskip(NEXT) | instid1(VALU_DEP_1)
	v_and_b32_e32 v0, 0xffff, v0
	v_or_b32_e32 v0, v0, v14
	global_store_b128 v[4:5], v[0:3], off
	s_nop 0
	s_sendmsg sendmsg(MSG_DEALLOC_VGPRS)
	s_endpgm
	.section	.rodata,"a",@progbits
	.p2align	6, 0x0
	.amdhsa_kernel _Z6kernelI14exclusive_scanILN6hipcub18BlockScanAlgorithmE1EEhLj64ELj16ELj100EEvPKT0_PS4_S4_
		.amdhsa_group_segment_fixed_size 66
		.amdhsa_private_segment_fixed_size 0
		.amdhsa_kernarg_size 280
		.amdhsa_user_sgpr_count 15
		.amdhsa_user_sgpr_dispatch_ptr 0
		.amdhsa_user_sgpr_queue_ptr 0
		.amdhsa_user_sgpr_kernarg_segment_ptr 1
		.amdhsa_user_sgpr_dispatch_id 0
		.amdhsa_user_sgpr_private_segment_size 0
		.amdhsa_wavefront_size32 1
		.amdhsa_uses_dynamic_stack 0
		.amdhsa_enable_private_segment 0
		.amdhsa_system_sgpr_workgroup_id_x 1
		.amdhsa_system_sgpr_workgroup_id_y 0
		.amdhsa_system_sgpr_workgroup_id_z 0
		.amdhsa_system_sgpr_workgroup_info 0
		.amdhsa_system_vgpr_workitem_id 0
		.amdhsa_next_free_vgpr 28
		.amdhsa_next_free_sgpr 16
		.amdhsa_reserve_vcc 1
		.amdhsa_float_round_mode_32 0
		.amdhsa_float_round_mode_16_64 0
		.amdhsa_float_denorm_mode_32 3
		.amdhsa_float_denorm_mode_16_64 3
		.amdhsa_dx10_clamp 1
		.amdhsa_ieee_mode 1
		.amdhsa_fp16_overflow 0
		.amdhsa_workgroup_processor_mode 1
		.amdhsa_memory_ordered 1
		.amdhsa_forward_progress 0
		.amdhsa_shared_vgpr_count 0
		.amdhsa_exception_fp_ieee_invalid_op 0
		.amdhsa_exception_fp_denorm_src 0
		.amdhsa_exception_fp_ieee_div_zero 0
		.amdhsa_exception_fp_ieee_overflow 0
		.amdhsa_exception_fp_ieee_underflow 0
		.amdhsa_exception_fp_ieee_inexact 0
		.amdhsa_exception_int_div_zero 0
	.end_amdhsa_kernel
	.section	.text._Z6kernelI14exclusive_scanILN6hipcub18BlockScanAlgorithmE1EEhLj64ELj16ELj100EEvPKT0_PS4_S4_,"axG",@progbits,_Z6kernelI14exclusive_scanILN6hipcub18BlockScanAlgorithmE1EEhLj64ELj16ELj100EEvPKT0_PS4_S4_,comdat
.Lfunc_end131:
	.size	_Z6kernelI14exclusive_scanILN6hipcub18BlockScanAlgorithmE1EEhLj64ELj16ELj100EEvPKT0_PS4_S4_, .Lfunc_end131-_Z6kernelI14exclusive_scanILN6hipcub18BlockScanAlgorithmE1EEhLj64ELj16ELj100EEvPKT0_PS4_S4_
                                        ; -- End function
	.section	.AMDGPU.csdata,"",@progbits
; Kernel info:
; codeLenInByte = 1280
; NumSgprs: 18
; NumVgprs: 28
; ScratchSize: 0
; MemoryBound: 0
; FloatMode: 240
; IeeeMode: 1
; LDSByteSize: 66 bytes/workgroup (compile time only)
; SGPRBlocks: 2
; VGPRBlocks: 3
; NumSGPRsForWavesPerEU: 18
; NumVGPRsForWavesPerEU: 28
; Occupancy: 16
; WaveLimiterHint : 0
; COMPUTE_PGM_RSRC2:SCRATCH_EN: 0
; COMPUTE_PGM_RSRC2:USER_SGPR: 15
; COMPUTE_PGM_RSRC2:TRAP_HANDLER: 0
; COMPUTE_PGM_RSRC2:TGID_X_EN: 1
; COMPUTE_PGM_RSRC2:TGID_Y_EN: 0
; COMPUTE_PGM_RSRC2:TGID_Z_EN: 0
; COMPUTE_PGM_RSRC2:TIDIG_COMP_CNT: 0
	.section	.text._Z6kernelI14exclusive_scanILN6hipcub18BlockScanAlgorithmE1EEiLj256ELj1ELj100EEvPKT0_PS4_S4_,"axG",@progbits,_Z6kernelI14exclusive_scanILN6hipcub18BlockScanAlgorithmE1EEiLj256ELj1ELj100EEvPKT0_PS4_S4_,comdat
	.protected	_Z6kernelI14exclusive_scanILN6hipcub18BlockScanAlgorithmE1EEiLj256ELj1ELj100EEvPKT0_PS4_S4_ ; -- Begin function _Z6kernelI14exclusive_scanILN6hipcub18BlockScanAlgorithmE1EEiLj256ELj1ELj100EEvPKT0_PS4_S4_
	.globl	_Z6kernelI14exclusive_scanILN6hipcub18BlockScanAlgorithmE1EEiLj256ELj1ELj100EEvPKT0_PS4_S4_
	.p2align	8
	.type	_Z6kernelI14exclusive_scanILN6hipcub18BlockScanAlgorithmE1EEiLj256ELj1ELj100EEvPKT0_PS4_S4_,@function
_Z6kernelI14exclusive_scanILN6hipcub18BlockScanAlgorithmE1EEiLj256ELj1ELj100EEvPKT0_PS4_S4_: ; @_Z6kernelI14exclusive_scanILN6hipcub18BlockScanAlgorithmE1EEiLj256ELj1ELj100EEvPKT0_PS4_S4_
; %bb.0:
	s_clause 0x2
	s_load_b32 s2, s[0:1], 0x24
	s_load_b128 s[4:7], s[0:1], 0x0
	s_load_b32 s3, s[0:1], 0x10
	v_add_nc_u32_e32 v6, -1, v0
	v_lshrrev_b32_e32 v8, 2, v0
	v_cmp_eq_u32_e64 s0, 0, v0
	v_cmp_ne_u32_e64 s1, 0, v0
	v_lshlrev_b32_e32 v7, 3, v0
	v_lshrrev_b32_e32 v9, 5, v6
	s_delay_alu instid0(VALU_DEP_1) | instskip(SKIP_2) | instid1(SALU_CYCLE_1)
	v_add_lshl_u32 v6, v9, v6, 2
	s_waitcnt lgkmcnt(0)
	s_and_b32 s2, s2, 0xffff
	v_mad_u64_u32 v[1:2], null, s15, s2, v[0:1]
	v_mov_b32_e32 v2, 0
	s_delay_alu instid0(VALU_DEP_1) | instskip(NEXT) | instid1(VALU_DEP_1)
	v_lshlrev_b64 v[1:2], 2, v[1:2]
	v_add_co_u32 v3, vcc_lo, s4, v1
	s_delay_alu instid0(VALU_DEP_2)
	v_add_co_ci_u32_e32 v4, vcc_lo, s5, v2, vcc_lo
	v_cmp_gt_u32_e32 vcc_lo, 32, v0
	s_movk_i32 s4, 0x64
	global_load_b32 v5, v[3:4], off
	v_lshrrev_b32_e32 v3, 5, v0
	v_mbcnt_lo_u32_b32 v4, -1, 0
	s_delay_alu instid0(VALU_DEP_2) | instskip(SKIP_1) | instid1(VALU_DEP_3)
	v_add_lshl_u32 v3, v3, v0, 2
	v_add_lshl_u32 v0, v8, v7, 2
	v_and_b32_e32 v7, 15, v4
	v_bfe_i32 v8, v4, 4, 1
	v_add_nc_u32_e32 v9, -1, v4
	s_branch .LBB132_2
.LBB132_1:                              ;   in Loop: Header=BB132_2 Depth=1
	s_or_b32 exec_lo, exec_lo, s2
	s_add_i32 s4, s4, -1
	s_delay_alu instid0(SALU_CYCLE_1)
	s_cmp_lg_u32 s4, 0
	s_cbranch_scc0 .LBB132_6
.LBB132_2:                              ; =>This Inner Loop Header: Depth=1
	s_waitcnt vmcnt(0)
	ds_store_b32 v3, v5
	s_waitcnt lgkmcnt(0)
	s_barrier
	buffer_gl0_inv
	s_and_saveexec_b32 s5, vcc_lo
	s_cbranch_execz .LBB132_4
; %bb.3:                                ;   in Loop: Header=BB132_2 Depth=1
	ds_load_2addr_b32 v[10:11], v0 offset1:1
	ds_load_2addr_b32 v[12:13], v0 offset0:2 offset1:3
	ds_load_2addr_b32 v[14:15], v0 offset0:4 offset1:5
	ds_load_2addr_b32 v[16:17], v0 offset0:6 offset1:7
	v_cmp_ne_u32_e64 s2, 0, v7
	s_waitcnt lgkmcnt(3)
	v_add_nc_u32_e32 v18, v11, v10
	s_waitcnt lgkmcnt(2)
	s_delay_alu instid0(VALU_DEP_1) | instskip(SKIP_1) | instid1(VALU_DEP_1)
	v_add3_u32 v18, v18, v12, v13
	s_waitcnt lgkmcnt(1)
	v_add3_u32 v18, v18, v14, v15
	s_waitcnt lgkmcnt(0)
	s_delay_alu instid0(VALU_DEP_1) | instskip(NEXT) | instid1(VALU_DEP_1)
	v_add3_u32 v18, v18, v16, v17
	v_mov_b32_dpp v19, v18 row_shr:1 row_mask:0xf bank_mask:0xf
	s_delay_alu instid0(VALU_DEP_1) | instskip(SKIP_1) | instid1(VALU_DEP_2)
	v_cndmask_b32_e64 v19, 0, v19, s2
	v_cmp_lt_u32_e64 s2, 1, v7
	v_add_nc_u32_e32 v18, v19, v18
	s_delay_alu instid0(VALU_DEP_1) | instskip(NEXT) | instid1(VALU_DEP_1)
	v_mov_b32_dpp v19, v18 row_shr:2 row_mask:0xf bank_mask:0xf
	v_cndmask_b32_e64 v19, 0, v19, s2
	v_cmp_lt_u32_e64 s2, 3, v7
	s_delay_alu instid0(VALU_DEP_2) | instskip(NEXT) | instid1(VALU_DEP_1)
	v_add_nc_u32_e32 v18, v18, v19
	v_mov_b32_dpp v19, v18 row_shr:4 row_mask:0xf bank_mask:0xf
	s_delay_alu instid0(VALU_DEP_1) | instskip(SKIP_1) | instid1(VALU_DEP_2)
	v_cndmask_b32_e64 v19, 0, v19, s2
	v_cmp_lt_u32_e64 s2, 7, v7
	v_add_nc_u32_e32 v18, v18, v19
	s_delay_alu instid0(VALU_DEP_1) | instskip(NEXT) | instid1(VALU_DEP_1)
	v_mov_b32_dpp v19, v18 row_shr:8 row_mask:0xf bank_mask:0xf
	v_cndmask_b32_e64 v19, 0, v19, s2
	v_cmp_gt_i32_e64 s2, 0, v9
	s_delay_alu instid0(VALU_DEP_2) | instskip(NEXT) | instid1(VALU_DEP_2)
	v_add_nc_u32_e32 v18, v18, v19
	v_cndmask_b32_e64 v20, v9, v4, s2
	ds_swizzle_b32 v19, v18 offset:swizzle(BROADCAST,32,15)
	s_waitcnt lgkmcnt(0)
	v_and_b32_e32 v19, v8, v19
	s_delay_alu instid0(VALU_DEP_1) | instskip(SKIP_4) | instid1(VALU_DEP_1)
	v_add_nc_u32_e32 v18, v18, v19
	v_lshlrev_b32_e32 v19, 2, v20
	ds_bpermute_b32 v18, v19, v18
	s_waitcnt lgkmcnt(0)
	v_add_nc_u32_e32 v10, v18, v10
	v_cndmask_b32_e64 v5, v10, v5, s0
	s_delay_alu instid0(VALU_DEP_1) | instskip(NEXT) | instid1(VALU_DEP_1)
	v_add_nc_u32_e32 v10, v5, v11
	v_add_nc_u32_e32 v11, v10, v12
	s_delay_alu instid0(VALU_DEP_1) | instskip(NEXT) | instid1(VALU_DEP_1)
	v_add_nc_u32_e32 v12, v11, v13
	v_add_nc_u32_e32 v13, v12, v14
	;; [unrolled: 3-line block ×3, first 2 shown]
	s_delay_alu instid0(VALU_DEP_1)
	v_add_nc_u32_e32 v16, v15, v17
	ds_store_2addr_b32 v0, v5, v10 offset1:1
	ds_store_2addr_b32 v0, v11, v12 offset0:2 offset1:3
	ds_store_2addr_b32 v0, v13, v14 offset0:4 offset1:5
	;; [unrolled: 1-line block ×3, first 2 shown]
.LBB132_4:                              ;   in Loop: Header=BB132_2 Depth=1
	s_or_b32 exec_lo, exec_lo, s5
	v_mov_b32_e32 v5, s3
	s_waitcnt lgkmcnt(0)
	s_barrier
	buffer_gl0_inv
	s_and_saveexec_b32 s2, s1
	s_cbranch_execz .LBB132_1
; %bb.5:                                ;   in Loop: Header=BB132_2 Depth=1
	ds_load_b32 v5, v6
	s_waitcnt lgkmcnt(0)
	v_add_nc_u32_e32 v5, s3, v5
	s_branch .LBB132_1
.LBB132_6:
	v_add_co_u32 v0, vcc_lo, s6, v1
	v_add_co_ci_u32_e32 v1, vcc_lo, s7, v2, vcc_lo
	global_store_b32 v[0:1], v5, off
	s_nop 0
	s_sendmsg sendmsg(MSG_DEALLOC_VGPRS)
	s_endpgm
	.section	.rodata,"a",@progbits
	.p2align	6, 0x0
	.amdhsa_kernel _Z6kernelI14exclusive_scanILN6hipcub18BlockScanAlgorithmE1EEiLj256ELj1ELj100EEvPKT0_PS4_S4_
		.amdhsa_group_segment_fixed_size 1056
		.amdhsa_private_segment_fixed_size 0
		.amdhsa_kernarg_size 280
		.amdhsa_user_sgpr_count 15
		.amdhsa_user_sgpr_dispatch_ptr 0
		.amdhsa_user_sgpr_queue_ptr 0
		.amdhsa_user_sgpr_kernarg_segment_ptr 1
		.amdhsa_user_sgpr_dispatch_id 0
		.amdhsa_user_sgpr_private_segment_size 0
		.amdhsa_wavefront_size32 1
		.amdhsa_uses_dynamic_stack 0
		.amdhsa_enable_private_segment 0
		.amdhsa_system_sgpr_workgroup_id_x 1
		.amdhsa_system_sgpr_workgroup_id_y 0
		.amdhsa_system_sgpr_workgroup_id_z 0
		.amdhsa_system_sgpr_workgroup_info 0
		.amdhsa_system_vgpr_workitem_id 0
		.amdhsa_next_free_vgpr 21
		.amdhsa_next_free_sgpr 16
		.amdhsa_reserve_vcc 1
		.amdhsa_float_round_mode_32 0
		.amdhsa_float_round_mode_16_64 0
		.amdhsa_float_denorm_mode_32 3
		.amdhsa_float_denorm_mode_16_64 3
		.amdhsa_dx10_clamp 1
		.amdhsa_ieee_mode 1
		.amdhsa_fp16_overflow 0
		.amdhsa_workgroup_processor_mode 1
		.amdhsa_memory_ordered 1
		.amdhsa_forward_progress 0
		.amdhsa_shared_vgpr_count 0
		.amdhsa_exception_fp_ieee_invalid_op 0
		.amdhsa_exception_fp_denorm_src 0
		.amdhsa_exception_fp_ieee_div_zero 0
		.amdhsa_exception_fp_ieee_overflow 0
		.amdhsa_exception_fp_ieee_underflow 0
		.amdhsa_exception_fp_ieee_inexact 0
		.amdhsa_exception_int_div_zero 0
	.end_amdhsa_kernel
	.section	.text._Z6kernelI14exclusive_scanILN6hipcub18BlockScanAlgorithmE1EEiLj256ELj1ELj100EEvPKT0_PS4_S4_,"axG",@progbits,_Z6kernelI14exclusive_scanILN6hipcub18BlockScanAlgorithmE1EEiLj256ELj1ELj100EEvPKT0_PS4_S4_,comdat
.Lfunc_end132:
	.size	_Z6kernelI14exclusive_scanILN6hipcub18BlockScanAlgorithmE1EEiLj256ELj1ELj100EEvPKT0_PS4_S4_, .Lfunc_end132-_Z6kernelI14exclusive_scanILN6hipcub18BlockScanAlgorithmE1EEiLj256ELj1ELj100EEvPKT0_PS4_S4_
                                        ; -- End function
	.section	.AMDGPU.csdata,"",@progbits
; Kernel info:
; codeLenInByte = 696
; NumSgprs: 18
; NumVgprs: 21
; ScratchSize: 0
; MemoryBound: 0
; FloatMode: 240
; IeeeMode: 1
; LDSByteSize: 1056 bytes/workgroup (compile time only)
; SGPRBlocks: 2
; VGPRBlocks: 2
; NumSGPRsForWavesPerEU: 18
; NumVGPRsForWavesPerEU: 21
; Occupancy: 16
; WaveLimiterHint : 0
; COMPUTE_PGM_RSRC2:SCRATCH_EN: 0
; COMPUTE_PGM_RSRC2:USER_SGPR: 15
; COMPUTE_PGM_RSRC2:TRAP_HANDLER: 0
; COMPUTE_PGM_RSRC2:TGID_X_EN: 1
; COMPUTE_PGM_RSRC2:TGID_Y_EN: 0
; COMPUTE_PGM_RSRC2:TGID_Z_EN: 0
; COMPUTE_PGM_RSRC2:TIDIG_COMP_CNT: 0
	.section	.text._Z6kernelI14exclusive_scanILN6hipcub18BlockScanAlgorithmE1EEiLj256ELj3ELj100EEvPKT0_PS4_S4_,"axG",@progbits,_Z6kernelI14exclusive_scanILN6hipcub18BlockScanAlgorithmE1EEiLj256ELj3ELj100EEvPKT0_PS4_S4_,comdat
	.protected	_Z6kernelI14exclusive_scanILN6hipcub18BlockScanAlgorithmE1EEiLj256ELj3ELj100EEvPKT0_PS4_S4_ ; -- Begin function _Z6kernelI14exclusive_scanILN6hipcub18BlockScanAlgorithmE1EEiLj256ELj3ELj100EEvPKT0_PS4_S4_
	.globl	_Z6kernelI14exclusive_scanILN6hipcub18BlockScanAlgorithmE1EEiLj256ELj3ELj100EEvPKT0_PS4_S4_
	.p2align	8
	.type	_Z6kernelI14exclusive_scanILN6hipcub18BlockScanAlgorithmE1EEiLj256ELj3ELj100EEvPKT0_PS4_S4_,@function
_Z6kernelI14exclusive_scanILN6hipcub18BlockScanAlgorithmE1EEiLj256ELj3ELj100EEvPKT0_PS4_S4_: ; @_Z6kernelI14exclusive_scanILN6hipcub18BlockScanAlgorithmE1EEiLj256ELj3ELj100EEvPKT0_PS4_S4_
; %bb.0:
	s_clause 0x2
	s_load_b32 s2, s[0:1], 0x24
	s_load_b32 s3, s[0:1], 0x10
	s_load_b128 s[4:7], s[0:1], 0x0
	v_lshrrev_b32_e32 v13, 2, v0
	v_cmp_eq_u32_e64 s0, 0, v0
	v_cmp_ne_u32_e64 s1, 0, v0
	s_waitcnt lgkmcnt(0)
	s_and_b32 s2, s2, 0xffff
	s_delay_alu instid0(SALU_CYCLE_1) | instskip(NEXT) | instid1(VALU_DEP_1)
	v_mad_u64_u32 v[1:2], null, s15, s2, v[0:1]
	v_lshl_add_u32 v3, v1, 1, v1
	s_delay_alu instid0(VALU_DEP_1) | instskip(NEXT) | instid1(VALU_DEP_1)
	v_dual_mov_b32 v4, 0 :: v_dual_add_nc_u32 v5, 1, v3
	v_mov_b32_e32 v6, v4
	v_lshlrev_b64 v[1:2], 2, v[3:4]
	v_add_nc_u32_e32 v3, 2, v3
	s_delay_alu instid0(VALU_DEP_3) | instskip(NEXT) | instid1(VALU_DEP_2)
	v_lshlrev_b64 v[5:6], 2, v[5:6]
	v_lshlrev_b64 v[3:4], 2, v[3:4]
	s_delay_alu instid0(VALU_DEP_4) | instskip(SKIP_1) | instid1(VALU_DEP_4)
	v_add_co_u32 v7, vcc_lo, s4, v1
	v_add_co_ci_u32_e32 v8, vcc_lo, s5, v2, vcc_lo
	v_add_co_u32 v9, vcc_lo, s4, v5
	v_add_co_ci_u32_e32 v10, vcc_lo, s5, v6, vcc_lo
	;; [unrolled: 2-line block ×3, first 2 shown]
	s_clause 0x2
	global_load_b32 v7, v[7:8], off
	global_load_b32 v8, v[9:10], off
	;; [unrolled: 1-line block ×3, first 2 shown]
	v_add_nc_u32_e32 v11, -1, v0
	v_lshrrev_b32_e32 v9, 5, v0
	v_lshlrev_b32_e32 v12, 3, v0
	v_mbcnt_lo_u32_b32 v10, -1, 0
	v_cmp_gt_u32_e32 vcc_lo, 32, v0
	v_lshrrev_b32_e32 v14, 5, v11
	v_add_lshl_u32 v9, v9, v0, 2
	v_add_lshl_u32 v0, v13, v12, 2
	v_and_b32_e32 v12, 15, v10
	v_bfe_i32 v13, v10, 4, 1
	v_add_lshl_u32 v11, v14, v11, 2
	v_add_nc_u32_e32 v14, -1, v10
	s_movk_i32 s4, 0x64
.LBB133_1:                              ; =>This Inner Loop Header: Depth=1
	s_waitcnt vmcnt(0)
	s_delay_alu instid0(VALU_DEP_1)
	v_add3_u32 v15, v8, v7, v15
	ds_store_b32 v9, v15
	s_waitcnt lgkmcnt(0)
	s_barrier
	buffer_gl0_inv
	s_and_saveexec_b32 s5, vcc_lo
	s_cbranch_execz .LBB133_3
; %bb.2:                                ;   in Loop: Header=BB133_1 Depth=1
	ds_load_2addr_b32 v[16:17], v0 offset1:1
	ds_load_2addr_b32 v[18:19], v0 offset0:2 offset1:3
	ds_load_2addr_b32 v[20:21], v0 offset0:4 offset1:5
	;; [unrolled: 1-line block ×3, first 2 shown]
	v_cmp_ne_u32_e64 s2, 0, v12
	s_waitcnt lgkmcnt(3)
	v_add_nc_u32_e32 v24, v17, v16
	s_waitcnt lgkmcnt(2)
	s_delay_alu instid0(VALU_DEP_1) | instskip(SKIP_1) | instid1(VALU_DEP_1)
	v_add3_u32 v24, v24, v18, v19
	s_waitcnt lgkmcnt(1)
	v_add3_u32 v24, v24, v20, v21
	s_waitcnt lgkmcnt(0)
	s_delay_alu instid0(VALU_DEP_1) | instskip(NEXT) | instid1(VALU_DEP_1)
	v_add3_u32 v24, v24, v22, v23
	v_mov_b32_dpp v25, v24 row_shr:1 row_mask:0xf bank_mask:0xf
	s_delay_alu instid0(VALU_DEP_1) | instskip(SKIP_1) | instid1(VALU_DEP_2)
	v_cndmask_b32_e64 v25, 0, v25, s2
	v_cmp_lt_u32_e64 s2, 1, v12
	v_add_nc_u32_e32 v24, v25, v24
	s_delay_alu instid0(VALU_DEP_1) | instskip(NEXT) | instid1(VALU_DEP_1)
	v_mov_b32_dpp v25, v24 row_shr:2 row_mask:0xf bank_mask:0xf
	v_cndmask_b32_e64 v25, 0, v25, s2
	v_cmp_lt_u32_e64 s2, 3, v12
	s_delay_alu instid0(VALU_DEP_2) | instskip(NEXT) | instid1(VALU_DEP_1)
	v_add_nc_u32_e32 v24, v24, v25
	v_mov_b32_dpp v25, v24 row_shr:4 row_mask:0xf bank_mask:0xf
	s_delay_alu instid0(VALU_DEP_1) | instskip(SKIP_1) | instid1(VALU_DEP_2)
	v_cndmask_b32_e64 v25, 0, v25, s2
	v_cmp_lt_u32_e64 s2, 7, v12
	v_add_nc_u32_e32 v24, v24, v25
	s_delay_alu instid0(VALU_DEP_1) | instskip(NEXT) | instid1(VALU_DEP_1)
	v_mov_b32_dpp v25, v24 row_shr:8 row_mask:0xf bank_mask:0xf
	v_cndmask_b32_e64 v25, 0, v25, s2
	v_cmp_gt_i32_e64 s2, 0, v14
	s_delay_alu instid0(VALU_DEP_2) | instskip(NEXT) | instid1(VALU_DEP_2)
	v_add_nc_u32_e32 v24, v24, v25
	v_cndmask_b32_e64 v26, v14, v10, s2
	ds_swizzle_b32 v25, v24 offset:swizzle(BROADCAST,32,15)
	s_waitcnt lgkmcnt(0)
	v_and_b32_e32 v25, v13, v25
	s_delay_alu instid0(VALU_DEP_1) | instskip(SKIP_4) | instid1(VALU_DEP_1)
	v_add_nc_u32_e32 v24, v24, v25
	v_lshlrev_b32_e32 v25, 2, v26
	ds_bpermute_b32 v24, v25, v24
	s_waitcnt lgkmcnt(0)
	v_add_nc_u32_e32 v16, v24, v16
	v_cndmask_b32_e64 v15, v16, v15, s0
	s_delay_alu instid0(VALU_DEP_1) | instskip(NEXT) | instid1(VALU_DEP_1)
	v_add_nc_u32_e32 v16, v15, v17
	v_add_nc_u32_e32 v17, v16, v18
	s_delay_alu instid0(VALU_DEP_1) | instskip(NEXT) | instid1(VALU_DEP_1)
	v_add_nc_u32_e32 v18, v17, v19
	v_add_nc_u32_e32 v19, v18, v20
	;; [unrolled: 3-line block ×3, first 2 shown]
	s_delay_alu instid0(VALU_DEP_1)
	v_add_nc_u32_e32 v22, v21, v23
	ds_store_2addr_b32 v0, v15, v16 offset1:1
	ds_store_2addr_b32 v0, v17, v18 offset0:2 offset1:3
	ds_store_2addr_b32 v0, v19, v20 offset0:4 offset1:5
	;; [unrolled: 1-line block ×3, first 2 shown]
.LBB133_3:                              ;   in Loop: Header=BB133_1 Depth=1
	s_or_b32 exec_lo, exec_lo, s5
	v_mov_b32_e32 v16, s3
	s_waitcnt lgkmcnt(0)
	s_barrier
	buffer_gl0_inv
	s_and_saveexec_b32 s2, s1
	s_cbranch_execz .LBB133_5
; %bb.4:                                ;   in Loop: Header=BB133_1 Depth=1
	ds_load_b32 v15, v11
	s_waitcnt lgkmcnt(0)
	v_add_nc_u32_e32 v16, s3, v15
.LBB133_5:                              ;   in Loop: Header=BB133_1 Depth=1
	s_or_b32 exec_lo, exec_lo, s2
	s_delay_alu instid0(VALU_DEP_1) | instskip(SKIP_1) | instid1(SALU_CYCLE_1)
	v_add_nc_u32_e32 v17, v16, v7
	s_add_i32 s4, s4, -1
	s_cmp_lg_u32 s4, 0
	s_delay_alu instid0(VALU_DEP_1)
	v_add_nc_u32_e32 v15, v17, v8
	s_cbranch_scc0 .LBB133_7
; %bb.6:                                ;   in Loop: Header=BB133_1 Depth=1
	v_dual_mov_b32 v7, v16 :: v_dual_mov_b32 v8, v17
	s_branch .LBB133_1
.LBB133_7:
	v_add_co_u32 v0, vcc_lo, s6, v1
	v_add_co_ci_u32_e32 v1, vcc_lo, s7, v2, vcc_lo
	v_add_co_u32 v5, vcc_lo, s6, v5
	v_add_co_ci_u32_e32 v6, vcc_lo, s7, v6, vcc_lo
	;; [unrolled: 2-line block ×3, first 2 shown]
	s_clause 0x2
	global_store_b32 v[0:1], v16, off
	global_store_b32 v[5:6], v17, off
	;; [unrolled: 1-line block ×3, first 2 shown]
	s_nop 0
	s_sendmsg sendmsg(MSG_DEALLOC_VGPRS)
	s_endpgm
	.section	.rodata,"a",@progbits
	.p2align	6, 0x0
	.amdhsa_kernel _Z6kernelI14exclusive_scanILN6hipcub18BlockScanAlgorithmE1EEiLj256ELj3ELj100EEvPKT0_PS4_S4_
		.amdhsa_group_segment_fixed_size 1056
		.amdhsa_private_segment_fixed_size 0
		.amdhsa_kernarg_size 280
		.amdhsa_user_sgpr_count 15
		.amdhsa_user_sgpr_dispatch_ptr 0
		.amdhsa_user_sgpr_queue_ptr 0
		.amdhsa_user_sgpr_kernarg_segment_ptr 1
		.amdhsa_user_sgpr_dispatch_id 0
		.amdhsa_user_sgpr_private_segment_size 0
		.amdhsa_wavefront_size32 1
		.amdhsa_uses_dynamic_stack 0
		.amdhsa_enable_private_segment 0
		.amdhsa_system_sgpr_workgroup_id_x 1
		.amdhsa_system_sgpr_workgroup_id_y 0
		.amdhsa_system_sgpr_workgroup_id_z 0
		.amdhsa_system_sgpr_workgroup_info 0
		.amdhsa_system_vgpr_workitem_id 0
		.amdhsa_next_free_vgpr 27
		.amdhsa_next_free_sgpr 16
		.amdhsa_reserve_vcc 1
		.amdhsa_float_round_mode_32 0
		.amdhsa_float_round_mode_16_64 0
		.amdhsa_float_denorm_mode_32 3
		.amdhsa_float_denorm_mode_16_64 3
		.amdhsa_dx10_clamp 1
		.amdhsa_ieee_mode 1
		.amdhsa_fp16_overflow 0
		.amdhsa_workgroup_processor_mode 1
		.amdhsa_memory_ordered 1
		.amdhsa_forward_progress 0
		.amdhsa_shared_vgpr_count 0
		.amdhsa_exception_fp_ieee_invalid_op 0
		.amdhsa_exception_fp_denorm_src 0
		.amdhsa_exception_fp_ieee_div_zero 0
		.amdhsa_exception_fp_ieee_overflow 0
		.amdhsa_exception_fp_ieee_underflow 0
		.amdhsa_exception_fp_ieee_inexact 0
		.amdhsa_exception_int_div_zero 0
	.end_amdhsa_kernel
	.section	.text._Z6kernelI14exclusive_scanILN6hipcub18BlockScanAlgorithmE1EEiLj256ELj3ELj100EEvPKT0_PS4_S4_,"axG",@progbits,_Z6kernelI14exclusive_scanILN6hipcub18BlockScanAlgorithmE1EEiLj256ELj3ELj100EEvPKT0_PS4_S4_,comdat
.Lfunc_end133:
	.size	_Z6kernelI14exclusive_scanILN6hipcub18BlockScanAlgorithmE1EEiLj256ELj3ELj100EEvPKT0_PS4_S4_, .Lfunc_end133-_Z6kernelI14exclusive_scanILN6hipcub18BlockScanAlgorithmE1EEiLj256ELj3ELj100EEvPKT0_PS4_S4_
                                        ; -- End function
	.section	.AMDGPU.csdata,"",@progbits
; Kernel info:
; codeLenInByte = 848
; NumSgprs: 18
; NumVgprs: 27
; ScratchSize: 0
; MemoryBound: 0
; FloatMode: 240
; IeeeMode: 1
; LDSByteSize: 1056 bytes/workgroup (compile time only)
; SGPRBlocks: 2
; VGPRBlocks: 3
; NumSGPRsForWavesPerEU: 18
; NumVGPRsForWavesPerEU: 27
; Occupancy: 16
; WaveLimiterHint : 0
; COMPUTE_PGM_RSRC2:SCRATCH_EN: 0
; COMPUTE_PGM_RSRC2:USER_SGPR: 15
; COMPUTE_PGM_RSRC2:TRAP_HANDLER: 0
; COMPUTE_PGM_RSRC2:TGID_X_EN: 1
; COMPUTE_PGM_RSRC2:TGID_Y_EN: 0
; COMPUTE_PGM_RSRC2:TGID_Z_EN: 0
; COMPUTE_PGM_RSRC2:TIDIG_COMP_CNT: 0
	.section	.text._Z6kernelI14exclusive_scanILN6hipcub18BlockScanAlgorithmE1EEiLj256ELj4ELj100EEvPKT0_PS4_S4_,"axG",@progbits,_Z6kernelI14exclusive_scanILN6hipcub18BlockScanAlgorithmE1EEiLj256ELj4ELj100EEvPKT0_PS4_S4_,comdat
	.protected	_Z6kernelI14exclusive_scanILN6hipcub18BlockScanAlgorithmE1EEiLj256ELj4ELj100EEvPKT0_PS4_S4_ ; -- Begin function _Z6kernelI14exclusive_scanILN6hipcub18BlockScanAlgorithmE1EEiLj256ELj4ELj100EEvPKT0_PS4_S4_
	.globl	_Z6kernelI14exclusive_scanILN6hipcub18BlockScanAlgorithmE1EEiLj256ELj4ELj100EEvPKT0_PS4_S4_
	.p2align	8
	.type	_Z6kernelI14exclusive_scanILN6hipcub18BlockScanAlgorithmE1EEiLj256ELj4ELj100EEvPKT0_PS4_S4_,@function
_Z6kernelI14exclusive_scanILN6hipcub18BlockScanAlgorithmE1EEiLj256ELj4ELj100EEvPKT0_PS4_S4_: ; @_Z6kernelI14exclusive_scanILN6hipcub18BlockScanAlgorithmE1EEiLj256ELj4ELj100EEvPKT0_PS4_S4_
; %bb.0:
	s_clause 0x1
	s_load_b32 s2, s[0:1], 0x24
	s_load_b128 s[4:7], s[0:1], 0x0
	v_mov_b32_e32 v2, 0
	v_lshrrev_b32_e32 v5, 5, v0
	s_load_b32 s3, s[0:1], 0x10
	v_add_nc_u32_e32 v6, -1, v0
	v_lshrrev_b32_e32 v7, 2, v0
	v_mbcnt_lo_u32_b32 v11, -1, 0
	v_add_lshl_u32 v10, v5, v0, 2
	v_lshlrev_b32_e32 v5, 3, v0
	v_lshrrev_b32_e32 v12, 5, v6
	v_cmp_eq_u32_e64 s0, 0, v0
	v_cmp_ne_u32_e64 s1, 0, v0
	v_and_b32_e32 v13, 15, v11
	v_bfe_i32 v14, v11, 4, 1
	v_add_lshl_u32 v12, v12, v6, 2
	v_add_nc_u32_e32 v15, -1, v11
	s_waitcnt lgkmcnt(0)
	s_and_b32 s2, s2, 0xffff
	s_delay_alu instid0(SALU_CYCLE_1) | instskip(NEXT) | instid1(SALU_CYCLE_1)
	s_mul_i32 s15, s15, s2
	v_add_lshl_u32 v1, s15, v0, 2
	s_delay_alu instid0(VALU_DEP_1) | instskip(NEXT) | instid1(VALU_DEP_1)
	v_lshlrev_b64 v[8:9], 2, v[1:2]
	v_add_co_u32 v1, vcc_lo, s4, v8
	s_delay_alu instid0(VALU_DEP_2)
	v_add_co_ci_u32_e32 v2, vcc_lo, s5, v9, vcc_lo
	v_cmp_gt_u32_e32 vcc_lo, 32, v0
	v_add_lshl_u32 v0, v7, v5, 2
	s_movk_i32 s4, 0x64
	global_load_b128 v[1:4], v[1:2], off
.LBB134_1:                              ; =>This Inner Loop Header: Depth=1
	s_waitcnt vmcnt(0)
	s_delay_alu instid0(VALU_DEP_2) | instskip(NEXT) | instid1(VALU_DEP_1)
	v_add_nc_u32_e32 v5, v2, v1
	v_add3_u32 v4, v5, v3, v4
	ds_store_b32 v10, v4
	s_waitcnt lgkmcnt(0)
	s_barrier
	buffer_gl0_inv
	s_and_saveexec_b32 s5, vcc_lo
	s_cbranch_execz .LBB134_3
; %bb.2:                                ;   in Loop: Header=BB134_1 Depth=1
	ds_load_2addr_b32 v[5:6], v0 offset1:1
	ds_load_2addr_b32 v[16:17], v0 offset0:2 offset1:3
	ds_load_2addr_b32 v[18:19], v0 offset0:4 offset1:5
	;; [unrolled: 1-line block ×3, first 2 shown]
	v_cmp_ne_u32_e64 s2, 0, v13
	s_waitcnt lgkmcnt(3)
	v_add_nc_u32_e32 v7, v6, v5
	s_waitcnt lgkmcnt(2)
	s_delay_alu instid0(VALU_DEP_1) | instskip(SKIP_1) | instid1(VALU_DEP_1)
	v_add3_u32 v7, v7, v16, v17
	s_waitcnt lgkmcnt(1)
	v_add3_u32 v7, v7, v18, v19
	s_waitcnt lgkmcnt(0)
	s_delay_alu instid0(VALU_DEP_1) | instskip(NEXT) | instid1(VALU_DEP_1)
	v_add3_u32 v7, v7, v20, v21
	v_mov_b32_dpp v22, v7 row_shr:1 row_mask:0xf bank_mask:0xf
	s_delay_alu instid0(VALU_DEP_1) | instskip(SKIP_1) | instid1(VALU_DEP_2)
	v_cndmask_b32_e64 v22, 0, v22, s2
	v_cmp_lt_u32_e64 s2, 1, v13
	v_add_nc_u32_e32 v7, v22, v7
	s_delay_alu instid0(VALU_DEP_1) | instskip(NEXT) | instid1(VALU_DEP_1)
	v_mov_b32_dpp v22, v7 row_shr:2 row_mask:0xf bank_mask:0xf
	v_cndmask_b32_e64 v22, 0, v22, s2
	v_cmp_lt_u32_e64 s2, 3, v13
	s_delay_alu instid0(VALU_DEP_2) | instskip(NEXT) | instid1(VALU_DEP_1)
	v_add_nc_u32_e32 v7, v7, v22
	v_mov_b32_dpp v22, v7 row_shr:4 row_mask:0xf bank_mask:0xf
	s_delay_alu instid0(VALU_DEP_1) | instskip(SKIP_1) | instid1(VALU_DEP_2)
	v_cndmask_b32_e64 v22, 0, v22, s2
	v_cmp_lt_u32_e64 s2, 7, v13
	v_add_nc_u32_e32 v7, v7, v22
	s_delay_alu instid0(VALU_DEP_1) | instskip(NEXT) | instid1(VALU_DEP_1)
	v_mov_b32_dpp v22, v7 row_shr:8 row_mask:0xf bank_mask:0xf
	v_cndmask_b32_e64 v22, 0, v22, s2
	v_cmp_gt_i32_e64 s2, 0, v15
	s_delay_alu instid0(VALU_DEP_2) | instskip(NEXT) | instid1(VALU_DEP_2)
	v_add_nc_u32_e32 v7, v7, v22
	v_cndmask_b32_e64 v23, v15, v11, s2
	ds_swizzle_b32 v22, v7 offset:swizzle(BROADCAST,32,15)
	s_waitcnt lgkmcnt(0)
	v_and_b32_e32 v22, v14, v22
	s_delay_alu instid0(VALU_DEP_1) | instskip(SKIP_4) | instid1(VALU_DEP_1)
	v_add_nc_u32_e32 v7, v7, v22
	v_lshlrev_b32_e32 v22, 2, v23
	ds_bpermute_b32 v7, v22, v7
	s_waitcnt lgkmcnt(0)
	v_add_nc_u32_e32 v5, v7, v5
	v_cndmask_b32_e64 v4, v5, v4, s0
	s_delay_alu instid0(VALU_DEP_1) | instskip(NEXT) | instid1(VALU_DEP_1)
	v_add_nc_u32_e32 v5, v4, v6
	v_add_nc_u32_e32 v6, v5, v16
	s_delay_alu instid0(VALU_DEP_1) | instskip(NEXT) | instid1(VALU_DEP_1)
	v_add_nc_u32_e32 v7, v6, v17
	v_add_nc_u32_e32 v16, v7, v18
	;; [unrolled: 3-line block ×3, first 2 shown]
	s_delay_alu instid0(VALU_DEP_1)
	v_add_nc_u32_e32 v19, v18, v21
	ds_store_2addr_b32 v0, v4, v5 offset1:1
	ds_store_2addr_b32 v0, v6, v7 offset0:2 offset1:3
	ds_store_2addr_b32 v0, v16, v17 offset0:4 offset1:5
	ds_store_2addr_b32 v0, v18, v19 offset0:6 offset1:7
.LBB134_3:                              ;   in Loop: Header=BB134_1 Depth=1
	s_or_b32 exec_lo, exec_lo, s5
	v_mov_b32_e32 v5, s3
	s_waitcnt lgkmcnt(0)
	s_barrier
	buffer_gl0_inv
	s_and_saveexec_b32 s2, s1
	s_cbranch_execz .LBB134_5
; %bb.4:                                ;   in Loop: Header=BB134_1 Depth=1
	ds_load_b32 v4, v12
	s_waitcnt lgkmcnt(0)
	v_add_nc_u32_e32 v5, s3, v4
.LBB134_5:                              ;   in Loop: Header=BB134_1 Depth=1
	s_or_b32 exec_lo, exec_lo, s2
	s_delay_alu instid0(VALU_DEP_1) | instskip(SKIP_1) | instid1(SALU_CYCLE_1)
	v_add_nc_u32_e32 v6, v5, v1
	s_add_i32 s4, s4, -1
	s_cmp_lg_u32 s4, 0
	s_delay_alu instid0(VALU_DEP_1) | instskip(NEXT) | instid1(VALU_DEP_1)
	v_add_nc_u32_e32 v7, v6, v2
	v_add_nc_u32_e32 v4, v7, v3
	s_cbranch_scc0 .LBB134_7
; %bb.6:                                ;   in Loop: Header=BB134_1 Depth=1
	v_dual_mov_b32 v1, v5 :: v_dual_mov_b32 v2, v6
	v_mov_b32_e32 v3, v7
	s_branch .LBB134_1
.LBB134_7:
	v_add_co_u32 v0, vcc_lo, s6, v8
	v_add_co_ci_u32_e32 v1, vcc_lo, s7, v9, vcc_lo
	s_delay_alu instid0(VALU_DEP_3)
	v_mov_b32_e32 v8, v4
	global_store_b128 v[0:1], v[5:8], off
	s_nop 0
	s_sendmsg sendmsg(MSG_DEALLOC_VGPRS)
	s_endpgm
	.section	.rodata,"a",@progbits
	.p2align	6, 0x0
	.amdhsa_kernel _Z6kernelI14exclusive_scanILN6hipcub18BlockScanAlgorithmE1EEiLj256ELj4ELj100EEvPKT0_PS4_S4_
		.amdhsa_group_segment_fixed_size 1056
		.amdhsa_private_segment_fixed_size 0
		.amdhsa_kernarg_size 280
		.amdhsa_user_sgpr_count 15
		.amdhsa_user_sgpr_dispatch_ptr 0
		.amdhsa_user_sgpr_queue_ptr 0
		.amdhsa_user_sgpr_kernarg_segment_ptr 1
		.amdhsa_user_sgpr_dispatch_id 0
		.amdhsa_user_sgpr_private_segment_size 0
		.amdhsa_wavefront_size32 1
		.amdhsa_uses_dynamic_stack 0
		.amdhsa_enable_private_segment 0
		.amdhsa_system_sgpr_workgroup_id_x 1
		.amdhsa_system_sgpr_workgroup_id_y 0
		.amdhsa_system_sgpr_workgroup_id_z 0
		.amdhsa_system_sgpr_workgroup_info 0
		.amdhsa_system_vgpr_workitem_id 0
		.amdhsa_next_free_vgpr 24
		.amdhsa_next_free_sgpr 16
		.amdhsa_reserve_vcc 1
		.amdhsa_float_round_mode_32 0
		.amdhsa_float_round_mode_16_64 0
		.amdhsa_float_denorm_mode_32 3
		.amdhsa_float_denorm_mode_16_64 3
		.amdhsa_dx10_clamp 1
		.amdhsa_ieee_mode 1
		.amdhsa_fp16_overflow 0
		.amdhsa_workgroup_processor_mode 1
		.amdhsa_memory_ordered 1
		.amdhsa_forward_progress 0
		.amdhsa_shared_vgpr_count 0
		.amdhsa_exception_fp_ieee_invalid_op 0
		.amdhsa_exception_fp_denorm_src 0
		.amdhsa_exception_fp_ieee_div_zero 0
		.amdhsa_exception_fp_ieee_overflow 0
		.amdhsa_exception_fp_ieee_underflow 0
		.amdhsa_exception_fp_ieee_inexact 0
		.amdhsa_exception_int_div_zero 0
	.end_amdhsa_kernel
	.section	.text._Z6kernelI14exclusive_scanILN6hipcub18BlockScanAlgorithmE1EEiLj256ELj4ELj100EEvPKT0_PS4_S4_,"axG",@progbits,_Z6kernelI14exclusive_scanILN6hipcub18BlockScanAlgorithmE1EEiLj256ELj4ELj100EEvPKT0_PS4_S4_,comdat
.Lfunc_end134:
	.size	_Z6kernelI14exclusive_scanILN6hipcub18BlockScanAlgorithmE1EEiLj256ELj4ELj100EEvPKT0_PS4_S4_, .Lfunc_end134-_Z6kernelI14exclusive_scanILN6hipcub18BlockScanAlgorithmE1EEiLj256ELj4ELj100EEvPKT0_PS4_S4_
                                        ; -- End function
	.section	.AMDGPU.csdata,"",@progbits
; Kernel info:
; codeLenInByte = 744
; NumSgprs: 18
; NumVgprs: 24
; ScratchSize: 0
; MemoryBound: 0
; FloatMode: 240
; IeeeMode: 1
; LDSByteSize: 1056 bytes/workgroup (compile time only)
; SGPRBlocks: 2
; VGPRBlocks: 2
; NumSGPRsForWavesPerEU: 18
; NumVGPRsForWavesPerEU: 24
; Occupancy: 16
; WaveLimiterHint : 0
; COMPUTE_PGM_RSRC2:SCRATCH_EN: 0
; COMPUTE_PGM_RSRC2:USER_SGPR: 15
; COMPUTE_PGM_RSRC2:TRAP_HANDLER: 0
; COMPUTE_PGM_RSRC2:TGID_X_EN: 1
; COMPUTE_PGM_RSRC2:TGID_Y_EN: 0
; COMPUTE_PGM_RSRC2:TGID_Z_EN: 0
; COMPUTE_PGM_RSRC2:TIDIG_COMP_CNT: 0
	.section	.text._Z6kernelI14exclusive_scanILN6hipcub18BlockScanAlgorithmE1EEiLj256ELj8ELj100EEvPKT0_PS4_S4_,"axG",@progbits,_Z6kernelI14exclusive_scanILN6hipcub18BlockScanAlgorithmE1EEiLj256ELj8ELj100EEvPKT0_PS4_S4_,comdat
	.protected	_Z6kernelI14exclusive_scanILN6hipcub18BlockScanAlgorithmE1EEiLj256ELj8ELj100EEvPKT0_PS4_S4_ ; -- Begin function _Z6kernelI14exclusive_scanILN6hipcub18BlockScanAlgorithmE1EEiLj256ELj8ELj100EEvPKT0_PS4_S4_
	.globl	_Z6kernelI14exclusive_scanILN6hipcub18BlockScanAlgorithmE1EEiLj256ELj8ELj100EEvPKT0_PS4_S4_
	.p2align	8
	.type	_Z6kernelI14exclusive_scanILN6hipcub18BlockScanAlgorithmE1EEiLj256ELj8ELj100EEvPKT0_PS4_S4_,@function
_Z6kernelI14exclusive_scanILN6hipcub18BlockScanAlgorithmE1EEiLj256ELj8ELj100EEvPKT0_PS4_S4_: ; @_Z6kernelI14exclusive_scanILN6hipcub18BlockScanAlgorithmE1EEiLj256ELj8ELj100EEvPKT0_PS4_S4_
; %bb.0:
	s_clause 0x1
	s_load_b32 s2, s[0:1], 0x24
	s_load_b128 s[4:7], s[0:1], 0x0
	v_mov_b32_e32 v2, 0
	v_lshrrev_b32_e32 v9, 5, v0
	s_load_b32 s3, s[0:1], 0x10
	v_add_nc_u32_e32 v10, -1, v0
	v_lshrrev_b32_e32 v11, 2, v0
	v_mbcnt_lo_u32_b32 v19, -1, 0
	v_add_lshl_u32 v18, v9, v0, 2
	v_lshlrev_b32_e32 v9, 3, v0
	v_lshrrev_b32_e32 v12, 5, v10
	v_cmp_eq_u32_e64 s0, 0, v0
	v_cmp_ne_u32_e64 s1, 0, v0
	v_and_b32_e32 v21, 15, v19
	v_bfe_i32 v22, v19, 4, 1
	v_add_lshl_u32 v20, v12, v10, 2
	v_add_nc_u32_e32 v23, -1, v19
	s_waitcnt lgkmcnt(0)
	s_and_b32 s2, s2, 0xffff
	s_delay_alu instid0(SALU_CYCLE_1) | instskip(NEXT) | instid1(SALU_CYCLE_1)
	s_mul_i32 s15, s15, s2
	v_add_lshl_u32 v1, s15, v0, 3
	s_delay_alu instid0(VALU_DEP_1) | instskip(NEXT) | instid1(VALU_DEP_1)
	v_lshlrev_b64 v[16:17], 2, v[1:2]
	v_add_co_u32 v1, vcc_lo, s4, v16
	s_delay_alu instid0(VALU_DEP_2)
	v_add_co_ci_u32_e32 v2, vcc_lo, s5, v17, vcc_lo
	v_cmp_gt_u32_e32 vcc_lo, 32, v0
	v_add_lshl_u32 v0, v11, v9, 2
	s_movk_i32 s4, 0x64
	s_clause 0x1
	global_load_b128 v[5:8], v[1:2], off
	global_load_b128 v[1:4], v[1:2], off offset:16
.LBB135_1:                              ; =>This Inner Loop Header: Depth=1
	s_waitcnt vmcnt(1)
	v_add_nc_u32_e32 v9, v6, v5
	s_delay_alu instid0(VALU_DEP_1) | instskip(SKIP_1) | instid1(VALU_DEP_1)
	v_add3_u32 v9, v9, v7, v8
	s_waitcnt vmcnt(0)
	v_add3_u32 v9, v9, v1, v2
	s_delay_alu instid0(VALU_DEP_1)
	v_add3_u32 v4, v9, v3, v4
	ds_store_b32 v18, v4
	s_waitcnt lgkmcnt(0)
	s_barrier
	buffer_gl0_inv
	s_and_saveexec_b32 s5, vcc_lo
	s_cbranch_execz .LBB135_3
; %bb.2:                                ;   in Loop: Header=BB135_1 Depth=1
	ds_load_2addr_b32 v[9:10], v0 offset1:1
	ds_load_2addr_b32 v[11:12], v0 offset0:2 offset1:3
	ds_load_2addr_b32 v[13:14], v0 offset0:4 offset1:5
	;; [unrolled: 1-line block ×3, first 2 shown]
	v_cmp_ne_u32_e64 s2, 0, v21
	s_waitcnt lgkmcnt(3)
	v_add_nc_u32_e32 v15, v10, v9
	s_waitcnt lgkmcnt(2)
	s_delay_alu instid0(VALU_DEP_1) | instskip(SKIP_1) | instid1(VALU_DEP_1)
	v_add3_u32 v15, v15, v11, v12
	s_waitcnt lgkmcnt(1)
	v_add3_u32 v15, v15, v13, v14
	s_waitcnt lgkmcnt(0)
	s_delay_alu instid0(VALU_DEP_1) | instskip(NEXT) | instid1(VALU_DEP_1)
	v_add3_u32 v15, v15, v24, v25
	v_mov_b32_dpp v26, v15 row_shr:1 row_mask:0xf bank_mask:0xf
	s_delay_alu instid0(VALU_DEP_1) | instskip(SKIP_1) | instid1(VALU_DEP_2)
	v_cndmask_b32_e64 v26, 0, v26, s2
	v_cmp_lt_u32_e64 s2, 1, v21
	v_add_nc_u32_e32 v15, v26, v15
	s_delay_alu instid0(VALU_DEP_1) | instskip(NEXT) | instid1(VALU_DEP_1)
	v_mov_b32_dpp v26, v15 row_shr:2 row_mask:0xf bank_mask:0xf
	v_cndmask_b32_e64 v26, 0, v26, s2
	v_cmp_lt_u32_e64 s2, 3, v21
	s_delay_alu instid0(VALU_DEP_2) | instskip(NEXT) | instid1(VALU_DEP_1)
	v_add_nc_u32_e32 v15, v15, v26
	v_mov_b32_dpp v26, v15 row_shr:4 row_mask:0xf bank_mask:0xf
	s_delay_alu instid0(VALU_DEP_1) | instskip(SKIP_1) | instid1(VALU_DEP_2)
	v_cndmask_b32_e64 v26, 0, v26, s2
	v_cmp_lt_u32_e64 s2, 7, v21
	v_add_nc_u32_e32 v15, v15, v26
	s_delay_alu instid0(VALU_DEP_1) | instskip(NEXT) | instid1(VALU_DEP_1)
	v_mov_b32_dpp v26, v15 row_shr:8 row_mask:0xf bank_mask:0xf
	v_cndmask_b32_e64 v26, 0, v26, s2
	v_cmp_gt_i32_e64 s2, 0, v23
	s_delay_alu instid0(VALU_DEP_2) | instskip(NEXT) | instid1(VALU_DEP_2)
	v_add_nc_u32_e32 v15, v15, v26
	v_cndmask_b32_e64 v27, v23, v19, s2
	ds_swizzle_b32 v26, v15 offset:swizzle(BROADCAST,32,15)
	s_waitcnt lgkmcnt(0)
	v_and_b32_e32 v26, v22, v26
	s_delay_alu instid0(VALU_DEP_1) | instskip(SKIP_4) | instid1(VALU_DEP_1)
	v_add_nc_u32_e32 v15, v15, v26
	v_lshlrev_b32_e32 v26, 2, v27
	ds_bpermute_b32 v15, v26, v15
	s_waitcnt lgkmcnt(0)
	v_add_nc_u32_e32 v9, v15, v9
	v_cndmask_b32_e64 v4, v9, v4, s0
	s_delay_alu instid0(VALU_DEP_1) | instskip(NEXT) | instid1(VALU_DEP_1)
	v_add_nc_u32_e32 v9, v4, v10
	v_add_nc_u32_e32 v10, v9, v11
	s_delay_alu instid0(VALU_DEP_1) | instskip(NEXT) | instid1(VALU_DEP_1)
	v_add_nc_u32_e32 v11, v10, v12
	v_add_nc_u32_e32 v12, v11, v13
	;; [unrolled: 3-line block ×3, first 2 shown]
	s_delay_alu instid0(VALU_DEP_1)
	v_add_nc_u32_e32 v15, v14, v25
	ds_store_2addr_b32 v0, v4, v9 offset1:1
	ds_store_2addr_b32 v0, v10, v11 offset0:2 offset1:3
	ds_store_2addr_b32 v0, v12, v13 offset0:4 offset1:5
	;; [unrolled: 1-line block ×3, first 2 shown]
.LBB135_3:                              ;   in Loop: Header=BB135_1 Depth=1
	s_or_b32 exec_lo, exec_lo, s5
	v_mov_b32_e32 v9, s3
	s_waitcnt lgkmcnt(0)
	s_barrier
	buffer_gl0_inv
	s_and_saveexec_b32 s2, s1
	s_cbranch_execz .LBB135_5
; %bb.4:                                ;   in Loop: Header=BB135_1 Depth=1
	ds_load_b32 v4, v20
	s_waitcnt lgkmcnt(0)
	v_add_nc_u32_e32 v9, s3, v4
.LBB135_5:                              ;   in Loop: Header=BB135_1 Depth=1
	s_or_b32 exec_lo, exec_lo, s2
	s_delay_alu instid0(VALU_DEP_1) | instskip(SKIP_1) | instid1(SALU_CYCLE_1)
	v_add_nc_u32_e32 v10, v9, v5
	s_add_i32 s4, s4, -1
	s_cmp_lg_u32 s4, 0
	s_delay_alu instid0(VALU_DEP_1) | instskip(NEXT) | instid1(VALU_DEP_1)
	v_add_nc_u32_e32 v11, v10, v6
	v_add_nc_u32_e32 v12, v11, v7
	s_delay_alu instid0(VALU_DEP_1) | instskip(NEXT) | instid1(VALU_DEP_1)
	v_add_nc_u32_e32 v13, v12, v8
	v_add_nc_u32_e32 v14, v13, v1
	;; [unrolled: 3-line block ×3, first 2 shown]
	s_cbranch_scc0 .LBB135_7
; %bb.6:                                ;   in Loop: Header=BB135_1 Depth=1
	v_dual_mov_b32 v5, v9 :: v_dual_mov_b32 v6, v10
	v_dual_mov_b32 v7, v11 :: v_dual_mov_b32 v8, v12
	v_dual_mov_b32 v1, v13 :: v_dual_mov_b32 v2, v14
	v_mov_b32_e32 v3, v15
	s_branch .LBB135_1
.LBB135_7:
	v_add_co_u32 v0, vcc_lo, s6, v16
	v_add_co_ci_u32_e32 v1, vcc_lo, s7, v17, vcc_lo
	s_delay_alu instid0(VALU_DEP_3)
	v_mov_b32_e32 v16, v4
	s_clause 0x1
	global_store_b128 v[0:1], v[9:12], off
	global_store_b128 v[0:1], v[13:16], off offset:16
	s_nop 0
	s_sendmsg sendmsg(MSG_DEALLOC_VGPRS)
	s_endpgm
	.section	.rodata,"a",@progbits
	.p2align	6, 0x0
	.amdhsa_kernel _Z6kernelI14exclusive_scanILN6hipcub18BlockScanAlgorithmE1EEiLj256ELj8ELj100EEvPKT0_PS4_S4_
		.amdhsa_group_segment_fixed_size 1056
		.amdhsa_private_segment_fixed_size 0
		.amdhsa_kernarg_size 280
		.amdhsa_user_sgpr_count 15
		.amdhsa_user_sgpr_dispatch_ptr 0
		.amdhsa_user_sgpr_queue_ptr 0
		.amdhsa_user_sgpr_kernarg_segment_ptr 1
		.amdhsa_user_sgpr_dispatch_id 0
		.amdhsa_user_sgpr_private_segment_size 0
		.amdhsa_wavefront_size32 1
		.amdhsa_uses_dynamic_stack 0
		.amdhsa_enable_private_segment 0
		.amdhsa_system_sgpr_workgroup_id_x 1
		.amdhsa_system_sgpr_workgroup_id_y 0
		.amdhsa_system_sgpr_workgroup_id_z 0
		.amdhsa_system_sgpr_workgroup_info 0
		.amdhsa_system_vgpr_workitem_id 0
		.amdhsa_next_free_vgpr 28
		.amdhsa_next_free_sgpr 16
		.amdhsa_reserve_vcc 1
		.amdhsa_float_round_mode_32 0
		.amdhsa_float_round_mode_16_64 0
		.amdhsa_float_denorm_mode_32 3
		.amdhsa_float_denorm_mode_16_64 3
		.amdhsa_dx10_clamp 1
		.amdhsa_ieee_mode 1
		.amdhsa_fp16_overflow 0
		.amdhsa_workgroup_processor_mode 1
		.amdhsa_memory_ordered 1
		.amdhsa_forward_progress 0
		.amdhsa_shared_vgpr_count 0
		.amdhsa_exception_fp_ieee_invalid_op 0
		.amdhsa_exception_fp_denorm_src 0
		.amdhsa_exception_fp_ieee_div_zero 0
		.amdhsa_exception_fp_ieee_overflow 0
		.amdhsa_exception_fp_ieee_underflow 0
		.amdhsa_exception_fp_ieee_inexact 0
		.amdhsa_exception_int_div_zero 0
	.end_amdhsa_kernel
	.section	.text._Z6kernelI14exclusive_scanILN6hipcub18BlockScanAlgorithmE1EEiLj256ELj8ELj100EEvPKT0_PS4_S4_,"axG",@progbits,_Z6kernelI14exclusive_scanILN6hipcub18BlockScanAlgorithmE1EEiLj256ELj8ELj100EEvPKT0_PS4_S4_,comdat
.Lfunc_end135:
	.size	_Z6kernelI14exclusive_scanILN6hipcub18BlockScanAlgorithmE1EEiLj256ELj8ELj100EEvPKT0_PS4_S4_, .Lfunc_end135-_Z6kernelI14exclusive_scanILN6hipcub18BlockScanAlgorithmE1EEiLj256ELj8ELj100EEvPKT0_PS4_S4_
                                        ; -- End function
	.section	.AMDGPU.csdata,"",@progbits
; Kernel info:
; codeLenInByte = 832
; NumSgprs: 18
; NumVgprs: 28
; ScratchSize: 0
; MemoryBound: 0
; FloatMode: 240
; IeeeMode: 1
; LDSByteSize: 1056 bytes/workgroup (compile time only)
; SGPRBlocks: 2
; VGPRBlocks: 3
; NumSGPRsForWavesPerEU: 18
; NumVGPRsForWavesPerEU: 28
; Occupancy: 16
; WaveLimiterHint : 0
; COMPUTE_PGM_RSRC2:SCRATCH_EN: 0
; COMPUTE_PGM_RSRC2:USER_SGPR: 15
; COMPUTE_PGM_RSRC2:TRAP_HANDLER: 0
; COMPUTE_PGM_RSRC2:TGID_X_EN: 1
; COMPUTE_PGM_RSRC2:TGID_Y_EN: 0
; COMPUTE_PGM_RSRC2:TGID_Z_EN: 0
; COMPUTE_PGM_RSRC2:TIDIG_COMP_CNT: 0
	.section	.text._Z6kernelI14exclusive_scanILN6hipcub18BlockScanAlgorithmE1EEiLj256ELj11ELj100EEvPKT0_PS4_S4_,"axG",@progbits,_Z6kernelI14exclusive_scanILN6hipcub18BlockScanAlgorithmE1EEiLj256ELj11ELj100EEvPKT0_PS4_S4_,comdat
	.protected	_Z6kernelI14exclusive_scanILN6hipcub18BlockScanAlgorithmE1EEiLj256ELj11ELj100EEvPKT0_PS4_S4_ ; -- Begin function _Z6kernelI14exclusive_scanILN6hipcub18BlockScanAlgorithmE1EEiLj256ELj11ELj100EEvPKT0_PS4_S4_
	.globl	_Z6kernelI14exclusive_scanILN6hipcub18BlockScanAlgorithmE1EEiLj256ELj11ELj100EEvPKT0_PS4_S4_
	.p2align	8
	.type	_Z6kernelI14exclusive_scanILN6hipcub18BlockScanAlgorithmE1EEiLj256ELj11ELj100EEvPKT0_PS4_S4_,@function
_Z6kernelI14exclusive_scanILN6hipcub18BlockScanAlgorithmE1EEiLj256ELj11ELj100EEvPKT0_PS4_S4_: ; @_Z6kernelI14exclusive_scanILN6hipcub18BlockScanAlgorithmE1EEiLj256ELj11ELj100EEvPKT0_PS4_S4_
; %bb.0:
	s_clause 0x2
	s_load_b32 s2, s[0:1], 0x24
	s_load_b128 s[4:7], s[0:1], 0x0
	s_load_b32 s3, s[0:1], 0x10
	v_cmp_eq_u32_e64 s0, 0, v0
	v_cmp_ne_u32_e64 s1, 0, v0
	s_waitcnt lgkmcnt(0)
	s_and_b32 s2, s2, 0xffff
	s_delay_alu instid0(SALU_CYCLE_1) | instskip(NEXT) | instid1(VALU_DEP_1)
	v_mad_u64_u32 v[1:2], null, s15, s2, v[0:1]
	v_mul_lo_u32 v21, v1, 11
	s_delay_alu instid0(VALU_DEP_1) | instskip(NEXT) | instid1(VALU_DEP_1)
	v_dual_mov_b32 v22, 0 :: v_dual_add_nc_u32 v1, 1, v21
	v_dual_mov_b32 v2, v22 :: v_dual_add_nc_u32 v3, 2, v21
	v_lshlrev_b64 v[15:16], 2, v[21:22]
	v_dual_mov_b32 v4, v22 :: v_dual_add_nc_u32 v5, 3, v21
	s_delay_alu instid0(VALU_DEP_3) | instskip(SKIP_1) | instid1(VALU_DEP_3)
	v_lshlrev_b64 v[17:18], 2, v[1:2]
	v_dual_mov_b32 v6, v22 :: v_dual_add_nc_u32 v7, 4, v21
	v_lshlrev_b64 v[13:14], 2, v[3:4]
	v_add_co_u32 v25, vcc_lo, s4, v15
	v_dual_mov_b32 v8, v22 :: v_dual_add_nc_u32 v11, 5, v21
	v_add_co_ci_u32_e32 v26, vcc_lo, s5, v16, vcc_lo
	v_lshlrev_b64 v[9:10], 2, v[5:6]
	v_add_co_u32 v27, vcc_lo, s4, v17
	v_dual_mov_b32 v12, v22 :: v_dual_add_nc_u32 v19, 6, v21
	v_add_co_ci_u32_e32 v28, vcc_lo, s5, v18, vcc_lo
	;; [unrolled: 4-line block ×4, first 2 shown]
	v_lshlrev_b64 v[1:2], 2, v[19:20]
	v_add_co_u32 v36, vcc_lo, s4, v5
	v_add_co_ci_u32_e32 v37, vcc_lo, s5, v6, vcc_lo
	v_add_co_u32 v38, vcc_lo, s4, v3
	v_lshlrev_b64 v[7:8], 2, v[23:24]
	v_add_nc_u32_e32 v19, 9, v21
	v_add_co_ci_u32_e32 v39, vcc_lo, s5, v4, vcc_lo
	v_add_co_u32 v23, vcc_lo, s4, v1
	v_lshlrev_b64 v[11:12], 2, v[11:12]
	v_add_nc_u32_e32 v21, 10, v21
	v_add_co_ci_u32_e32 v24, vcc_lo, s5, v2, vcc_lo
	v_add_co_u32 v40, vcc_lo, s4, v7
	v_lshlrev_b64 v[19:20], 2, v[19:20]
	v_add_co_ci_u32_e32 v41, vcc_lo, s5, v8, vcc_lo
	v_add_co_u32 v42, vcc_lo, s4, v11
	v_lshlrev_b64 v[21:22], 2, v[21:22]
	v_add_co_ci_u32_e32 v43, vcc_lo, s5, v12, vcc_lo
	v_add_co_u32 v44, vcc_lo, s4, v19
	v_add_co_ci_u32_e32 v45, vcc_lo, s5, v20, vcc_lo
	s_delay_alu instid0(VALU_DEP_4)
	v_add_co_u32 v46, vcc_lo, s4, v21
	v_add_co_ci_u32_e32 v47, vcc_lo, s5, v22, vcc_lo
	s_clause 0xa
	global_load_b32 v33, v[25:26], off
	global_load_b32 v32, v[27:28], off
	global_load_b32 v31, v[29:30], off
	global_load_b32 v30, v[34:35], off
	global_load_b32 v28, v[36:37], off
	global_load_b32 v27, v[38:39], off
	global_load_b32 v26, v[23:24], off
	global_load_b32 v25, v[40:41], off
	global_load_b32 v24, v[42:43], off
	global_load_b32 v23, v[44:45], off
	global_load_b32 v39, v[46:47], off
	v_add_nc_u32_e32 v35, -1, v0
	v_lshrrev_b32_e32 v29, 5, v0
	v_lshlrev_b32_e32 v36, 3, v0
	v_lshrrev_b32_e32 v37, 2, v0
	v_mbcnt_lo_u32_b32 v34, -1, 0
	v_lshrrev_b32_e32 v38, 5, v35
	v_add_lshl_u32 v29, v29, v0, 2
	v_cmp_gt_u32_e32 vcc_lo, 32, v0
	v_add_lshl_u32 v0, v37, v36, 2
	v_and_b32_e32 v36, 15, v34
	v_add_lshl_u32 v35, v38, v35, 2
	v_bfe_i32 v37, v34, 4, 1
	v_add_nc_u32_e32 v38, -1, v34
	s_movk_i32 s4, 0x64
.LBB136_1:                              ; =>This Inner Loop Header: Depth=1
	s_waitcnt vmcnt(0)
	v_add3_u32 v39, v23, v39, v24
	s_delay_alu instid0(VALU_DEP_1) | instskip(NEXT) | instid1(VALU_DEP_1)
	v_add3_u32 v39, v39, v25, v26
	v_add3_u32 v39, v39, v27, v28
	s_delay_alu instid0(VALU_DEP_1) | instskip(NEXT) | instid1(VALU_DEP_1)
	v_add3_u32 v39, v39, v30, v31
	v_add3_u32 v39, v39, v32, v33
	ds_store_b32 v29, v39
	s_waitcnt lgkmcnt(0)
	s_barrier
	buffer_gl0_inv
	s_and_saveexec_b32 s5, vcc_lo
	s_cbranch_execz .LBB136_3
; %bb.2:                                ;   in Loop: Header=BB136_1 Depth=1
	ds_load_2addr_b32 v[40:41], v0 offset1:1
	ds_load_2addr_b32 v[42:43], v0 offset0:2 offset1:3
	ds_load_2addr_b32 v[44:45], v0 offset0:4 offset1:5
	;; [unrolled: 1-line block ×3, first 2 shown]
	v_cmp_ne_u32_e64 s2, 0, v36
	s_waitcnt lgkmcnt(3)
	v_add_nc_u32_e32 v48, v41, v40
	s_waitcnt lgkmcnt(2)
	s_delay_alu instid0(VALU_DEP_1) | instskip(SKIP_1) | instid1(VALU_DEP_1)
	v_add3_u32 v48, v48, v42, v43
	s_waitcnt lgkmcnt(1)
	v_add3_u32 v48, v48, v44, v45
	s_waitcnt lgkmcnt(0)
	s_delay_alu instid0(VALU_DEP_1) | instskip(NEXT) | instid1(VALU_DEP_1)
	v_add3_u32 v48, v48, v46, v47
	v_mov_b32_dpp v49, v48 row_shr:1 row_mask:0xf bank_mask:0xf
	s_delay_alu instid0(VALU_DEP_1) | instskip(SKIP_1) | instid1(VALU_DEP_2)
	v_cndmask_b32_e64 v49, 0, v49, s2
	v_cmp_lt_u32_e64 s2, 1, v36
	v_add_nc_u32_e32 v48, v49, v48
	s_delay_alu instid0(VALU_DEP_1) | instskip(NEXT) | instid1(VALU_DEP_1)
	v_mov_b32_dpp v49, v48 row_shr:2 row_mask:0xf bank_mask:0xf
	v_cndmask_b32_e64 v49, 0, v49, s2
	v_cmp_lt_u32_e64 s2, 3, v36
	s_delay_alu instid0(VALU_DEP_2) | instskip(NEXT) | instid1(VALU_DEP_1)
	v_add_nc_u32_e32 v48, v48, v49
	v_mov_b32_dpp v49, v48 row_shr:4 row_mask:0xf bank_mask:0xf
	s_delay_alu instid0(VALU_DEP_1) | instskip(SKIP_1) | instid1(VALU_DEP_2)
	v_cndmask_b32_e64 v49, 0, v49, s2
	v_cmp_lt_u32_e64 s2, 7, v36
	v_add_nc_u32_e32 v48, v48, v49
	s_delay_alu instid0(VALU_DEP_1) | instskip(NEXT) | instid1(VALU_DEP_1)
	v_mov_b32_dpp v49, v48 row_shr:8 row_mask:0xf bank_mask:0xf
	v_cndmask_b32_e64 v49, 0, v49, s2
	v_cmp_gt_i32_e64 s2, 0, v38
	s_delay_alu instid0(VALU_DEP_2) | instskip(NEXT) | instid1(VALU_DEP_2)
	v_add_nc_u32_e32 v48, v48, v49
	v_cndmask_b32_e64 v50, v38, v34, s2
	ds_swizzle_b32 v49, v48 offset:swizzle(BROADCAST,32,15)
	s_waitcnt lgkmcnt(0)
	v_and_b32_e32 v49, v37, v49
	s_delay_alu instid0(VALU_DEP_1) | instskip(SKIP_4) | instid1(VALU_DEP_1)
	v_add_nc_u32_e32 v48, v48, v49
	v_lshlrev_b32_e32 v49, 2, v50
	ds_bpermute_b32 v48, v49, v48
	s_waitcnt lgkmcnt(0)
	v_add_nc_u32_e32 v40, v48, v40
	v_cndmask_b32_e64 v39, v40, v39, s0
	s_delay_alu instid0(VALU_DEP_1) | instskip(NEXT) | instid1(VALU_DEP_1)
	v_add_nc_u32_e32 v40, v39, v41
	v_add_nc_u32_e32 v41, v40, v42
	s_delay_alu instid0(VALU_DEP_1) | instskip(NEXT) | instid1(VALU_DEP_1)
	v_add_nc_u32_e32 v42, v41, v43
	v_add_nc_u32_e32 v43, v42, v44
	;; [unrolled: 3-line block ×3, first 2 shown]
	s_delay_alu instid0(VALU_DEP_1)
	v_add_nc_u32_e32 v46, v45, v47
	ds_store_2addr_b32 v0, v39, v40 offset1:1
	ds_store_2addr_b32 v0, v41, v42 offset0:2 offset1:3
	ds_store_2addr_b32 v0, v43, v44 offset0:4 offset1:5
	;; [unrolled: 1-line block ×3, first 2 shown]
.LBB136_3:                              ;   in Loop: Header=BB136_1 Depth=1
	s_or_b32 exec_lo, exec_lo, s5
	v_mov_b32_e32 v40, s3
	s_waitcnt lgkmcnt(0)
	s_barrier
	buffer_gl0_inv
	s_and_saveexec_b32 s2, s1
	s_cbranch_execz .LBB136_5
; %bb.4:                                ;   in Loop: Header=BB136_1 Depth=1
	ds_load_b32 v39, v35
	s_waitcnt lgkmcnt(0)
	v_add_nc_u32_e32 v40, s3, v39
.LBB136_5:                              ;   in Loop: Header=BB136_1 Depth=1
	s_or_b32 exec_lo, exec_lo, s2
	s_delay_alu instid0(VALU_DEP_1) | instskip(SKIP_1) | instid1(SALU_CYCLE_1)
	v_add_nc_u32_e32 v33, v40, v33
	s_add_i32 s4, s4, -1
	s_cmp_lg_u32 s4, 0
	s_delay_alu instid0(VALU_DEP_1) | instskip(NEXT) | instid1(VALU_DEP_1)
	v_add_nc_u32_e32 v32, v33, v32
	v_add_nc_u32_e32 v31, v32, v31
	s_delay_alu instid0(VALU_DEP_1) | instskip(NEXT) | instid1(VALU_DEP_1)
	v_add_nc_u32_e32 v30, v31, v30
	v_add_nc_u32_e32 v28, v30, v28
	;; [unrolled: 3-line block ×4, first 2 shown]
	s_delay_alu instid0(VALU_DEP_1)
	v_add_nc_u32_e32 v39, v24, v23
	s_cbranch_scc0 .LBB136_7
; %bb.6:                                ;   in Loop: Header=BB136_1 Depth=1
	v_dual_mov_b32 v23, v24 :: v_dual_mov_b32 v24, v25
	v_dual_mov_b32 v25, v26 :: v_dual_mov_b32 v26, v27
	;; [unrolled: 1-line block ×5, first 2 shown]
	s_branch .LBB136_1
.LBB136_7:
	v_add_co_u32 v15, vcc_lo, s6, v15
	v_add_co_ci_u32_e32 v16, vcc_lo, s7, v16, vcc_lo
	v_add_co_u32 v17, vcc_lo, s6, v17
	v_add_co_ci_u32_e32 v18, vcc_lo, s7, v18, vcc_lo
	;; [unrolled: 2-line block ×11, first 2 shown]
	s_clause 0xa
	global_store_b32 v[15:16], v40, off
	global_store_b32 v[17:18], v33, off
	;; [unrolled: 1-line block ×11, first 2 shown]
	s_nop 0
	s_sendmsg sendmsg(MSG_DEALLOC_VGPRS)
	s_endpgm
	.section	.rodata,"a",@progbits
	.p2align	6, 0x0
	.amdhsa_kernel _Z6kernelI14exclusive_scanILN6hipcub18BlockScanAlgorithmE1EEiLj256ELj11ELj100EEvPKT0_PS4_S4_
		.amdhsa_group_segment_fixed_size 1056
		.amdhsa_private_segment_fixed_size 0
		.amdhsa_kernarg_size 280
		.amdhsa_user_sgpr_count 15
		.amdhsa_user_sgpr_dispatch_ptr 0
		.amdhsa_user_sgpr_queue_ptr 0
		.amdhsa_user_sgpr_kernarg_segment_ptr 1
		.amdhsa_user_sgpr_dispatch_id 0
		.amdhsa_user_sgpr_private_segment_size 0
		.amdhsa_wavefront_size32 1
		.amdhsa_uses_dynamic_stack 0
		.amdhsa_enable_private_segment 0
		.amdhsa_system_sgpr_workgroup_id_x 1
		.amdhsa_system_sgpr_workgroup_id_y 0
		.amdhsa_system_sgpr_workgroup_id_z 0
		.amdhsa_system_sgpr_workgroup_info 0
		.amdhsa_system_vgpr_workitem_id 0
		.amdhsa_next_free_vgpr 51
		.amdhsa_next_free_sgpr 16
		.amdhsa_reserve_vcc 1
		.amdhsa_float_round_mode_32 0
		.amdhsa_float_round_mode_16_64 0
		.amdhsa_float_denorm_mode_32 3
		.amdhsa_float_denorm_mode_16_64 3
		.amdhsa_dx10_clamp 1
		.amdhsa_ieee_mode 1
		.amdhsa_fp16_overflow 0
		.amdhsa_workgroup_processor_mode 1
		.amdhsa_memory_ordered 1
		.amdhsa_forward_progress 0
		.amdhsa_shared_vgpr_count 0
		.amdhsa_exception_fp_ieee_invalid_op 0
		.amdhsa_exception_fp_denorm_src 0
		.amdhsa_exception_fp_ieee_div_zero 0
		.amdhsa_exception_fp_ieee_overflow 0
		.amdhsa_exception_fp_ieee_underflow 0
		.amdhsa_exception_fp_ieee_inexact 0
		.amdhsa_exception_int_div_zero 0
	.end_amdhsa_kernel
	.section	.text._Z6kernelI14exclusive_scanILN6hipcub18BlockScanAlgorithmE1EEiLj256ELj11ELj100EEvPKT0_PS4_S4_,"axG",@progbits,_Z6kernelI14exclusive_scanILN6hipcub18BlockScanAlgorithmE1EEiLj256ELj11ELj100EEvPKT0_PS4_S4_,comdat
.Lfunc_end136:
	.size	_Z6kernelI14exclusive_scanILN6hipcub18BlockScanAlgorithmE1EEiLj256ELj11ELj100EEvPKT0_PS4_S4_, .Lfunc_end136-_Z6kernelI14exclusive_scanILN6hipcub18BlockScanAlgorithmE1EEiLj256ELj11ELj100EEvPKT0_PS4_S4_
                                        ; -- End function
	.section	.AMDGPU.csdata,"",@progbits
; Kernel info:
; codeLenInByte = 1404
; NumSgprs: 18
; NumVgprs: 51
; ScratchSize: 0
; MemoryBound: 0
; FloatMode: 240
; IeeeMode: 1
; LDSByteSize: 1056 bytes/workgroup (compile time only)
; SGPRBlocks: 2
; VGPRBlocks: 6
; NumSGPRsForWavesPerEU: 18
; NumVGPRsForWavesPerEU: 51
; Occupancy: 16
; WaveLimiterHint : 0
; COMPUTE_PGM_RSRC2:SCRATCH_EN: 0
; COMPUTE_PGM_RSRC2:USER_SGPR: 15
; COMPUTE_PGM_RSRC2:TRAP_HANDLER: 0
; COMPUTE_PGM_RSRC2:TGID_X_EN: 1
; COMPUTE_PGM_RSRC2:TGID_Y_EN: 0
; COMPUTE_PGM_RSRC2:TGID_Z_EN: 0
; COMPUTE_PGM_RSRC2:TIDIG_COMP_CNT: 0
	.section	.text._Z6kernelI14exclusive_scanILN6hipcub18BlockScanAlgorithmE1EEiLj256ELj16ELj100EEvPKT0_PS4_S4_,"axG",@progbits,_Z6kernelI14exclusive_scanILN6hipcub18BlockScanAlgorithmE1EEiLj256ELj16ELj100EEvPKT0_PS4_S4_,comdat
	.protected	_Z6kernelI14exclusive_scanILN6hipcub18BlockScanAlgorithmE1EEiLj256ELj16ELj100EEvPKT0_PS4_S4_ ; -- Begin function _Z6kernelI14exclusive_scanILN6hipcub18BlockScanAlgorithmE1EEiLj256ELj16ELj100EEvPKT0_PS4_S4_
	.globl	_Z6kernelI14exclusive_scanILN6hipcub18BlockScanAlgorithmE1EEiLj256ELj16ELj100EEvPKT0_PS4_S4_
	.p2align	8
	.type	_Z6kernelI14exclusive_scanILN6hipcub18BlockScanAlgorithmE1EEiLj256ELj16ELj100EEvPKT0_PS4_S4_,@function
_Z6kernelI14exclusive_scanILN6hipcub18BlockScanAlgorithmE1EEiLj256ELj16ELj100EEvPKT0_PS4_S4_: ; @_Z6kernelI14exclusive_scanILN6hipcub18BlockScanAlgorithmE1EEiLj256ELj16ELj100EEvPKT0_PS4_S4_
; %bb.0:
	s_clause 0x1
	s_load_b32 s2, s[0:1], 0x24
	s_load_b128 s[4:7], s[0:1], 0x0
	v_mov_b32_e32 v2, 0
	v_lshrrev_b32_e32 v17, 5, v0
	s_load_b32 s3, s[0:1], 0x10
	v_add_nc_u32_e32 v18, -1, v0
	v_lshrrev_b32_e32 v19, 2, v0
	v_mbcnt_lo_u32_b32 v24, -1, 0
	v_add_lshl_u32 v23, v17, v0, 2
	v_lshlrev_b32_e32 v17, 3, v0
	v_lshrrev_b32_e32 v20, 5, v18
	v_cmp_eq_u32_e64 s0, 0, v0
	v_cmp_ne_u32_e64 s1, 0, v0
	v_and_b32_e32 v27, 15, v24
	v_add_lshl_u32 v25, v19, v17, 2
	v_add_lshl_u32 v26, v20, v18, 2
	v_bfe_i32 v28, v24, 4, 1
	v_add_nc_u32_e32 v29, -1, v24
	s_waitcnt lgkmcnt(0)
	s_and_b32 s2, s2, 0xffff
	s_delay_alu instid0(SALU_CYCLE_1) | instskip(NEXT) | instid1(SALU_CYCLE_1)
	s_mul_i32 s15, s15, s2
	v_add_lshl_u32 v1, s15, v0, 4
	s_delay_alu instid0(VALU_DEP_1) | instskip(NEXT) | instid1(VALU_DEP_1)
	v_lshlrev_b64 v[21:22], 2, v[1:2]
	v_add_co_u32 v1, vcc_lo, s4, v21
	s_delay_alu instid0(VALU_DEP_2)
	v_add_co_ci_u32_e32 v2, vcc_lo, s5, v22, vcc_lo
	v_cmp_gt_u32_e32 vcc_lo, 32, v0
	s_movk_i32 s4, 0x64
	s_clause 0x3
	global_load_b128 v[13:16], v[1:2], off
	global_load_b128 v[9:12], v[1:2], off offset:16
	global_load_b128 v[5:8], v[1:2], off offset:32
	;; [unrolled: 1-line block ×3, first 2 shown]
.LBB137_1:                              ; =>This Inner Loop Header: Depth=1
	s_waitcnt vmcnt(0)
	v_add_nc_u32_e32 v0, v3, v4
	s_delay_alu instid0(VALU_DEP_1) | instskip(NEXT) | instid1(VALU_DEP_1)
	v_add3_u32 v0, v0, v2, v1
	v_add3_u32 v0, v0, v8, v7
	s_delay_alu instid0(VALU_DEP_1) | instskip(NEXT) | instid1(VALU_DEP_1)
	v_add3_u32 v0, v0, v6, v5
	v_add3_u32 v0, v0, v12, v11
	;; [unrolled: 3-line block ×3, first 2 shown]
	s_delay_alu instid0(VALU_DEP_1)
	v_add3_u32 v0, v0, v14, v13
	ds_store_b32 v23, v0
	s_waitcnt lgkmcnt(0)
	s_barrier
	buffer_gl0_inv
	s_and_saveexec_b32 s5, vcc_lo
	s_cbranch_execz .LBB137_3
; %bb.2:                                ;   in Loop: Header=BB137_1 Depth=1
	ds_load_2addr_b32 v[17:18], v25 offset1:1
	ds_load_2addr_b32 v[19:20], v25 offset0:2 offset1:3
	ds_load_2addr_b32 v[30:31], v25 offset0:4 offset1:5
	;; [unrolled: 1-line block ×3, first 2 shown]
	v_cmp_ne_u32_e64 s2, 0, v27
	s_waitcnt lgkmcnt(3)
	v_add_nc_u32_e32 v4, v18, v17
	s_waitcnt lgkmcnt(2)
	s_delay_alu instid0(VALU_DEP_1) | instskip(SKIP_1) | instid1(VALU_DEP_1)
	v_add3_u32 v4, v4, v19, v20
	s_waitcnt lgkmcnt(1)
	v_add3_u32 v4, v4, v30, v31
	s_waitcnt lgkmcnt(0)
	s_delay_alu instid0(VALU_DEP_1) | instskip(NEXT) | instid1(VALU_DEP_1)
	v_add3_u32 v4, v4, v32, v33
	v_mov_b32_dpp v34, v4 row_shr:1 row_mask:0xf bank_mask:0xf
	s_delay_alu instid0(VALU_DEP_1) | instskip(SKIP_1) | instid1(VALU_DEP_2)
	v_cndmask_b32_e64 v34, 0, v34, s2
	v_cmp_lt_u32_e64 s2, 1, v27
	v_add_nc_u32_e32 v4, v34, v4
	s_delay_alu instid0(VALU_DEP_1) | instskip(NEXT) | instid1(VALU_DEP_1)
	v_mov_b32_dpp v34, v4 row_shr:2 row_mask:0xf bank_mask:0xf
	v_cndmask_b32_e64 v34, 0, v34, s2
	v_cmp_lt_u32_e64 s2, 3, v27
	s_delay_alu instid0(VALU_DEP_2) | instskip(NEXT) | instid1(VALU_DEP_1)
	v_add_nc_u32_e32 v4, v4, v34
	v_mov_b32_dpp v34, v4 row_shr:4 row_mask:0xf bank_mask:0xf
	s_delay_alu instid0(VALU_DEP_1) | instskip(SKIP_1) | instid1(VALU_DEP_2)
	v_cndmask_b32_e64 v34, 0, v34, s2
	v_cmp_lt_u32_e64 s2, 7, v27
	v_add_nc_u32_e32 v4, v4, v34
	s_delay_alu instid0(VALU_DEP_1) | instskip(NEXT) | instid1(VALU_DEP_1)
	v_mov_b32_dpp v34, v4 row_shr:8 row_mask:0xf bank_mask:0xf
	v_cndmask_b32_e64 v34, 0, v34, s2
	v_cmp_gt_i32_e64 s2, 0, v29
	s_delay_alu instid0(VALU_DEP_2) | instskip(NEXT) | instid1(VALU_DEP_2)
	v_add_nc_u32_e32 v4, v4, v34
	v_cndmask_b32_e64 v35, v29, v24, s2
	ds_swizzle_b32 v34, v4 offset:swizzle(BROADCAST,32,15)
	s_waitcnt lgkmcnt(0)
	v_and_b32_e32 v34, v28, v34
	s_delay_alu instid0(VALU_DEP_1) | instskip(SKIP_4) | instid1(VALU_DEP_1)
	v_add_nc_u32_e32 v4, v4, v34
	v_lshlrev_b32_e32 v34, 2, v35
	ds_bpermute_b32 v4, v34, v4
	s_waitcnt lgkmcnt(0)
	v_add_nc_u32_e32 v4, v4, v17
	v_cndmask_b32_e64 v0, v4, v0, s0
	s_delay_alu instid0(VALU_DEP_1) | instskip(NEXT) | instid1(VALU_DEP_1)
	v_add_nc_u32_e32 v4, v0, v18
	v_add_nc_u32_e32 v17, v4, v19
	s_delay_alu instid0(VALU_DEP_1) | instskip(NEXT) | instid1(VALU_DEP_1)
	v_add_nc_u32_e32 v18, v17, v20
	v_add_nc_u32_e32 v19, v18, v30
	;; [unrolled: 3-line block ×3, first 2 shown]
	s_delay_alu instid0(VALU_DEP_1)
	v_add_nc_u32_e32 v31, v30, v33
	ds_store_2addr_b32 v25, v0, v4 offset1:1
	ds_store_2addr_b32 v25, v17, v18 offset0:2 offset1:3
	ds_store_2addr_b32 v25, v19, v20 offset0:4 offset1:5
	;; [unrolled: 1-line block ×3, first 2 shown]
.LBB137_3:                              ;   in Loop: Header=BB137_1 Depth=1
	s_or_b32 exec_lo, exec_lo, s5
	v_mov_b32_e32 v17, s3
	s_waitcnt lgkmcnt(0)
	s_barrier
	buffer_gl0_inv
	s_and_saveexec_b32 s2, s1
	s_cbranch_execz .LBB137_5
; %bb.4:                                ;   in Loop: Header=BB137_1 Depth=1
	ds_load_b32 v0, v26
	s_waitcnt lgkmcnt(0)
	v_add_nc_u32_e32 v17, s3, v0
.LBB137_5:                              ;   in Loop: Header=BB137_1 Depth=1
	s_or_b32 exec_lo, exec_lo, s2
	s_delay_alu instid0(VALU_DEP_1) | instskip(SKIP_1) | instid1(SALU_CYCLE_1)
	v_add_nc_u32_e32 v18, v17, v13
	s_add_i32 s4, s4, -1
	s_cmp_lg_u32 s4, 0
	s_delay_alu instid0(VALU_DEP_1) | instskip(NEXT) | instid1(VALU_DEP_1)
	v_add_nc_u32_e32 v19, v18, v14
	v_add_nc_u32_e32 v20, v19, v15
	s_delay_alu instid0(VALU_DEP_1) | instskip(NEXT) | instid1(VALU_DEP_1)
	v_add_nc_u32_e32 v13, v20, v16
	v_add_nc_u32_e32 v14, v13, v9
	;; [unrolled: 3-line block ×7, first 2 shown]
	s_cbranch_scc0 .LBB137_7
; %bb.6:                                ;   in Loop: Header=BB137_1 Depth=1
	v_dual_mov_b32 v3, v2 :: v_dual_mov_b32 v2, v1
	v_dual_mov_b32 v1, v0 :: v_dual_mov_b32 v6, v10
	v_dual_mov_b32 v8, v12 :: v_dual_mov_b32 v7, v11
	v_dual_mov_b32 v5, v9 :: v_dual_mov_b32 v12, v16
	v_dual_mov_b32 v11, v15 :: v_dual_mov_b32 v10, v14
	v_dual_mov_b32 v9, v13 :: v_dual_mov_b32 v16, v20
	v_dual_mov_b32 v15, v19 :: v_dual_mov_b32 v14, v18
	v_mov_b32_e32 v13, v17
	s_branch .LBB137_1
.LBB137_7:
	v_add_co_u32 v5, vcc_lo, s6, v21
	v_add_co_ci_u32_e32 v6, vcc_lo, s7, v22, vcc_lo
	s_delay_alu instid0(VALU_DEP_3)
	v_mov_b32_e32 v3, v4
	s_clause 0x3
	global_store_b128 v[5:6], v[17:20], off
	global_store_b128 v[5:6], v[13:16], off offset:16
	global_store_b128 v[5:6], v[9:12], off offset:32
	;; [unrolled: 1-line block ×3, first 2 shown]
	s_nop 0
	s_sendmsg sendmsg(MSG_DEALLOC_VGPRS)
	s_endpgm
	.section	.rodata,"a",@progbits
	.p2align	6, 0x0
	.amdhsa_kernel _Z6kernelI14exclusive_scanILN6hipcub18BlockScanAlgorithmE1EEiLj256ELj16ELj100EEvPKT0_PS4_S4_
		.amdhsa_group_segment_fixed_size 1056
		.amdhsa_private_segment_fixed_size 0
		.amdhsa_kernarg_size 280
		.amdhsa_user_sgpr_count 15
		.amdhsa_user_sgpr_dispatch_ptr 0
		.amdhsa_user_sgpr_queue_ptr 0
		.amdhsa_user_sgpr_kernarg_segment_ptr 1
		.amdhsa_user_sgpr_dispatch_id 0
		.amdhsa_user_sgpr_private_segment_size 0
		.amdhsa_wavefront_size32 1
		.amdhsa_uses_dynamic_stack 0
		.amdhsa_enable_private_segment 0
		.amdhsa_system_sgpr_workgroup_id_x 1
		.amdhsa_system_sgpr_workgroup_id_y 0
		.amdhsa_system_sgpr_workgroup_id_z 0
		.amdhsa_system_sgpr_workgroup_info 0
		.amdhsa_system_vgpr_workitem_id 0
		.amdhsa_next_free_vgpr 36
		.amdhsa_next_free_sgpr 16
		.amdhsa_reserve_vcc 1
		.amdhsa_float_round_mode_32 0
		.amdhsa_float_round_mode_16_64 0
		.amdhsa_float_denorm_mode_32 3
		.amdhsa_float_denorm_mode_16_64 3
		.amdhsa_dx10_clamp 1
		.amdhsa_ieee_mode 1
		.amdhsa_fp16_overflow 0
		.amdhsa_workgroup_processor_mode 1
		.amdhsa_memory_ordered 1
		.amdhsa_forward_progress 0
		.amdhsa_shared_vgpr_count 0
		.amdhsa_exception_fp_ieee_invalid_op 0
		.amdhsa_exception_fp_denorm_src 0
		.amdhsa_exception_fp_ieee_div_zero 0
		.amdhsa_exception_fp_ieee_overflow 0
		.amdhsa_exception_fp_ieee_underflow 0
		.amdhsa_exception_fp_ieee_inexact 0
		.amdhsa_exception_int_div_zero 0
	.end_amdhsa_kernel
	.section	.text._Z6kernelI14exclusive_scanILN6hipcub18BlockScanAlgorithmE1EEiLj256ELj16ELj100EEvPKT0_PS4_S4_,"axG",@progbits,_Z6kernelI14exclusive_scanILN6hipcub18BlockScanAlgorithmE1EEiLj256ELj16ELj100EEvPKT0_PS4_S4_,comdat
.Lfunc_end137:
	.size	_Z6kernelI14exclusive_scanILN6hipcub18BlockScanAlgorithmE1EEiLj256ELj16ELj100EEvPKT0_PS4_S4_, .Lfunc_end137-_Z6kernelI14exclusive_scanILN6hipcub18BlockScanAlgorithmE1EEiLj256ELj16ELj100EEvPKT0_PS4_S4_
                                        ; -- End function
	.section	.AMDGPU.csdata,"",@progbits
; Kernel info:
; codeLenInByte = 980
; NumSgprs: 18
; NumVgprs: 36
; ScratchSize: 0
; MemoryBound: 0
; FloatMode: 240
; IeeeMode: 1
; LDSByteSize: 1056 bytes/workgroup (compile time only)
; SGPRBlocks: 2
; VGPRBlocks: 4
; NumSGPRsForWavesPerEU: 18
; NumVGPRsForWavesPerEU: 36
; Occupancy: 16
; WaveLimiterHint : 0
; COMPUTE_PGM_RSRC2:SCRATCH_EN: 0
; COMPUTE_PGM_RSRC2:USER_SGPR: 15
; COMPUTE_PGM_RSRC2:TRAP_HANDLER: 0
; COMPUTE_PGM_RSRC2:TGID_X_EN: 1
; COMPUTE_PGM_RSRC2:TGID_Y_EN: 0
; COMPUTE_PGM_RSRC2:TGID_Z_EN: 0
; COMPUTE_PGM_RSRC2:TIDIG_COMP_CNT: 0
	.section	.text._Z6kernelI14exclusive_scanILN6hipcub18BlockScanAlgorithmE1EEfLj256ELj1ELj100EEvPKT0_PS4_S4_,"axG",@progbits,_Z6kernelI14exclusive_scanILN6hipcub18BlockScanAlgorithmE1EEfLj256ELj1ELj100EEvPKT0_PS4_S4_,comdat
	.protected	_Z6kernelI14exclusive_scanILN6hipcub18BlockScanAlgorithmE1EEfLj256ELj1ELj100EEvPKT0_PS4_S4_ ; -- Begin function _Z6kernelI14exclusive_scanILN6hipcub18BlockScanAlgorithmE1EEfLj256ELj1ELj100EEvPKT0_PS4_S4_
	.globl	_Z6kernelI14exclusive_scanILN6hipcub18BlockScanAlgorithmE1EEfLj256ELj1ELj100EEvPKT0_PS4_S4_
	.p2align	8
	.type	_Z6kernelI14exclusive_scanILN6hipcub18BlockScanAlgorithmE1EEfLj256ELj1ELj100EEvPKT0_PS4_S4_,@function
_Z6kernelI14exclusive_scanILN6hipcub18BlockScanAlgorithmE1EEfLj256ELj1ELj100EEvPKT0_PS4_S4_: ; @_Z6kernelI14exclusive_scanILN6hipcub18BlockScanAlgorithmE1EEfLj256ELj1ELj100EEvPKT0_PS4_S4_
; %bb.0:
	s_clause 0x2
	s_load_b32 s2, s[0:1], 0x24
	s_load_b128 s[4:7], s[0:1], 0x0
	s_load_b32 s3, s[0:1], 0x10
	v_add_nc_u32_e32 v6, -1, v0
	v_lshrrev_b32_e32 v8, 2, v0
	v_cmp_eq_u32_e64 s0, 0, v0
	v_cmp_ne_u32_e64 s1, 0, v0
	v_lshlrev_b32_e32 v7, 3, v0
	v_lshrrev_b32_e32 v9, 5, v6
	s_delay_alu instid0(VALU_DEP_1) | instskip(SKIP_2) | instid1(SALU_CYCLE_1)
	v_add_lshl_u32 v6, v9, v6, 2
	s_waitcnt lgkmcnt(0)
	s_and_b32 s2, s2, 0xffff
	v_mad_u64_u32 v[1:2], null, s15, s2, v[0:1]
	v_mov_b32_e32 v2, 0
	s_delay_alu instid0(VALU_DEP_1) | instskip(NEXT) | instid1(VALU_DEP_1)
	v_lshlrev_b64 v[1:2], 2, v[1:2]
	v_add_co_u32 v3, vcc_lo, s4, v1
	s_delay_alu instid0(VALU_DEP_2)
	v_add_co_ci_u32_e32 v4, vcc_lo, s5, v2, vcc_lo
	v_cmp_gt_u32_e32 vcc_lo, 32, v0
	s_movk_i32 s4, 0x64
	global_load_b32 v5, v[3:4], off
	v_lshrrev_b32_e32 v3, 5, v0
	v_mbcnt_lo_u32_b32 v4, -1, 0
	s_delay_alu instid0(VALU_DEP_2) | instskip(SKIP_1) | instid1(VALU_DEP_3)
	v_add_lshl_u32 v3, v3, v0, 2
	v_add_lshl_u32 v0, v8, v7, 2
	v_and_b32_e32 v7, 15, v4
	v_and_b32_e32 v8, 16, v4
	v_add_nc_u32_e32 v9, -1, v4
	s_branch .LBB138_2
.LBB138_1:                              ;   in Loop: Header=BB138_2 Depth=1
	s_or_b32 exec_lo, exec_lo, s2
	s_add_i32 s4, s4, -1
	s_delay_alu instid0(SALU_CYCLE_1)
	s_cmp_lg_u32 s4, 0
	s_cbranch_scc0 .LBB138_6
.LBB138_2:                              ; =>This Inner Loop Header: Depth=1
	s_waitcnt vmcnt(0)
	ds_store_b32 v3, v5
	s_waitcnt lgkmcnt(0)
	s_barrier
	buffer_gl0_inv
	s_and_saveexec_b32 s5, vcc_lo
	s_cbranch_execz .LBB138_4
; %bb.3:                                ;   in Loop: Header=BB138_2 Depth=1
	ds_load_2addr_b32 v[10:11], v0 offset1:1
	ds_load_2addr_b32 v[12:13], v0 offset0:2 offset1:3
	ds_load_2addr_b32 v[14:15], v0 offset0:4 offset1:5
	;; [unrolled: 1-line block ×3, first 2 shown]
	v_cmp_eq_u32_e64 s2, 0, v7
	s_waitcnt lgkmcnt(3)
	v_add_f32_e32 v18, v10, v11
	s_waitcnt lgkmcnt(2)
	s_delay_alu instid0(VALU_DEP_1) | instskip(NEXT) | instid1(VALU_DEP_1)
	v_add_f32_e32 v18, v18, v12
	v_add_f32_e32 v18, v18, v13
	s_waitcnt lgkmcnt(1)
	s_delay_alu instid0(VALU_DEP_1) | instskip(NEXT) | instid1(VALU_DEP_1)
	v_add_f32_e32 v18, v18, v14
	;; [unrolled: 4-line block ×3, first 2 shown]
	v_add_f32_e32 v18, v18, v17
	s_delay_alu instid0(VALU_DEP_1) | instskip(NEXT) | instid1(VALU_DEP_1)
	v_mov_b32_dpp v19, v18 row_shr:1 row_mask:0xf bank_mask:0xf
	v_add_f32_e32 v19, v18, v19
	s_delay_alu instid0(VALU_DEP_1) | instskip(SKIP_1) | instid1(VALU_DEP_2)
	v_cndmask_b32_e64 v18, v19, v18, s2
	v_cmp_lt_u32_e64 s2, 1, v7
	v_mov_b32_dpp v19, v18 row_shr:2 row_mask:0xf bank_mask:0xf
	s_delay_alu instid0(VALU_DEP_1) | instskip(NEXT) | instid1(VALU_DEP_1)
	v_add_f32_e32 v19, v18, v19
	v_cndmask_b32_e64 v18, v18, v19, s2
	v_cmp_lt_u32_e64 s2, 3, v7
	s_delay_alu instid0(VALU_DEP_2) | instskip(NEXT) | instid1(VALU_DEP_1)
	v_mov_b32_dpp v19, v18 row_shr:4 row_mask:0xf bank_mask:0xf
	v_add_f32_e32 v19, v18, v19
	s_delay_alu instid0(VALU_DEP_1) | instskip(SKIP_1) | instid1(VALU_DEP_2)
	v_cndmask_b32_e64 v18, v18, v19, s2
	v_cmp_lt_u32_e64 s2, 7, v7
	v_mov_b32_dpp v19, v18 row_shr:8 row_mask:0xf bank_mask:0xf
	s_delay_alu instid0(VALU_DEP_1) | instskip(NEXT) | instid1(VALU_DEP_1)
	v_add_f32_e32 v19, v18, v19
	v_cndmask_b32_e64 v18, v18, v19, s2
	v_cmp_gt_i32_e64 s2, 0, v9
	ds_swizzle_b32 v19, v18 offset:swizzle(BROADCAST,32,15)
	v_cndmask_b32_e64 v20, v9, v4, s2
	v_cmp_eq_u32_e64 s2, 0, v8
	s_waitcnt lgkmcnt(0)
	v_add_f32_e32 v19, v18, v19
	s_delay_alu instid0(VALU_DEP_1) | instskip(SKIP_4) | instid1(VALU_DEP_1)
	v_cndmask_b32_e64 v18, v19, v18, s2
	v_lshlrev_b32_e32 v19, 2, v20
	ds_bpermute_b32 v18, v19, v18
	s_waitcnt lgkmcnt(0)
	v_add_f32_e32 v10, v10, v18
	v_cndmask_b32_e64 v5, v10, v5, s0
	s_delay_alu instid0(VALU_DEP_1) | instskip(NEXT) | instid1(VALU_DEP_1)
	v_add_f32_e32 v10, v11, v5
	v_add_f32_e32 v11, v12, v10
	s_delay_alu instid0(VALU_DEP_1) | instskip(NEXT) | instid1(VALU_DEP_1)
	v_add_f32_e32 v12, v13, v11
	v_add_f32_e32 v13, v14, v12
	;; [unrolled: 3-line block ×3, first 2 shown]
	s_delay_alu instid0(VALU_DEP_1)
	v_add_f32_e32 v16, v17, v15
	ds_store_2addr_b32 v0, v5, v10 offset1:1
	ds_store_2addr_b32 v0, v11, v12 offset0:2 offset1:3
	ds_store_2addr_b32 v0, v13, v14 offset0:4 offset1:5
	;; [unrolled: 1-line block ×3, first 2 shown]
.LBB138_4:                              ;   in Loop: Header=BB138_2 Depth=1
	s_or_b32 exec_lo, exec_lo, s5
	v_mov_b32_e32 v5, s3
	s_waitcnt lgkmcnt(0)
	s_barrier
	buffer_gl0_inv
	s_and_saveexec_b32 s2, s1
	s_cbranch_execz .LBB138_1
; %bb.5:                                ;   in Loop: Header=BB138_2 Depth=1
	ds_load_b32 v5, v6
	s_waitcnt lgkmcnt(0)
	v_add_f32_e32 v5, s3, v5
	s_branch .LBB138_1
.LBB138_6:
	v_add_co_u32 v0, vcc_lo, s6, v1
	v_add_co_ci_u32_e32 v1, vcc_lo, s7, v2, vcc_lo
	global_store_b32 v[0:1], v5, off
	s_nop 0
	s_sendmsg sendmsg(MSG_DEALLOC_VGPRS)
	s_endpgm
	.section	.rodata,"a",@progbits
	.p2align	6, 0x0
	.amdhsa_kernel _Z6kernelI14exclusive_scanILN6hipcub18BlockScanAlgorithmE1EEfLj256ELj1ELj100EEvPKT0_PS4_S4_
		.amdhsa_group_segment_fixed_size 1056
		.amdhsa_private_segment_fixed_size 0
		.amdhsa_kernarg_size 280
		.amdhsa_user_sgpr_count 15
		.amdhsa_user_sgpr_dispatch_ptr 0
		.amdhsa_user_sgpr_queue_ptr 0
		.amdhsa_user_sgpr_kernarg_segment_ptr 1
		.amdhsa_user_sgpr_dispatch_id 0
		.amdhsa_user_sgpr_private_segment_size 0
		.amdhsa_wavefront_size32 1
		.amdhsa_uses_dynamic_stack 0
		.amdhsa_enable_private_segment 0
		.amdhsa_system_sgpr_workgroup_id_x 1
		.amdhsa_system_sgpr_workgroup_id_y 0
		.amdhsa_system_sgpr_workgroup_id_z 0
		.amdhsa_system_sgpr_workgroup_info 0
		.amdhsa_system_vgpr_workitem_id 0
		.amdhsa_next_free_vgpr 21
		.amdhsa_next_free_sgpr 16
		.amdhsa_reserve_vcc 1
		.amdhsa_float_round_mode_32 0
		.amdhsa_float_round_mode_16_64 0
		.amdhsa_float_denorm_mode_32 3
		.amdhsa_float_denorm_mode_16_64 3
		.amdhsa_dx10_clamp 1
		.amdhsa_ieee_mode 1
		.amdhsa_fp16_overflow 0
		.amdhsa_workgroup_processor_mode 1
		.amdhsa_memory_ordered 1
		.amdhsa_forward_progress 0
		.amdhsa_shared_vgpr_count 0
		.amdhsa_exception_fp_ieee_invalid_op 0
		.amdhsa_exception_fp_denorm_src 0
		.amdhsa_exception_fp_ieee_div_zero 0
		.amdhsa_exception_fp_ieee_overflow 0
		.amdhsa_exception_fp_ieee_underflow 0
		.amdhsa_exception_fp_ieee_inexact 0
		.amdhsa_exception_int_div_zero 0
	.end_amdhsa_kernel
	.section	.text._Z6kernelI14exclusive_scanILN6hipcub18BlockScanAlgorithmE1EEfLj256ELj1ELj100EEvPKT0_PS4_S4_,"axG",@progbits,_Z6kernelI14exclusive_scanILN6hipcub18BlockScanAlgorithmE1EEfLj256ELj1ELj100EEvPKT0_PS4_S4_,comdat
.Lfunc_end138:
	.size	_Z6kernelI14exclusive_scanILN6hipcub18BlockScanAlgorithmE1EEfLj256ELj1ELj100EEvPKT0_PS4_S4_, .Lfunc_end138-_Z6kernelI14exclusive_scanILN6hipcub18BlockScanAlgorithmE1EEfLj256ELj1ELj100EEvPKT0_PS4_S4_
                                        ; -- End function
	.section	.AMDGPU.csdata,"",@progbits
; Kernel info:
; codeLenInByte = 708
; NumSgprs: 18
; NumVgprs: 21
; ScratchSize: 0
; MemoryBound: 0
; FloatMode: 240
; IeeeMode: 1
; LDSByteSize: 1056 bytes/workgroup (compile time only)
; SGPRBlocks: 2
; VGPRBlocks: 2
; NumSGPRsForWavesPerEU: 18
; NumVGPRsForWavesPerEU: 21
; Occupancy: 16
; WaveLimiterHint : 0
; COMPUTE_PGM_RSRC2:SCRATCH_EN: 0
; COMPUTE_PGM_RSRC2:USER_SGPR: 15
; COMPUTE_PGM_RSRC2:TRAP_HANDLER: 0
; COMPUTE_PGM_RSRC2:TGID_X_EN: 1
; COMPUTE_PGM_RSRC2:TGID_Y_EN: 0
; COMPUTE_PGM_RSRC2:TGID_Z_EN: 0
; COMPUTE_PGM_RSRC2:TIDIG_COMP_CNT: 0
	.section	.text._Z6kernelI14exclusive_scanILN6hipcub18BlockScanAlgorithmE1EEfLj256ELj3ELj100EEvPKT0_PS4_S4_,"axG",@progbits,_Z6kernelI14exclusive_scanILN6hipcub18BlockScanAlgorithmE1EEfLj256ELj3ELj100EEvPKT0_PS4_S4_,comdat
	.protected	_Z6kernelI14exclusive_scanILN6hipcub18BlockScanAlgorithmE1EEfLj256ELj3ELj100EEvPKT0_PS4_S4_ ; -- Begin function _Z6kernelI14exclusive_scanILN6hipcub18BlockScanAlgorithmE1EEfLj256ELj3ELj100EEvPKT0_PS4_S4_
	.globl	_Z6kernelI14exclusive_scanILN6hipcub18BlockScanAlgorithmE1EEfLj256ELj3ELj100EEvPKT0_PS4_S4_
	.p2align	8
	.type	_Z6kernelI14exclusive_scanILN6hipcub18BlockScanAlgorithmE1EEfLj256ELj3ELj100EEvPKT0_PS4_S4_,@function
_Z6kernelI14exclusive_scanILN6hipcub18BlockScanAlgorithmE1EEfLj256ELj3ELj100EEvPKT0_PS4_S4_: ; @_Z6kernelI14exclusive_scanILN6hipcub18BlockScanAlgorithmE1EEfLj256ELj3ELj100EEvPKT0_PS4_S4_
; %bb.0:
	s_clause 0x2
	s_load_b32 s2, s[0:1], 0x24
	s_load_b32 s3, s[0:1], 0x10
	s_load_b128 s[4:7], s[0:1], 0x0
	v_lshrrev_b32_e32 v13, 2, v0
	v_cmp_eq_u32_e64 s0, 0, v0
	v_cmp_ne_u32_e64 s1, 0, v0
	s_waitcnt lgkmcnt(0)
	s_and_b32 s2, s2, 0xffff
	s_delay_alu instid0(SALU_CYCLE_1) | instskip(NEXT) | instid1(VALU_DEP_1)
	v_mad_u64_u32 v[1:2], null, s15, s2, v[0:1]
	v_lshl_add_u32 v3, v1, 1, v1
	s_delay_alu instid0(VALU_DEP_1) | instskip(NEXT) | instid1(VALU_DEP_1)
	v_dual_mov_b32 v4, 0 :: v_dual_add_nc_u32 v5, 1, v3
	v_mov_b32_e32 v6, v4
	v_lshlrev_b64 v[1:2], 2, v[3:4]
	v_add_nc_u32_e32 v3, 2, v3
	s_delay_alu instid0(VALU_DEP_3) | instskip(NEXT) | instid1(VALU_DEP_2)
	v_lshlrev_b64 v[5:6], 2, v[5:6]
	v_lshlrev_b64 v[3:4], 2, v[3:4]
	s_delay_alu instid0(VALU_DEP_4) | instskip(SKIP_1) | instid1(VALU_DEP_4)
	v_add_co_u32 v7, vcc_lo, s4, v1
	v_add_co_ci_u32_e32 v8, vcc_lo, s5, v2, vcc_lo
	v_add_co_u32 v9, vcc_lo, s4, v5
	v_add_co_ci_u32_e32 v10, vcc_lo, s5, v6, vcc_lo
	;; [unrolled: 2-line block ×3, first 2 shown]
	s_clause 0x2
	global_load_b32 v7, v[7:8], off
	global_load_b32 v8, v[9:10], off
	;; [unrolled: 1-line block ×3, first 2 shown]
	v_add_nc_u32_e32 v11, -1, v0
	v_lshrrev_b32_e32 v9, 5, v0
	v_lshlrev_b32_e32 v12, 3, v0
	v_mbcnt_lo_u32_b32 v10, -1, 0
	v_cmp_gt_u32_e32 vcc_lo, 32, v0
	v_lshrrev_b32_e32 v14, 5, v11
	v_add_lshl_u32 v9, v9, v0, 2
	v_add_lshl_u32 v0, v13, v12, 2
	v_and_b32_e32 v12, 15, v10
	v_and_b32_e32 v13, 16, v10
	v_add_lshl_u32 v11, v14, v11, 2
	v_add_nc_u32_e32 v14, -1, v10
	s_movk_i32 s4, 0x64
.LBB139_1:                              ; =>This Inner Loop Header: Depth=1
	s_waitcnt vmcnt(1)
	s_delay_alu instid0(VALU_DEP_1) | instskip(SKIP_1) | instid1(VALU_DEP_1)
	v_add_f32_e32 v16, v7, v8
	s_waitcnt vmcnt(0)
	v_add_f32_e32 v15, v15, v16
	ds_store_b32 v9, v15
	s_waitcnt lgkmcnt(0)
	s_barrier
	buffer_gl0_inv
	s_and_saveexec_b32 s5, vcc_lo
	s_cbranch_execz .LBB139_3
; %bb.2:                                ;   in Loop: Header=BB139_1 Depth=1
	ds_load_2addr_b32 v[16:17], v0 offset1:1
	ds_load_2addr_b32 v[18:19], v0 offset0:2 offset1:3
	ds_load_2addr_b32 v[20:21], v0 offset0:4 offset1:5
	;; [unrolled: 1-line block ×3, first 2 shown]
	v_cmp_eq_u32_e64 s2, 0, v12
	s_waitcnt lgkmcnt(3)
	v_add_f32_e32 v24, v16, v17
	s_waitcnt lgkmcnt(2)
	s_delay_alu instid0(VALU_DEP_1) | instskip(NEXT) | instid1(VALU_DEP_1)
	v_add_f32_e32 v24, v24, v18
	v_add_f32_e32 v24, v24, v19
	s_waitcnt lgkmcnt(1)
	s_delay_alu instid0(VALU_DEP_1) | instskip(NEXT) | instid1(VALU_DEP_1)
	v_add_f32_e32 v24, v24, v20
	;; [unrolled: 4-line block ×3, first 2 shown]
	v_add_f32_e32 v24, v24, v23
	s_delay_alu instid0(VALU_DEP_1) | instskip(NEXT) | instid1(VALU_DEP_1)
	v_mov_b32_dpp v25, v24 row_shr:1 row_mask:0xf bank_mask:0xf
	v_add_f32_e32 v25, v24, v25
	s_delay_alu instid0(VALU_DEP_1) | instskip(SKIP_1) | instid1(VALU_DEP_2)
	v_cndmask_b32_e64 v24, v25, v24, s2
	v_cmp_lt_u32_e64 s2, 1, v12
	v_mov_b32_dpp v25, v24 row_shr:2 row_mask:0xf bank_mask:0xf
	s_delay_alu instid0(VALU_DEP_1) | instskip(NEXT) | instid1(VALU_DEP_1)
	v_add_f32_e32 v25, v24, v25
	v_cndmask_b32_e64 v24, v24, v25, s2
	v_cmp_lt_u32_e64 s2, 3, v12
	s_delay_alu instid0(VALU_DEP_2) | instskip(NEXT) | instid1(VALU_DEP_1)
	v_mov_b32_dpp v25, v24 row_shr:4 row_mask:0xf bank_mask:0xf
	v_add_f32_e32 v25, v24, v25
	s_delay_alu instid0(VALU_DEP_1) | instskip(SKIP_1) | instid1(VALU_DEP_2)
	v_cndmask_b32_e64 v24, v24, v25, s2
	v_cmp_lt_u32_e64 s2, 7, v12
	v_mov_b32_dpp v25, v24 row_shr:8 row_mask:0xf bank_mask:0xf
	s_delay_alu instid0(VALU_DEP_1) | instskip(NEXT) | instid1(VALU_DEP_1)
	v_add_f32_e32 v25, v24, v25
	v_cndmask_b32_e64 v24, v24, v25, s2
	v_cmp_gt_i32_e64 s2, 0, v14
	ds_swizzle_b32 v25, v24 offset:swizzle(BROADCAST,32,15)
	v_cndmask_b32_e64 v26, v14, v10, s2
	v_cmp_eq_u32_e64 s2, 0, v13
	s_waitcnt lgkmcnt(0)
	v_add_f32_e32 v25, v24, v25
	s_delay_alu instid0(VALU_DEP_1) | instskip(SKIP_4) | instid1(VALU_DEP_1)
	v_cndmask_b32_e64 v24, v25, v24, s2
	v_lshlrev_b32_e32 v25, 2, v26
	ds_bpermute_b32 v24, v25, v24
	s_waitcnt lgkmcnt(0)
	v_add_f32_e32 v16, v16, v24
	v_cndmask_b32_e64 v15, v16, v15, s0
	s_delay_alu instid0(VALU_DEP_1) | instskip(NEXT) | instid1(VALU_DEP_1)
	v_add_f32_e32 v16, v17, v15
	v_add_f32_e32 v17, v18, v16
	s_delay_alu instid0(VALU_DEP_1) | instskip(NEXT) | instid1(VALU_DEP_1)
	v_add_f32_e32 v18, v19, v17
	v_add_f32_e32 v19, v20, v18
	;; [unrolled: 3-line block ×3, first 2 shown]
	s_delay_alu instid0(VALU_DEP_1)
	v_add_f32_e32 v22, v23, v21
	ds_store_2addr_b32 v0, v15, v16 offset1:1
	ds_store_2addr_b32 v0, v17, v18 offset0:2 offset1:3
	ds_store_2addr_b32 v0, v19, v20 offset0:4 offset1:5
	;; [unrolled: 1-line block ×3, first 2 shown]
.LBB139_3:                              ;   in Loop: Header=BB139_1 Depth=1
	s_or_b32 exec_lo, exec_lo, s5
	v_mov_b32_e32 v16, s3
	s_waitcnt lgkmcnt(0)
	s_barrier
	buffer_gl0_inv
	s_and_saveexec_b32 s2, s1
	s_cbranch_execz .LBB139_5
; %bb.4:                                ;   in Loop: Header=BB139_1 Depth=1
	ds_load_b32 v15, v11
	s_waitcnt lgkmcnt(0)
	v_add_f32_e32 v16, s3, v15
.LBB139_5:                              ;   in Loop: Header=BB139_1 Depth=1
	s_or_b32 exec_lo, exec_lo, s2
	s_delay_alu instid0(VALU_DEP_1) | instskip(SKIP_1) | instid1(SALU_CYCLE_1)
	v_add_f32_e32 v17, v7, v16
	s_add_i32 s4, s4, -1
	s_cmp_lg_u32 s4, 0
	s_delay_alu instid0(VALU_DEP_1)
	v_add_f32_e32 v15, v8, v17
	s_cbranch_scc0 .LBB139_7
; %bb.6:                                ;   in Loop: Header=BB139_1 Depth=1
	v_dual_mov_b32 v7, v16 :: v_dual_mov_b32 v8, v17
	s_branch .LBB139_1
.LBB139_7:
	v_add_co_u32 v0, vcc_lo, s6, v1
	v_add_co_ci_u32_e32 v1, vcc_lo, s7, v2, vcc_lo
	v_add_co_u32 v5, vcc_lo, s6, v5
	v_add_co_ci_u32_e32 v6, vcc_lo, s7, v6, vcc_lo
	;; [unrolled: 2-line block ×3, first 2 shown]
	s_clause 0x2
	global_store_b32 v[0:1], v16, off
	global_store_b32 v[5:6], v17, off
	;; [unrolled: 1-line block ×3, first 2 shown]
	s_nop 0
	s_sendmsg sendmsg(MSG_DEALLOC_VGPRS)
	s_endpgm
	.section	.rodata,"a",@progbits
	.p2align	6, 0x0
	.amdhsa_kernel _Z6kernelI14exclusive_scanILN6hipcub18BlockScanAlgorithmE1EEfLj256ELj3ELj100EEvPKT0_PS4_S4_
		.amdhsa_group_segment_fixed_size 1056
		.amdhsa_private_segment_fixed_size 0
		.amdhsa_kernarg_size 280
		.amdhsa_user_sgpr_count 15
		.amdhsa_user_sgpr_dispatch_ptr 0
		.amdhsa_user_sgpr_queue_ptr 0
		.amdhsa_user_sgpr_kernarg_segment_ptr 1
		.amdhsa_user_sgpr_dispatch_id 0
		.amdhsa_user_sgpr_private_segment_size 0
		.amdhsa_wavefront_size32 1
		.amdhsa_uses_dynamic_stack 0
		.amdhsa_enable_private_segment 0
		.amdhsa_system_sgpr_workgroup_id_x 1
		.amdhsa_system_sgpr_workgroup_id_y 0
		.amdhsa_system_sgpr_workgroup_id_z 0
		.amdhsa_system_sgpr_workgroup_info 0
		.amdhsa_system_vgpr_workitem_id 0
		.amdhsa_next_free_vgpr 27
		.amdhsa_next_free_sgpr 16
		.amdhsa_reserve_vcc 1
		.amdhsa_float_round_mode_32 0
		.amdhsa_float_round_mode_16_64 0
		.amdhsa_float_denorm_mode_32 3
		.amdhsa_float_denorm_mode_16_64 3
		.amdhsa_dx10_clamp 1
		.amdhsa_ieee_mode 1
		.amdhsa_fp16_overflow 0
		.amdhsa_workgroup_processor_mode 1
		.amdhsa_memory_ordered 1
		.amdhsa_forward_progress 0
		.amdhsa_shared_vgpr_count 0
		.amdhsa_exception_fp_ieee_invalid_op 0
		.amdhsa_exception_fp_denorm_src 0
		.amdhsa_exception_fp_ieee_div_zero 0
		.amdhsa_exception_fp_ieee_overflow 0
		.amdhsa_exception_fp_ieee_underflow 0
		.amdhsa_exception_fp_ieee_inexact 0
		.amdhsa_exception_int_div_zero 0
	.end_amdhsa_kernel
	.section	.text._Z6kernelI14exclusive_scanILN6hipcub18BlockScanAlgorithmE1EEfLj256ELj3ELj100EEvPKT0_PS4_S4_,"axG",@progbits,_Z6kernelI14exclusive_scanILN6hipcub18BlockScanAlgorithmE1EEfLj256ELj3ELj100EEvPKT0_PS4_S4_,comdat
.Lfunc_end139:
	.size	_Z6kernelI14exclusive_scanILN6hipcub18BlockScanAlgorithmE1EEfLj256ELj3ELj100EEvPKT0_PS4_S4_, .Lfunc_end139-_Z6kernelI14exclusive_scanILN6hipcub18BlockScanAlgorithmE1EEfLj256ELj3ELj100EEvPKT0_PS4_S4_
                                        ; -- End function
	.section	.AMDGPU.csdata,"",@progbits
; Kernel info:
; codeLenInByte = 864
; NumSgprs: 18
; NumVgprs: 27
; ScratchSize: 0
; MemoryBound: 0
; FloatMode: 240
; IeeeMode: 1
; LDSByteSize: 1056 bytes/workgroup (compile time only)
; SGPRBlocks: 2
; VGPRBlocks: 3
; NumSGPRsForWavesPerEU: 18
; NumVGPRsForWavesPerEU: 27
; Occupancy: 16
; WaveLimiterHint : 0
; COMPUTE_PGM_RSRC2:SCRATCH_EN: 0
; COMPUTE_PGM_RSRC2:USER_SGPR: 15
; COMPUTE_PGM_RSRC2:TRAP_HANDLER: 0
; COMPUTE_PGM_RSRC2:TGID_X_EN: 1
; COMPUTE_PGM_RSRC2:TGID_Y_EN: 0
; COMPUTE_PGM_RSRC2:TGID_Z_EN: 0
; COMPUTE_PGM_RSRC2:TIDIG_COMP_CNT: 0
	.section	.text._Z6kernelI14exclusive_scanILN6hipcub18BlockScanAlgorithmE1EEfLj256ELj4ELj100EEvPKT0_PS4_S4_,"axG",@progbits,_Z6kernelI14exclusive_scanILN6hipcub18BlockScanAlgorithmE1EEfLj256ELj4ELj100EEvPKT0_PS4_S4_,comdat
	.protected	_Z6kernelI14exclusive_scanILN6hipcub18BlockScanAlgorithmE1EEfLj256ELj4ELj100EEvPKT0_PS4_S4_ ; -- Begin function _Z6kernelI14exclusive_scanILN6hipcub18BlockScanAlgorithmE1EEfLj256ELj4ELj100EEvPKT0_PS4_S4_
	.globl	_Z6kernelI14exclusive_scanILN6hipcub18BlockScanAlgorithmE1EEfLj256ELj4ELj100EEvPKT0_PS4_S4_
	.p2align	8
	.type	_Z6kernelI14exclusive_scanILN6hipcub18BlockScanAlgorithmE1EEfLj256ELj4ELj100EEvPKT0_PS4_S4_,@function
_Z6kernelI14exclusive_scanILN6hipcub18BlockScanAlgorithmE1EEfLj256ELj4ELj100EEvPKT0_PS4_S4_: ; @_Z6kernelI14exclusive_scanILN6hipcub18BlockScanAlgorithmE1EEfLj256ELj4ELj100EEvPKT0_PS4_S4_
; %bb.0:
	s_clause 0x1
	s_load_b32 s2, s[0:1], 0x24
	s_load_b128 s[4:7], s[0:1], 0x0
	v_mov_b32_e32 v2, 0
	v_lshrrev_b32_e32 v5, 5, v0
	s_load_b32 s3, s[0:1], 0x10
	v_add_nc_u32_e32 v6, -1, v0
	v_lshrrev_b32_e32 v7, 2, v0
	v_mbcnt_lo_u32_b32 v11, -1, 0
	v_add_lshl_u32 v10, v5, v0, 2
	v_lshlrev_b32_e32 v5, 3, v0
	v_lshrrev_b32_e32 v12, 5, v6
	v_cmp_eq_u32_e64 s0, 0, v0
	v_cmp_ne_u32_e64 s1, 0, v0
	v_and_b32_e32 v13, 15, v11
	v_and_b32_e32 v14, 16, v11
	v_add_lshl_u32 v12, v12, v6, 2
	v_add_nc_u32_e32 v15, -1, v11
	s_waitcnt lgkmcnt(0)
	s_and_b32 s2, s2, 0xffff
	s_delay_alu instid0(SALU_CYCLE_1) | instskip(NEXT) | instid1(SALU_CYCLE_1)
	s_mul_i32 s15, s15, s2
	v_add_lshl_u32 v1, s15, v0, 2
	s_delay_alu instid0(VALU_DEP_1) | instskip(NEXT) | instid1(VALU_DEP_1)
	v_lshlrev_b64 v[8:9], 2, v[1:2]
	v_add_co_u32 v1, vcc_lo, s4, v8
	s_delay_alu instid0(VALU_DEP_2)
	v_add_co_ci_u32_e32 v2, vcc_lo, s5, v9, vcc_lo
	v_cmp_gt_u32_e32 vcc_lo, 32, v0
	v_add_lshl_u32 v0, v7, v5, 2
	s_movk_i32 s4, 0x64
	global_load_b128 v[1:4], v[1:2], off
.LBB140_1:                              ; =>This Inner Loop Header: Depth=1
	s_waitcnt vmcnt(0)
	s_delay_alu instid0(VALU_DEP_2) | instskip(NEXT) | instid1(VALU_DEP_1)
	v_add_f32_e32 v5, v1, v2
	v_add_f32_e32 v5, v3, v5
	s_delay_alu instid0(VALU_DEP_1)
	v_add_f32_e32 v4, v4, v5
	ds_store_b32 v10, v4
	s_waitcnt lgkmcnt(0)
	s_barrier
	buffer_gl0_inv
	s_and_saveexec_b32 s5, vcc_lo
	s_cbranch_execz .LBB140_3
; %bb.2:                                ;   in Loop: Header=BB140_1 Depth=1
	ds_load_2addr_b32 v[5:6], v0 offset1:1
	ds_load_2addr_b32 v[16:17], v0 offset0:2 offset1:3
	ds_load_2addr_b32 v[18:19], v0 offset0:4 offset1:5
	;; [unrolled: 1-line block ×3, first 2 shown]
	v_cmp_eq_u32_e64 s2, 0, v13
	s_waitcnt lgkmcnt(3)
	v_add_f32_e32 v7, v5, v6
	s_waitcnt lgkmcnt(2)
	s_delay_alu instid0(VALU_DEP_1) | instskip(NEXT) | instid1(VALU_DEP_1)
	v_add_f32_e32 v7, v7, v16
	v_add_f32_e32 v7, v7, v17
	s_waitcnt lgkmcnt(1)
	s_delay_alu instid0(VALU_DEP_1) | instskip(NEXT) | instid1(VALU_DEP_1)
	v_add_f32_e32 v7, v7, v18
	v_add_f32_e32 v7, v7, v19
	s_waitcnt lgkmcnt(0)
	s_delay_alu instid0(VALU_DEP_1) | instskip(NEXT) | instid1(VALU_DEP_1)
	v_add_f32_e32 v7, v7, v20
	v_add_f32_e32 v7, v7, v21
	s_delay_alu instid0(VALU_DEP_1) | instskip(NEXT) | instid1(VALU_DEP_1)
	v_mov_b32_dpp v22, v7 row_shr:1 row_mask:0xf bank_mask:0xf
	v_add_f32_e32 v22, v7, v22
	s_delay_alu instid0(VALU_DEP_1) | instskip(SKIP_1) | instid1(VALU_DEP_2)
	v_cndmask_b32_e64 v7, v22, v7, s2
	v_cmp_lt_u32_e64 s2, 1, v13
	v_mov_b32_dpp v22, v7 row_shr:2 row_mask:0xf bank_mask:0xf
	s_delay_alu instid0(VALU_DEP_1) | instskip(NEXT) | instid1(VALU_DEP_1)
	v_add_f32_e32 v22, v7, v22
	v_cndmask_b32_e64 v7, v7, v22, s2
	v_cmp_lt_u32_e64 s2, 3, v13
	s_delay_alu instid0(VALU_DEP_2) | instskip(NEXT) | instid1(VALU_DEP_1)
	v_mov_b32_dpp v22, v7 row_shr:4 row_mask:0xf bank_mask:0xf
	v_add_f32_e32 v22, v7, v22
	s_delay_alu instid0(VALU_DEP_1) | instskip(SKIP_1) | instid1(VALU_DEP_2)
	v_cndmask_b32_e64 v7, v7, v22, s2
	v_cmp_lt_u32_e64 s2, 7, v13
	v_mov_b32_dpp v22, v7 row_shr:8 row_mask:0xf bank_mask:0xf
	s_delay_alu instid0(VALU_DEP_1) | instskip(NEXT) | instid1(VALU_DEP_1)
	v_add_f32_e32 v22, v7, v22
	v_cndmask_b32_e64 v7, v7, v22, s2
	v_cmp_gt_i32_e64 s2, 0, v15
	ds_swizzle_b32 v22, v7 offset:swizzle(BROADCAST,32,15)
	v_cndmask_b32_e64 v23, v15, v11, s2
	v_cmp_eq_u32_e64 s2, 0, v14
	s_waitcnt lgkmcnt(0)
	v_add_f32_e32 v22, v7, v22
	s_delay_alu instid0(VALU_DEP_1) | instskip(SKIP_4) | instid1(VALU_DEP_1)
	v_cndmask_b32_e64 v7, v22, v7, s2
	v_lshlrev_b32_e32 v22, 2, v23
	ds_bpermute_b32 v7, v22, v7
	s_waitcnt lgkmcnt(0)
	v_add_f32_e32 v5, v5, v7
	v_cndmask_b32_e64 v4, v5, v4, s0
	s_delay_alu instid0(VALU_DEP_1) | instskip(NEXT) | instid1(VALU_DEP_1)
	v_add_f32_e32 v5, v6, v4
	v_add_f32_e32 v6, v16, v5
	s_delay_alu instid0(VALU_DEP_1) | instskip(NEXT) | instid1(VALU_DEP_1)
	v_add_f32_e32 v7, v17, v6
	v_add_f32_e32 v16, v18, v7
	;; [unrolled: 3-line block ×3, first 2 shown]
	s_delay_alu instid0(VALU_DEP_1)
	v_add_f32_e32 v19, v21, v18
	ds_store_2addr_b32 v0, v4, v5 offset1:1
	ds_store_2addr_b32 v0, v6, v7 offset0:2 offset1:3
	ds_store_2addr_b32 v0, v16, v17 offset0:4 offset1:5
	;; [unrolled: 1-line block ×3, first 2 shown]
.LBB140_3:                              ;   in Loop: Header=BB140_1 Depth=1
	s_or_b32 exec_lo, exec_lo, s5
	v_mov_b32_e32 v5, s3
	s_waitcnt lgkmcnt(0)
	s_barrier
	buffer_gl0_inv
	s_and_saveexec_b32 s2, s1
	s_cbranch_execz .LBB140_5
; %bb.4:                                ;   in Loop: Header=BB140_1 Depth=1
	ds_load_b32 v4, v12
	s_waitcnt lgkmcnt(0)
	v_add_f32_e32 v5, s3, v4
.LBB140_5:                              ;   in Loop: Header=BB140_1 Depth=1
	s_or_b32 exec_lo, exec_lo, s2
	s_delay_alu instid0(VALU_DEP_1) | instskip(SKIP_1) | instid1(SALU_CYCLE_1)
	v_add_f32_e32 v6, v1, v5
	s_add_i32 s4, s4, -1
	s_cmp_lg_u32 s4, 0
	s_delay_alu instid0(VALU_DEP_1) | instskip(NEXT) | instid1(VALU_DEP_1)
	v_add_f32_e32 v7, v2, v6
	v_add_f32_e32 v4, v3, v7
	s_cbranch_scc0 .LBB140_7
; %bb.6:                                ;   in Loop: Header=BB140_1 Depth=1
	v_dual_mov_b32 v1, v5 :: v_dual_mov_b32 v2, v6
	v_mov_b32_e32 v3, v7
	s_branch .LBB140_1
.LBB140_7:
	v_add_co_u32 v0, vcc_lo, s6, v8
	v_add_co_ci_u32_e32 v1, vcc_lo, s7, v9, vcc_lo
	s_delay_alu instid0(VALU_DEP_3)
	v_mov_b32_e32 v8, v4
	global_store_b128 v[0:1], v[5:8], off
	s_nop 0
	s_sendmsg sendmsg(MSG_DEALLOC_VGPRS)
	s_endpgm
	.section	.rodata,"a",@progbits
	.p2align	6, 0x0
	.amdhsa_kernel _Z6kernelI14exclusive_scanILN6hipcub18BlockScanAlgorithmE1EEfLj256ELj4ELj100EEvPKT0_PS4_S4_
		.amdhsa_group_segment_fixed_size 1056
		.amdhsa_private_segment_fixed_size 0
		.amdhsa_kernarg_size 280
		.amdhsa_user_sgpr_count 15
		.amdhsa_user_sgpr_dispatch_ptr 0
		.amdhsa_user_sgpr_queue_ptr 0
		.amdhsa_user_sgpr_kernarg_segment_ptr 1
		.amdhsa_user_sgpr_dispatch_id 0
		.amdhsa_user_sgpr_private_segment_size 0
		.amdhsa_wavefront_size32 1
		.amdhsa_uses_dynamic_stack 0
		.amdhsa_enable_private_segment 0
		.amdhsa_system_sgpr_workgroup_id_x 1
		.amdhsa_system_sgpr_workgroup_id_y 0
		.amdhsa_system_sgpr_workgroup_id_z 0
		.amdhsa_system_sgpr_workgroup_info 0
		.amdhsa_system_vgpr_workitem_id 0
		.amdhsa_next_free_vgpr 24
		.amdhsa_next_free_sgpr 16
		.amdhsa_reserve_vcc 1
		.amdhsa_float_round_mode_32 0
		.amdhsa_float_round_mode_16_64 0
		.amdhsa_float_denorm_mode_32 3
		.amdhsa_float_denorm_mode_16_64 3
		.amdhsa_dx10_clamp 1
		.amdhsa_ieee_mode 1
		.amdhsa_fp16_overflow 0
		.amdhsa_workgroup_processor_mode 1
		.amdhsa_memory_ordered 1
		.amdhsa_forward_progress 0
		.amdhsa_shared_vgpr_count 0
		.amdhsa_exception_fp_ieee_invalid_op 0
		.amdhsa_exception_fp_denorm_src 0
		.amdhsa_exception_fp_ieee_div_zero 0
		.amdhsa_exception_fp_ieee_overflow 0
		.amdhsa_exception_fp_ieee_underflow 0
		.amdhsa_exception_fp_ieee_inexact 0
		.amdhsa_exception_int_div_zero 0
	.end_amdhsa_kernel
	.section	.text._Z6kernelI14exclusive_scanILN6hipcub18BlockScanAlgorithmE1EEfLj256ELj4ELj100EEvPKT0_PS4_S4_,"axG",@progbits,_Z6kernelI14exclusive_scanILN6hipcub18BlockScanAlgorithmE1EEfLj256ELj4ELj100EEvPKT0_PS4_S4_,comdat
.Lfunc_end140:
	.size	_Z6kernelI14exclusive_scanILN6hipcub18BlockScanAlgorithmE1EEfLj256ELj4ELj100EEvPKT0_PS4_S4_, .Lfunc_end140-_Z6kernelI14exclusive_scanILN6hipcub18BlockScanAlgorithmE1EEfLj256ELj4ELj100EEvPKT0_PS4_S4_
                                        ; -- End function
	.section	.AMDGPU.csdata,"",@progbits
; Kernel info:
; codeLenInByte = 760
; NumSgprs: 18
; NumVgprs: 24
; ScratchSize: 0
; MemoryBound: 0
; FloatMode: 240
; IeeeMode: 1
; LDSByteSize: 1056 bytes/workgroup (compile time only)
; SGPRBlocks: 2
; VGPRBlocks: 2
; NumSGPRsForWavesPerEU: 18
; NumVGPRsForWavesPerEU: 24
; Occupancy: 16
; WaveLimiterHint : 0
; COMPUTE_PGM_RSRC2:SCRATCH_EN: 0
; COMPUTE_PGM_RSRC2:USER_SGPR: 15
; COMPUTE_PGM_RSRC2:TRAP_HANDLER: 0
; COMPUTE_PGM_RSRC2:TGID_X_EN: 1
; COMPUTE_PGM_RSRC2:TGID_Y_EN: 0
; COMPUTE_PGM_RSRC2:TGID_Z_EN: 0
; COMPUTE_PGM_RSRC2:TIDIG_COMP_CNT: 0
	.section	.text._Z6kernelI14exclusive_scanILN6hipcub18BlockScanAlgorithmE1EEfLj256ELj8ELj100EEvPKT0_PS4_S4_,"axG",@progbits,_Z6kernelI14exclusive_scanILN6hipcub18BlockScanAlgorithmE1EEfLj256ELj8ELj100EEvPKT0_PS4_S4_,comdat
	.protected	_Z6kernelI14exclusive_scanILN6hipcub18BlockScanAlgorithmE1EEfLj256ELj8ELj100EEvPKT0_PS4_S4_ ; -- Begin function _Z6kernelI14exclusive_scanILN6hipcub18BlockScanAlgorithmE1EEfLj256ELj8ELj100EEvPKT0_PS4_S4_
	.globl	_Z6kernelI14exclusive_scanILN6hipcub18BlockScanAlgorithmE1EEfLj256ELj8ELj100EEvPKT0_PS4_S4_
	.p2align	8
	.type	_Z6kernelI14exclusive_scanILN6hipcub18BlockScanAlgorithmE1EEfLj256ELj8ELj100EEvPKT0_PS4_S4_,@function
_Z6kernelI14exclusive_scanILN6hipcub18BlockScanAlgorithmE1EEfLj256ELj8ELj100EEvPKT0_PS4_S4_: ; @_Z6kernelI14exclusive_scanILN6hipcub18BlockScanAlgorithmE1EEfLj256ELj8ELj100EEvPKT0_PS4_S4_
; %bb.0:
	s_clause 0x1
	s_load_b32 s2, s[0:1], 0x24
	s_load_b128 s[4:7], s[0:1], 0x0
	v_mov_b32_e32 v2, 0
	v_lshrrev_b32_e32 v9, 5, v0
	s_load_b32 s3, s[0:1], 0x10
	v_add_nc_u32_e32 v10, -1, v0
	v_lshrrev_b32_e32 v11, 2, v0
	v_mbcnt_lo_u32_b32 v19, -1, 0
	v_add_lshl_u32 v18, v9, v0, 2
	v_lshlrev_b32_e32 v9, 3, v0
	v_lshrrev_b32_e32 v12, 5, v10
	v_cmp_eq_u32_e64 s0, 0, v0
	v_cmp_ne_u32_e64 s1, 0, v0
	v_and_b32_e32 v21, 15, v19
	v_and_b32_e32 v22, 16, v19
	v_add_lshl_u32 v20, v12, v10, 2
	v_add_nc_u32_e32 v23, -1, v19
	s_waitcnt lgkmcnt(0)
	s_and_b32 s2, s2, 0xffff
	s_delay_alu instid0(SALU_CYCLE_1) | instskip(NEXT) | instid1(SALU_CYCLE_1)
	s_mul_i32 s15, s15, s2
	v_add_lshl_u32 v1, s15, v0, 3
	s_delay_alu instid0(VALU_DEP_1) | instskip(NEXT) | instid1(VALU_DEP_1)
	v_lshlrev_b64 v[16:17], 2, v[1:2]
	v_add_co_u32 v1, vcc_lo, s4, v16
	s_delay_alu instid0(VALU_DEP_2)
	v_add_co_ci_u32_e32 v2, vcc_lo, s5, v17, vcc_lo
	v_cmp_gt_u32_e32 vcc_lo, 32, v0
	v_add_lshl_u32 v0, v11, v9, 2
	s_movk_i32 s4, 0x64
	s_clause 0x1
	global_load_b128 v[5:8], v[1:2], off
	global_load_b128 v[1:4], v[1:2], off offset:16
.LBB141_1:                              ; =>This Inner Loop Header: Depth=1
	s_waitcnt vmcnt(1)
	v_add_f32_e32 v9, v5, v6
	s_delay_alu instid0(VALU_DEP_1) | instskip(NEXT) | instid1(VALU_DEP_1)
	v_add_f32_e32 v9, v7, v9
	v_add_f32_e32 v9, v8, v9
	s_waitcnt vmcnt(0)
	s_delay_alu instid0(VALU_DEP_1) | instskip(NEXT) | instid1(VALU_DEP_1)
	v_add_f32_e32 v9, v1, v9
	v_add_f32_e32 v9, v2, v9
	s_delay_alu instid0(VALU_DEP_1) | instskip(NEXT) | instid1(VALU_DEP_1)
	v_add_f32_e32 v9, v3, v9
	v_add_f32_e32 v4, v4, v9
	ds_store_b32 v18, v4
	s_waitcnt lgkmcnt(0)
	s_barrier
	buffer_gl0_inv
	s_and_saveexec_b32 s5, vcc_lo
	s_cbranch_execz .LBB141_3
; %bb.2:                                ;   in Loop: Header=BB141_1 Depth=1
	ds_load_2addr_b32 v[9:10], v0 offset1:1
	ds_load_2addr_b32 v[11:12], v0 offset0:2 offset1:3
	ds_load_2addr_b32 v[13:14], v0 offset0:4 offset1:5
	;; [unrolled: 1-line block ×3, first 2 shown]
	v_cmp_eq_u32_e64 s2, 0, v21
	s_waitcnt lgkmcnt(3)
	v_add_f32_e32 v15, v9, v10
	s_waitcnt lgkmcnt(2)
	s_delay_alu instid0(VALU_DEP_1) | instskip(NEXT) | instid1(VALU_DEP_1)
	v_add_f32_e32 v15, v15, v11
	v_add_f32_e32 v15, v15, v12
	s_waitcnt lgkmcnt(1)
	s_delay_alu instid0(VALU_DEP_1) | instskip(NEXT) | instid1(VALU_DEP_1)
	v_add_f32_e32 v15, v15, v13
	v_add_f32_e32 v15, v15, v14
	s_waitcnt lgkmcnt(0)
	s_delay_alu instid0(VALU_DEP_1) | instskip(NEXT) | instid1(VALU_DEP_1)
	v_add_f32_e32 v15, v15, v24
	v_add_f32_e32 v15, v15, v25
	s_delay_alu instid0(VALU_DEP_1) | instskip(NEXT) | instid1(VALU_DEP_1)
	v_mov_b32_dpp v26, v15 row_shr:1 row_mask:0xf bank_mask:0xf
	v_add_f32_e32 v26, v15, v26
	s_delay_alu instid0(VALU_DEP_1) | instskip(SKIP_1) | instid1(VALU_DEP_2)
	v_cndmask_b32_e64 v15, v26, v15, s2
	v_cmp_lt_u32_e64 s2, 1, v21
	v_mov_b32_dpp v26, v15 row_shr:2 row_mask:0xf bank_mask:0xf
	s_delay_alu instid0(VALU_DEP_1) | instskip(NEXT) | instid1(VALU_DEP_1)
	v_add_f32_e32 v26, v15, v26
	v_cndmask_b32_e64 v15, v15, v26, s2
	v_cmp_lt_u32_e64 s2, 3, v21
	s_delay_alu instid0(VALU_DEP_2) | instskip(NEXT) | instid1(VALU_DEP_1)
	v_mov_b32_dpp v26, v15 row_shr:4 row_mask:0xf bank_mask:0xf
	v_add_f32_e32 v26, v15, v26
	s_delay_alu instid0(VALU_DEP_1) | instskip(SKIP_1) | instid1(VALU_DEP_2)
	v_cndmask_b32_e64 v15, v15, v26, s2
	v_cmp_lt_u32_e64 s2, 7, v21
	v_mov_b32_dpp v26, v15 row_shr:8 row_mask:0xf bank_mask:0xf
	s_delay_alu instid0(VALU_DEP_1) | instskip(NEXT) | instid1(VALU_DEP_1)
	v_add_f32_e32 v26, v15, v26
	v_cndmask_b32_e64 v15, v15, v26, s2
	v_cmp_gt_i32_e64 s2, 0, v23
	ds_swizzle_b32 v26, v15 offset:swizzle(BROADCAST,32,15)
	v_cndmask_b32_e64 v27, v23, v19, s2
	v_cmp_eq_u32_e64 s2, 0, v22
	s_waitcnt lgkmcnt(0)
	v_add_f32_e32 v26, v15, v26
	s_delay_alu instid0(VALU_DEP_1) | instskip(SKIP_4) | instid1(VALU_DEP_1)
	v_cndmask_b32_e64 v15, v26, v15, s2
	v_lshlrev_b32_e32 v26, 2, v27
	ds_bpermute_b32 v15, v26, v15
	s_waitcnt lgkmcnt(0)
	v_add_f32_e32 v9, v9, v15
	v_cndmask_b32_e64 v4, v9, v4, s0
	s_delay_alu instid0(VALU_DEP_1) | instskip(NEXT) | instid1(VALU_DEP_1)
	v_add_f32_e32 v9, v10, v4
	v_add_f32_e32 v10, v11, v9
	s_delay_alu instid0(VALU_DEP_1) | instskip(NEXT) | instid1(VALU_DEP_1)
	v_add_f32_e32 v11, v12, v10
	v_add_f32_e32 v12, v13, v11
	;; [unrolled: 3-line block ×3, first 2 shown]
	s_delay_alu instid0(VALU_DEP_1)
	v_add_f32_e32 v15, v25, v14
	ds_store_2addr_b32 v0, v4, v9 offset1:1
	ds_store_2addr_b32 v0, v10, v11 offset0:2 offset1:3
	ds_store_2addr_b32 v0, v12, v13 offset0:4 offset1:5
	ds_store_2addr_b32 v0, v14, v15 offset0:6 offset1:7
.LBB141_3:                              ;   in Loop: Header=BB141_1 Depth=1
	s_or_b32 exec_lo, exec_lo, s5
	v_mov_b32_e32 v9, s3
	s_waitcnt lgkmcnt(0)
	s_barrier
	buffer_gl0_inv
	s_and_saveexec_b32 s2, s1
	s_cbranch_execz .LBB141_5
; %bb.4:                                ;   in Loop: Header=BB141_1 Depth=1
	ds_load_b32 v4, v20
	s_waitcnt lgkmcnt(0)
	v_add_f32_e32 v9, s3, v4
.LBB141_5:                              ;   in Loop: Header=BB141_1 Depth=1
	s_or_b32 exec_lo, exec_lo, s2
	s_delay_alu instid0(VALU_DEP_1) | instskip(SKIP_1) | instid1(SALU_CYCLE_1)
	v_add_f32_e32 v10, v5, v9
	s_add_i32 s4, s4, -1
	s_cmp_lg_u32 s4, 0
	s_delay_alu instid0(VALU_DEP_1) | instskip(NEXT) | instid1(VALU_DEP_1)
	v_add_f32_e32 v11, v6, v10
	v_add_f32_e32 v12, v7, v11
	s_delay_alu instid0(VALU_DEP_1) | instskip(NEXT) | instid1(VALU_DEP_1)
	v_add_f32_e32 v13, v8, v12
	v_add_f32_e32 v14, v1, v13
	;; [unrolled: 3-line block ×3, first 2 shown]
	s_cbranch_scc0 .LBB141_7
; %bb.6:                                ;   in Loop: Header=BB141_1 Depth=1
	v_dual_mov_b32 v5, v9 :: v_dual_mov_b32 v6, v10
	v_dual_mov_b32 v7, v11 :: v_dual_mov_b32 v8, v12
	;; [unrolled: 1-line block ×3, first 2 shown]
	v_mov_b32_e32 v3, v15
	s_branch .LBB141_1
.LBB141_7:
	v_add_co_u32 v0, vcc_lo, s6, v16
	v_add_co_ci_u32_e32 v1, vcc_lo, s7, v17, vcc_lo
	s_delay_alu instid0(VALU_DEP_3)
	v_mov_b32_e32 v16, v4
	s_clause 0x1
	global_store_b128 v[0:1], v[9:12], off
	global_store_b128 v[0:1], v[13:16], off offset:16
	s_nop 0
	s_sendmsg sendmsg(MSG_DEALLOC_VGPRS)
	s_endpgm
	.section	.rodata,"a",@progbits
	.p2align	6, 0x0
	.amdhsa_kernel _Z6kernelI14exclusive_scanILN6hipcub18BlockScanAlgorithmE1EEfLj256ELj8ELj100EEvPKT0_PS4_S4_
		.amdhsa_group_segment_fixed_size 1056
		.amdhsa_private_segment_fixed_size 0
		.amdhsa_kernarg_size 280
		.amdhsa_user_sgpr_count 15
		.amdhsa_user_sgpr_dispatch_ptr 0
		.amdhsa_user_sgpr_queue_ptr 0
		.amdhsa_user_sgpr_kernarg_segment_ptr 1
		.amdhsa_user_sgpr_dispatch_id 0
		.amdhsa_user_sgpr_private_segment_size 0
		.amdhsa_wavefront_size32 1
		.amdhsa_uses_dynamic_stack 0
		.amdhsa_enable_private_segment 0
		.amdhsa_system_sgpr_workgroup_id_x 1
		.amdhsa_system_sgpr_workgroup_id_y 0
		.amdhsa_system_sgpr_workgroup_id_z 0
		.amdhsa_system_sgpr_workgroup_info 0
		.amdhsa_system_vgpr_workitem_id 0
		.amdhsa_next_free_vgpr 28
		.amdhsa_next_free_sgpr 16
		.amdhsa_reserve_vcc 1
		.amdhsa_float_round_mode_32 0
		.amdhsa_float_round_mode_16_64 0
		.amdhsa_float_denorm_mode_32 3
		.amdhsa_float_denorm_mode_16_64 3
		.amdhsa_dx10_clamp 1
		.amdhsa_ieee_mode 1
		.amdhsa_fp16_overflow 0
		.amdhsa_workgroup_processor_mode 1
		.amdhsa_memory_ordered 1
		.amdhsa_forward_progress 0
		.amdhsa_shared_vgpr_count 0
		.amdhsa_exception_fp_ieee_invalid_op 0
		.amdhsa_exception_fp_denorm_src 0
		.amdhsa_exception_fp_ieee_div_zero 0
		.amdhsa_exception_fp_ieee_overflow 0
		.amdhsa_exception_fp_ieee_underflow 0
		.amdhsa_exception_fp_ieee_inexact 0
		.amdhsa_exception_int_div_zero 0
	.end_amdhsa_kernel
	.section	.text._Z6kernelI14exclusive_scanILN6hipcub18BlockScanAlgorithmE1EEfLj256ELj8ELj100EEvPKT0_PS4_S4_,"axG",@progbits,_Z6kernelI14exclusive_scanILN6hipcub18BlockScanAlgorithmE1EEfLj256ELj8ELj100EEvPKT0_PS4_S4_,comdat
.Lfunc_end141:
	.size	_Z6kernelI14exclusive_scanILN6hipcub18BlockScanAlgorithmE1EEfLj256ELj8ELj100EEvPKT0_PS4_S4_, .Lfunc_end141-_Z6kernelI14exclusive_scanILN6hipcub18BlockScanAlgorithmE1EEfLj256ELj8ELj100EEvPKT0_PS4_S4_
                                        ; -- End function
	.section	.AMDGPU.csdata,"",@progbits
; Kernel info:
; codeLenInByte = 848
; NumSgprs: 18
; NumVgprs: 28
; ScratchSize: 0
; MemoryBound: 0
; FloatMode: 240
; IeeeMode: 1
; LDSByteSize: 1056 bytes/workgroup (compile time only)
; SGPRBlocks: 2
; VGPRBlocks: 3
; NumSGPRsForWavesPerEU: 18
; NumVGPRsForWavesPerEU: 28
; Occupancy: 16
; WaveLimiterHint : 0
; COMPUTE_PGM_RSRC2:SCRATCH_EN: 0
; COMPUTE_PGM_RSRC2:USER_SGPR: 15
; COMPUTE_PGM_RSRC2:TRAP_HANDLER: 0
; COMPUTE_PGM_RSRC2:TGID_X_EN: 1
; COMPUTE_PGM_RSRC2:TGID_Y_EN: 0
; COMPUTE_PGM_RSRC2:TGID_Z_EN: 0
; COMPUTE_PGM_RSRC2:TIDIG_COMP_CNT: 0
	.section	.text._Z6kernelI14exclusive_scanILN6hipcub18BlockScanAlgorithmE1EEfLj256ELj11ELj100EEvPKT0_PS4_S4_,"axG",@progbits,_Z6kernelI14exclusive_scanILN6hipcub18BlockScanAlgorithmE1EEfLj256ELj11ELj100EEvPKT0_PS4_S4_,comdat
	.protected	_Z6kernelI14exclusive_scanILN6hipcub18BlockScanAlgorithmE1EEfLj256ELj11ELj100EEvPKT0_PS4_S4_ ; -- Begin function _Z6kernelI14exclusive_scanILN6hipcub18BlockScanAlgorithmE1EEfLj256ELj11ELj100EEvPKT0_PS4_S4_
	.globl	_Z6kernelI14exclusive_scanILN6hipcub18BlockScanAlgorithmE1EEfLj256ELj11ELj100EEvPKT0_PS4_S4_
	.p2align	8
	.type	_Z6kernelI14exclusive_scanILN6hipcub18BlockScanAlgorithmE1EEfLj256ELj11ELj100EEvPKT0_PS4_S4_,@function
_Z6kernelI14exclusive_scanILN6hipcub18BlockScanAlgorithmE1EEfLj256ELj11ELj100EEvPKT0_PS4_S4_: ; @_Z6kernelI14exclusive_scanILN6hipcub18BlockScanAlgorithmE1EEfLj256ELj11ELj100EEvPKT0_PS4_S4_
; %bb.0:
	s_clause 0x2
	s_load_b32 s2, s[0:1], 0x24
	s_load_b128 s[4:7], s[0:1], 0x0
	s_load_b32 s3, s[0:1], 0x10
	v_cmp_eq_u32_e64 s0, 0, v0
	v_cmp_ne_u32_e64 s1, 0, v0
	s_waitcnt lgkmcnt(0)
	s_and_b32 s2, s2, 0xffff
	s_delay_alu instid0(SALU_CYCLE_1) | instskip(NEXT) | instid1(VALU_DEP_1)
	v_mad_u64_u32 v[1:2], null, s15, s2, v[0:1]
	v_mul_lo_u32 v21, v1, 11
	s_delay_alu instid0(VALU_DEP_1) | instskip(NEXT) | instid1(VALU_DEP_1)
	v_dual_mov_b32 v22, 0 :: v_dual_add_nc_u32 v1, 1, v21
	v_dual_mov_b32 v2, v22 :: v_dual_add_nc_u32 v3, 2, v21
	v_lshlrev_b64 v[15:16], 2, v[21:22]
	v_dual_mov_b32 v4, v22 :: v_dual_add_nc_u32 v5, 3, v21
	s_delay_alu instid0(VALU_DEP_3) | instskip(SKIP_1) | instid1(VALU_DEP_3)
	v_lshlrev_b64 v[17:18], 2, v[1:2]
	v_dual_mov_b32 v6, v22 :: v_dual_add_nc_u32 v7, 4, v21
	v_lshlrev_b64 v[13:14], 2, v[3:4]
	v_add_co_u32 v25, vcc_lo, s4, v15
	v_dual_mov_b32 v8, v22 :: v_dual_add_nc_u32 v11, 5, v21
	v_add_co_ci_u32_e32 v26, vcc_lo, s5, v16, vcc_lo
	v_lshlrev_b64 v[9:10], 2, v[5:6]
	v_add_co_u32 v27, vcc_lo, s4, v17
	v_dual_mov_b32 v12, v22 :: v_dual_add_nc_u32 v19, 6, v21
	v_add_co_ci_u32_e32 v28, vcc_lo, s5, v18, vcc_lo
	v_lshlrev_b64 v[5:6], 2, v[7:8]
	v_add_co_u32 v29, vcc_lo, s4, v13
	v_dual_mov_b32 v20, v22 :: v_dual_add_nc_u32 v23, 7, v21
	v_add_co_ci_u32_e32 v30, vcc_lo, s5, v14, vcc_lo
	v_lshlrev_b64 v[3:4], 2, v[11:12]
	v_add_co_u32 v34, vcc_lo, s4, v9
	v_dual_mov_b32 v24, v22 :: v_dual_add_nc_u32 v11, 8, v21
	v_add_co_ci_u32_e32 v35, vcc_lo, s5, v10, vcc_lo
	v_lshlrev_b64 v[1:2], 2, v[19:20]
	v_add_co_u32 v36, vcc_lo, s4, v5
	v_add_co_ci_u32_e32 v37, vcc_lo, s5, v6, vcc_lo
	v_add_co_u32 v38, vcc_lo, s4, v3
	v_lshlrev_b64 v[7:8], 2, v[23:24]
	v_add_nc_u32_e32 v19, 9, v21
	v_add_co_ci_u32_e32 v39, vcc_lo, s5, v4, vcc_lo
	v_add_co_u32 v23, vcc_lo, s4, v1
	v_lshlrev_b64 v[11:12], 2, v[11:12]
	v_add_nc_u32_e32 v21, 10, v21
	v_add_co_ci_u32_e32 v24, vcc_lo, s5, v2, vcc_lo
	v_add_co_u32 v40, vcc_lo, s4, v7
	v_lshlrev_b64 v[19:20], 2, v[19:20]
	v_add_co_ci_u32_e32 v41, vcc_lo, s5, v8, vcc_lo
	v_add_co_u32 v42, vcc_lo, s4, v11
	v_lshlrev_b64 v[21:22], 2, v[21:22]
	v_add_co_ci_u32_e32 v43, vcc_lo, s5, v12, vcc_lo
	v_add_co_u32 v44, vcc_lo, s4, v19
	v_add_co_ci_u32_e32 v45, vcc_lo, s5, v20, vcc_lo
	s_delay_alu instid0(VALU_DEP_4)
	v_add_co_u32 v46, vcc_lo, s4, v21
	v_add_co_ci_u32_e32 v47, vcc_lo, s5, v22, vcc_lo
	s_clause 0xa
	global_load_b32 v33, v[25:26], off
	global_load_b32 v32, v[27:28], off
	;; [unrolled: 1-line block ×11, first 2 shown]
	v_add_nc_u32_e32 v35, -1, v0
	v_lshrrev_b32_e32 v29, 5, v0
	v_lshlrev_b32_e32 v36, 3, v0
	v_lshrrev_b32_e32 v37, 2, v0
	v_mbcnt_lo_u32_b32 v34, -1, 0
	v_lshrrev_b32_e32 v38, 5, v35
	v_add_lshl_u32 v29, v29, v0, 2
	v_cmp_gt_u32_e32 vcc_lo, 32, v0
	v_add_lshl_u32 v0, v37, v36, 2
	v_and_b32_e32 v36, 15, v34
	v_add_lshl_u32 v35, v38, v35, 2
	v_and_b32_e32 v37, 16, v34
	v_add_nc_u32_e32 v38, -1, v34
	s_movk_i32 s4, 0x64
.LBB142_1:                              ; =>This Inner Loop Header: Depth=1
	s_waitcnt vmcnt(9)
	s_delay_alu instid0(VALU_DEP_1) | instskip(SKIP_1) | instid1(VALU_DEP_1)
	v_add_f32_e32 v40, v32, v33
	s_waitcnt vmcnt(8)
	v_add_f32_e32 v40, v31, v40
	s_waitcnt vmcnt(7)
	s_delay_alu instid0(VALU_DEP_1) | instskip(SKIP_1) | instid1(VALU_DEP_1)
	v_add_f32_e32 v40, v30, v40
	s_waitcnt vmcnt(6)
	v_add_f32_e32 v40, v28, v40
	;; [unrolled: 5-line block ×5, first 2 shown]
	ds_store_b32 v29, v39
	s_waitcnt lgkmcnt(0)
	s_barrier
	buffer_gl0_inv
	s_and_saveexec_b32 s5, vcc_lo
	s_cbranch_execz .LBB142_3
; %bb.2:                                ;   in Loop: Header=BB142_1 Depth=1
	ds_load_2addr_b32 v[40:41], v0 offset1:1
	ds_load_2addr_b32 v[42:43], v0 offset0:2 offset1:3
	ds_load_2addr_b32 v[44:45], v0 offset0:4 offset1:5
	ds_load_2addr_b32 v[46:47], v0 offset0:6 offset1:7
	v_cmp_eq_u32_e64 s2, 0, v36
	s_waitcnt lgkmcnt(3)
	v_add_f32_e32 v48, v40, v41
	s_waitcnt lgkmcnt(2)
	s_delay_alu instid0(VALU_DEP_1) | instskip(NEXT) | instid1(VALU_DEP_1)
	v_add_f32_e32 v48, v48, v42
	v_add_f32_e32 v48, v48, v43
	s_waitcnt lgkmcnt(1)
	s_delay_alu instid0(VALU_DEP_1) | instskip(NEXT) | instid1(VALU_DEP_1)
	v_add_f32_e32 v48, v48, v44
	;; [unrolled: 4-line block ×3, first 2 shown]
	v_add_f32_e32 v48, v48, v47
	s_delay_alu instid0(VALU_DEP_1) | instskip(NEXT) | instid1(VALU_DEP_1)
	v_mov_b32_dpp v49, v48 row_shr:1 row_mask:0xf bank_mask:0xf
	v_add_f32_e32 v49, v48, v49
	s_delay_alu instid0(VALU_DEP_1) | instskip(SKIP_1) | instid1(VALU_DEP_2)
	v_cndmask_b32_e64 v48, v49, v48, s2
	v_cmp_lt_u32_e64 s2, 1, v36
	v_mov_b32_dpp v49, v48 row_shr:2 row_mask:0xf bank_mask:0xf
	s_delay_alu instid0(VALU_DEP_1) | instskip(NEXT) | instid1(VALU_DEP_1)
	v_add_f32_e32 v49, v48, v49
	v_cndmask_b32_e64 v48, v48, v49, s2
	v_cmp_lt_u32_e64 s2, 3, v36
	s_delay_alu instid0(VALU_DEP_2) | instskip(NEXT) | instid1(VALU_DEP_1)
	v_mov_b32_dpp v49, v48 row_shr:4 row_mask:0xf bank_mask:0xf
	v_add_f32_e32 v49, v48, v49
	s_delay_alu instid0(VALU_DEP_1) | instskip(SKIP_1) | instid1(VALU_DEP_2)
	v_cndmask_b32_e64 v48, v48, v49, s2
	v_cmp_lt_u32_e64 s2, 7, v36
	v_mov_b32_dpp v49, v48 row_shr:8 row_mask:0xf bank_mask:0xf
	s_delay_alu instid0(VALU_DEP_1) | instskip(NEXT) | instid1(VALU_DEP_1)
	v_add_f32_e32 v49, v48, v49
	v_cndmask_b32_e64 v48, v48, v49, s2
	v_cmp_gt_i32_e64 s2, 0, v38
	ds_swizzle_b32 v49, v48 offset:swizzle(BROADCAST,32,15)
	v_cndmask_b32_e64 v50, v38, v34, s2
	v_cmp_eq_u32_e64 s2, 0, v37
	s_waitcnt lgkmcnt(0)
	v_add_f32_e32 v49, v48, v49
	s_delay_alu instid0(VALU_DEP_1) | instskip(SKIP_4) | instid1(VALU_DEP_1)
	v_cndmask_b32_e64 v48, v49, v48, s2
	v_lshlrev_b32_e32 v49, 2, v50
	ds_bpermute_b32 v48, v49, v48
	s_waitcnt lgkmcnt(0)
	v_add_f32_e32 v40, v40, v48
	v_cndmask_b32_e64 v39, v40, v39, s0
	s_delay_alu instid0(VALU_DEP_1) | instskip(NEXT) | instid1(VALU_DEP_1)
	v_add_f32_e32 v40, v41, v39
	v_add_f32_e32 v41, v42, v40
	s_delay_alu instid0(VALU_DEP_1) | instskip(NEXT) | instid1(VALU_DEP_1)
	v_add_f32_e32 v42, v43, v41
	v_add_f32_e32 v43, v44, v42
	;; [unrolled: 3-line block ×3, first 2 shown]
	s_delay_alu instid0(VALU_DEP_1)
	v_add_f32_e32 v46, v47, v45
	ds_store_2addr_b32 v0, v39, v40 offset1:1
	ds_store_2addr_b32 v0, v41, v42 offset0:2 offset1:3
	ds_store_2addr_b32 v0, v43, v44 offset0:4 offset1:5
	;; [unrolled: 1-line block ×3, first 2 shown]
.LBB142_3:                              ;   in Loop: Header=BB142_1 Depth=1
	s_or_b32 exec_lo, exec_lo, s5
	v_mov_b32_e32 v40, s3
	s_waitcnt lgkmcnt(0)
	s_barrier
	buffer_gl0_inv
	s_and_saveexec_b32 s2, s1
	s_cbranch_execz .LBB142_5
; %bb.4:                                ;   in Loop: Header=BB142_1 Depth=1
	ds_load_b32 v39, v35
	s_waitcnt lgkmcnt(0)
	v_add_f32_e32 v40, s3, v39
.LBB142_5:                              ;   in Loop: Header=BB142_1 Depth=1
	s_or_b32 exec_lo, exec_lo, s2
	s_delay_alu instid0(VALU_DEP_1) | instskip(SKIP_1) | instid1(SALU_CYCLE_1)
	v_add_f32_e32 v33, v33, v40
	s_add_i32 s4, s4, -1
	s_cmp_lg_u32 s4, 0
	s_delay_alu instid0(VALU_DEP_1) | instskip(NEXT) | instid1(VALU_DEP_1)
	v_add_f32_e32 v32, v32, v33
	v_add_f32_e32 v31, v31, v32
	s_delay_alu instid0(VALU_DEP_1) | instskip(NEXT) | instid1(VALU_DEP_1)
	v_add_f32_e32 v30, v30, v31
	v_add_f32_e32 v28, v28, v30
	;; [unrolled: 3-line block ×4, first 2 shown]
	s_delay_alu instid0(VALU_DEP_1)
	v_add_f32_e32 v39, v23, v24
	s_cbranch_scc0 .LBB142_7
; %bb.6:                                ;   in Loop: Header=BB142_1 Depth=1
	v_dual_mov_b32 v23, v24 :: v_dual_mov_b32 v24, v25
	v_dual_mov_b32 v25, v26 :: v_dual_mov_b32 v26, v27
	;; [unrolled: 1-line block ×5, first 2 shown]
	s_branch .LBB142_1
.LBB142_7:
	v_add_co_u32 v15, vcc_lo, s6, v15
	v_add_co_ci_u32_e32 v16, vcc_lo, s7, v16, vcc_lo
	v_add_co_u32 v17, vcc_lo, s6, v17
	v_add_co_ci_u32_e32 v18, vcc_lo, s7, v18, vcc_lo
	;; [unrolled: 2-line block ×11, first 2 shown]
	s_clause 0xa
	global_store_b32 v[15:16], v40, off
	global_store_b32 v[17:18], v33, off
	;; [unrolled: 1-line block ×11, first 2 shown]
	s_nop 0
	s_sendmsg sendmsg(MSG_DEALLOC_VGPRS)
	s_endpgm
	.section	.rodata,"a",@progbits
	.p2align	6, 0x0
	.amdhsa_kernel _Z6kernelI14exclusive_scanILN6hipcub18BlockScanAlgorithmE1EEfLj256ELj11ELj100EEvPKT0_PS4_S4_
		.amdhsa_group_segment_fixed_size 1056
		.amdhsa_private_segment_fixed_size 0
		.amdhsa_kernarg_size 280
		.amdhsa_user_sgpr_count 15
		.amdhsa_user_sgpr_dispatch_ptr 0
		.amdhsa_user_sgpr_queue_ptr 0
		.amdhsa_user_sgpr_kernarg_segment_ptr 1
		.amdhsa_user_sgpr_dispatch_id 0
		.amdhsa_user_sgpr_private_segment_size 0
		.amdhsa_wavefront_size32 1
		.amdhsa_uses_dynamic_stack 0
		.amdhsa_enable_private_segment 0
		.amdhsa_system_sgpr_workgroup_id_x 1
		.amdhsa_system_sgpr_workgroup_id_y 0
		.amdhsa_system_sgpr_workgroup_id_z 0
		.amdhsa_system_sgpr_workgroup_info 0
		.amdhsa_system_vgpr_workitem_id 0
		.amdhsa_next_free_vgpr 51
		.amdhsa_next_free_sgpr 16
		.amdhsa_reserve_vcc 1
		.amdhsa_float_round_mode_32 0
		.amdhsa_float_round_mode_16_64 0
		.amdhsa_float_denorm_mode_32 3
		.amdhsa_float_denorm_mode_16_64 3
		.amdhsa_dx10_clamp 1
		.amdhsa_ieee_mode 1
		.amdhsa_fp16_overflow 0
		.amdhsa_workgroup_processor_mode 1
		.amdhsa_memory_ordered 1
		.amdhsa_forward_progress 0
		.amdhsa_shared_vgpr_count 0
		.amdhsa_exception_fp_ieee_invalid_op 0
		.amdhsa_exception_fp_denorm_src 0
		.amdhsa_exception_fp_ieee_div_zero 0
		.amdhsa_exception_fp_ieee_overflow 0
		.amdhsa_exception_fp_ieee_underflow 0
		.amdhsa_exception_fp_ieee_inexact 0
		.amdhsa_exception_int_div_zero 0
	.end_amdhsa_kernel
	.section	.text._Z6kernelI14exclusive_scanILN6hipcub18BlockScanAlgorithmE1EEfLj256ELj11ELj100EEvPKT0_PS4_S4_,"axG",@progbits,_Z6kernelI14exclusive_scanILN6hipcub18BlockScanAlgorithmE1EEfLj256ELj11ELj100EEvPKT0_PS4_S4_,comdat
.Lfunc_end142:
	.size	_Z6kernelI14exclusive_scanILN6hipcub18BlockScanAlgorithmE1EEfLj256ELj11ELj100EEvPKT0_PS4_S4_, .Lfunc_end142-_Z6kernelI14exclusive_scanILN6hipcub18BlockScanAlgorithmE1EEfLj256ELj11ELj100EEvPKT0_PS4_S4_
                                        ; -- End function
	.section	.AMDGPU.csdata,"",@progbits
; Kernel info:
; codeLenInByte = 1464
; NumSgprs: 18
; NumVgprs: 51
; ScratchSize: 0
; MemoryBound: 0
; FloatMode: 240
; IeeeMode: 1
; LDSByteSize: 1056 bytes/workgroup (compile time only)
; SGPRBlocks: 2
; VGPRBlocks: 6
; NumSGPRsForWavesPerEU: 18
; NumVGPRsForWavesPerEU: 51
; Occupancy: 16
; WaveLimiterHint : 0
; COMPUTE_PGM_RSRC2:SCRATCH_EN: 0
; COMPUTE_PGM_RSRC2:USER_SGPR: 15
; COMPUTE_PGM_RSRC2:TRAP_HANDLER: 0
; COMPUTE_PGM_RSRC2:TGID_X_EN: 1
; COMPUTE_PGM_RSRC2:TGID_Y_EN: 0
; COMPUTE_PGM_RSRC2:TGID_Z_EN: 0
; COMPUTE_PGM_RSRC2:TIDIG_COMP_CNT: 0
	.section	.text._Z6kernelI14exclusive_scanILN6hipcub18BlockScanAlgorithmE1EEfLj256ELj16ELj100EEvPKT0_PS4_S4_,"axG",@progbits,_Z6kernelI14exclusive_scanILN6hipcub18BlockScanAlgorithmE1EEfLj256ELj16ELj100EEvPKT0_PS4_S4_,comdat
	.protected	_Z6kernelI14exclusive_scanILN6hipcub18BlockScanAlgorithmE1EEfLj256ELj16ELj100EEvPKT0_PS4_S4_ ; -- Begin function _Z6kernelI14exclusive_scanILN6hipcub18BlockScanAlgorithmE1EEfLj256ELj16ELj100EEvPKT0_PS4_S4_
	.globl	_Z6kernelI14exclusive_scanILN6hipcub18BlockScanAlgorithmE1EEfLj256ELj16ELj100EEvPKT0_PS4_S4_
	.p2align	8
	.type	_Z6kernelI14exclusive_scanILN6hipcub18BlockScanAlgorithmE1EEfLj256ELj16ELj100EEvPKT0_PS4_S4_,@function
_Z6kernelI14exclusive_scanILN6hipcub18BlockScanAlgorithmE1EEfLj256ELj16ELj100EEvPKT0_PS4_S4_: ; @_Z6kernelI14exclusive_scanILN6hipcub18BlockScanAlgorithmE1EEfLj256ELj16ELj100EEvPKT0_PS4_S4_
; %bb.0:
	s_clause 0x1
	s_load_b32 s2, s[0:1], 0x24
	s_load_b128 s[4:7], s[0:1], 0x0
	v_mov_b32_e32 v2, 0
	v_lshrrev_b32_e32 v17, 5, v0
	s_load_b32 s3, s[0:1], 0x10
	v_add_nc_u32_e32 v18, -1, v0
	v_lshrrev_b32_e32 v19, 2, v0
	v_mbcnt_lo_u32_b32 v24, -1, 0
	v_add_lshl_u32 v23, v17, v0, 2
	v_lshlrev_b32_e32 v17, 3, v0
	v_lshrrev_b32_e32 v20, 5, v18
	v_cmp_eq_u32_e64 s0, 0, v0
	v_cmp_ne_u32_e64 s1, 0, v0
	v_and_b32_e32 v27, 15, v24
	v_add_lshl_u32 v25, v19, v17, 2
	v_add_lshl_u32 v26, v20, v18, 2
	v_and_b32_e32 v28, 16, v24
	v_add_nc_u32_e32 v29, -1, v24
	s_waitcnt lgkmcnt(0)
	s_and_b32 s2, s2, 0xffff
	s_delay_alu instid0(SALU_CYCLE_1) | instskip(NEXT) | instid1(SALU_CYCLE_1)
	s_mul_i32 s15, s15, s2
	v_add_lshl_u32 v1, s15, v0, 4
	s_delay_alu instid0(VALU_DEP_1) | instskip(NEXT) | instid1(VALU_DEP_1)
	v_lshlrev_b64 v[21:22], 2, v[1:2]
	v_add_co_u32 v1, vcc_lo, s4, v21
	s_delay_alu instid0(VALU_DEP_2)
	v_add_co_ci_u32_e32 v2, vcc_lo, s5, v22, vcc_lo
	v_cmp_gt_u32_e32 vcc_lo, 32, v0
	s_movk_i32 s4, 0x64
	s_clause 0x3
	global_load_b128 v[13:16], v[1:2], off
	global_load_b128 v[9:12], v[1:2], off offset:16
	global_load_b128 v[5:8], v[1:2], off offset:32
	;; [unrolled: 1-line block ×3, first 2 shown]
.LBB143_1:                              ; =>This Inner Loop Header: Depth=1
	s_waitcnt vmcnt(3)
	s_delay_alu instid0(VALU_DEP_1) | instskip(NEXT) | instid1(VALU_DEP_1)
	v_add_f32_e32 v0, v14, v13
	v_add_f32_e32 v0, v15, v0
	s_delay_alu instid0(VALU_DEP_1) | instskip(SKIP_1) | instid1(VALU_DEP_1)
	v_add_f32_e32 v0, v16, v0
	s_waitcnt vmcnt(2)
	v_add_f32_e32 v0, v9, v0
	s_delay_alu instid0(VALU_DEP_1) | instskip(NEXT) | instid1(VALU_DEP_1)
	v_add_f32_e32 v0, v10, v0
	v_add_f32_e32 v0, v11, v0
	s_delay_alu instid0(VALU_DEP_1) | instskip(SKIP_1) | instid1(VALU_DEP_1)
	v_add_f32_e32 v0, v12, v0
	s_waitcnt vmcnt(1)
	v_add_f32_e32 v0, v5, v0
	;; [unrolled: 7-line block ×3, first 2 shown]
	s_delay_alu instid0(VALU_DEP_1) | instskip(NEXT) | instid1(VALU_DEP_1)
	v_add_f32_e32 v0, v2, v0
	v_add_f32_e32 v0, v3, v0
	s_delay_alu instid0(VALU_DEP_1)
	v_add_f32_e32 v0, v4, v0
	ds_store_b32 v23, v0
	s_waitcnt lgkmcnt(0)
	s_barrier
	buffer_gl0_inv
	s_and_saveexec_b32 s5, vcc_lo
	s_cbranch_execz .LBB143_3
; %bb.2:                                ;   in Loop: Header=BB143_1 Depth=1
	ds_load_2addr_b32 v[17:18], v25 offset1:1
	ds_load_2addr_b32 v[19:20], v25 offset0:2 offset1:3
	ds_load_2addr_b32 v[30:31], v25 offset0:4 offset1:5
	;; [unrolled: 1-line block ×3, first 2 shown]
	v_cmp_eq_u32_e64 s2, 0, v27
	s_waitcnt lgkmcnt(3)
	v_add_f32_e32 v4, v17, v18
	s_waitcnt lgkmcnt(2)
	s_delay_alu instid0(VALU_DEP_1) | instskip(NEXT) | instid1(VALU_DEP_1)
	v_add_f32_e32 v4, v4, v19
	v_add_f32_e32 v4, v4, v20
	s_waitcnt lgkmcnt(1)
	s_delay_alu instid0(VALU_DEP_1) | instskip(NEXT) | instid1(VALU_DEP_1)
	v_add_f32_e32 v4, v4, v30
	;; [unrolled: 4-line block ×3, first 2 shown]
	v_add_f32_e32 v4, v4, v33
	s_delay_alu instid0(VALU_DEP_1) | instskip(NEXT) | instid1(VALU_DEP_1)
	v_mov_b32_dpp v34, v4 row_shr:1 row_mask:0xf bank_mask:0xf
	v_add_f32_e32 v34, v4, v34
	s_delay_alu instid0(VALU_DEP_1) | instskip(SKIP_1) | instid1(VALU_DEP_2)
	v_cndmask_b32_e64 v4, v34, v4, s2
	v_cmp_lt_u32_e64 s2, 1, v27
	v_mov_b32_dpp v34, v4 row_shr:2 row_mask:0xf bank_mask:0xf
	s_delay_alu instid0(VALU_DEP_1) | instskip(NEXT) | instid1(VALU_DEP_1)
	v_add_f32_e32 v34, v4, v34
	v_cndmask_b32_e64 v4, v4, v34, s2
	v_cmp_lt_u32_e64 s2, 3, v27
	s_delay_alu instid0(VALU_DEP_2) | instskip(NEXT) | instid1(VALU_DEP_1)
	v_mov_b32_dpp v34, v4 row_shr:4 row_mask:0xf bank_mask:0xf
	v_add_f32_e32 v34, v4, v34
	s_delay_alu instid0(VALU_DEP_1) | instskip(SKIP_1) | instid1(VALU_DEP_2)
	v_cndmask_b32_e64 v4, v4, v34, s2
	v_cmp_lt_u32_e64 s2, 7, v27
	v_mov_b32_dpp v34, v4 row_shr:8 row_mask:0xf bank_mask:0xf
	s_delay_alu instid0(VALU_DEP_1) | instskip(NEXT) | instid1(VALU_DEP_1)
	v_add_f32_e32 v34, v4, v34
	v_cndmask_b32_e64 v4, v4, v34, s2
	v_cmp_gt_i32_e64 s2, 0, v29
	ds_swizzle_b32 v34, v4 offset:swizzle(BROADCAST,32,15)
	v_cndmask_b32_e64 v35, v29, v24, s2
	v_cmp_eq_u32_e64 s2, 0, v28
	s_waitcnt lgkmcnt(0)
	v_add_f32_e32 v34, v4, v34
	s_delay_alu instid0(VALU_DEP_1) | instskip(SKIP_4) | instid1(VALU_DEP_1)
	v_cndmask_b32_e64 v4, v34, v4, s2
	v_lshlrev_b32_e32 v34, 2, v35
	ds_bpermute_b32 v4, v34, v4
	s_waitcnt lgkmcnt(0)
	v_add_f32_e32 v4, v17, v4
	v_cndmask_b32_e64 v0, v4, v0, s0
	s_delay_alu instid0(VALU_DEP_1) | instskip(NEXT) | instid1(VALU_DEP_1)
	v_add_f32_e32 v4, v18, v0
	v_add_f32_e32 v17, v19, v4
	s_delay_alu instid0(VALU_DEP_1) | instskip(NEXT) | instid1(VALU_DEP_1)
	v_add_f32_e32 v18, v20, v17
	v_add_f32_e32 v19, v30, v18
	;; [unrolled: 3-line block ×3, first 2 shown]
	s_delay_alu instid0(VALU_DEP_1)
	v_add_f32_e32 v31, v33, v30
	ds_store_2addr_b32 v25, v0, v4 offset1:1
	ds_store_2addr_b32 v25, v17, v18 offset0:2 offset1:3
	ds_store_2addr_b32 v25, v19, v20 offset0:4 offset1:5
	;; [unrolled: 1-line block ×3, first 2 shown]
.LBB143_3:                              ;   in Loop: Header=BB143_1 Depth=1
	s_or_b32 exec_lo, exec_lo, s5
	v_mov_b32_e32 v17, s3
	s_waitcnt lgkmcnt(0)
	s_barrier
	buffer_gl0_inv
	s_and_saveexec_b32 s2, s1
	s_cbranch_execz .LBB143_5
; %bb.4:                                ;   in Loop: Header=BB143_1 Depth=1
	ds_load_b32 v0, v26
	s_waitcnt lgkmcnt(0)
	v_add_f32_e32 v17, s3, v0
.LBB143_5:                              ;   in Loop: Header=BB143_1 Depth=1
	s_or_b32 exec_lo, exec_lo, s2
	s_delay_alu instid0(VALU_DEP_1) | instskip(SKIP_1) | instid1(SALU_CYCLE_1)
	v_add_f32_e32 v18, v13, v17
	s_add_i32 s4, s4, -1
	s_cmp_lg_u32 s4, 0
	s_delay_alu instid0(VALU_DEP_1) | instskip(NEXT) | instid1(VALU_DEP_1)
	v_add_f32_e32 v19, v14, v18
	v_add_f32_e32 v20, v15, v19
	s_delay_alu instid0(VALU_DEP_1) | instskip(NEXT) | instid1(VALU_DEP_1)
	v_add_f32_e32 v13, v16, v20
	v_add_f32_e32 v14, v9, v13
	;; [unrolled: 3-line block ×7, first 2 shown]
	s_cbranch_scc0 .LBB143_7
; %bb.6:                                ;   in Loop: Header=BB143_1 Depth=1
	v_dual_mov_b32 v3, v2 :: v_dual_mov_b32 v2, v1
	v_dual_mov_b32 v1, v0 :: v_dual_mov_b32 v6, v10
	;; [unrolled: 1-line block ×7, first 2 shown]
	v_mov_b32_e32 v13, v17
	s_branch .LBB143_1
.LBB143_7:
	v_add_co_u32 v5, vcc_lo, s6, v21
	v_add_co_ci_u32_e32 v6, vcc_lo, s7, v22, vcc_lo
	s_delay_alu instid0(VALU_DEP_3)
	v_mov_b32_e32 v3, v4
	s_clause 0x3
	global_store_b128 v[5:6], v[17:20], off
	global_store_b128 v[5:6], v[13:16], off offset:16
	global_store_b128 v[5:6], v[9:12], off offset:32
	;; [unrolled: 1-line block ×3, first 2 shown]
	s_nop 0
	s_sendmsg sendmsg(MSG_DEALLOC_VGPRS)
	s_endpgm
	.section	.rodata,"a",@progbits
	.p2align	6, 0x0
	.amdhsa_kernel _Z6kernelI14exclusive_scanILN6hipcub18BlockScanAlgorithmE1EEfLj256ELj16ELj100EEvPKT0_PS4_S4_
		.amdhsa_group_segment_fixed_size 1056
		.amdhsa_private_segment_fixed_size 0
		.amdhsa_kernarg_size 280
		.amdhsa_user_sgpr_count 15
		.amdhsa_user_sgpr_dispatch_ptr 0
		.amdhsa_user_sgpr_queue_ptr 0
		.amdhsa_user_sgpr_kernarg_segment_ptr 1
		.amdhsa_user_sgpr_dispatch_id 0
		.amdhsa_user_sgpr_private_segment_size 0
		.amdhsa_wavefront_size32 1
		.amdhsa_uses_dynamic_stack 0
		.amdhsa_enable_private_segment 0
		.amdhsa_system_sgpr_workgroup_id_x 1
		.amdhsa_system_sgpr_workgroup_id_y 0
		.amdhsa_system_sgpr_workgroup_id_z 0
		.amdhsa_system_sgpr_workgroup_info 0
		.amdhsa_system_vgpr_workitem_id 0
		.amdhsa_next_free_vgpr 36
		.amdhsa_next_free_sgpr 16
		.amdhsa_reserve_vcc 1
		.amdhsa_float_round_mode_32 0
		.amdhsa_float_round_mode_16_64 0
		.amdhsa_float_denorm_mode_32 3
		.amdhsa_float_denorm_mode_16_64 3
		.amdhsa_dx10_clamp 1
		.amdhsa_ieee_mode 1
		.amdhsa_fp16_overflow 0
		.amdhsa_workgroup_processor_mode 1
		.amdhsa_memory_ordered 1
		.amdhsa_forward_progress 0
		.amdhsa_shared_vgpr_count 0
		.amdhsa_exception_fp_ieee_invalid_op 0
		.amdhsa_exception_fp_denorm_src 0
		.amdhsa_exception_fp_ieee_div_zero 0
		.amdhsa_exception_fp_ieee_overflow 0
		.amdhsa_exception_fp_ieee_underflow 0
		.amdhsa_exception_fp_ieee_inexact 0
		.amdhsa_exception_int_div_zero 0
	.end_amdhsa_kernel
	.section	.text._Z6kernelI14exclusive_scanILN6hipcub18BlockScanAlgorithmE1EEfLj256ELj16ELj100EEvPKT0_PS4_S4_,"axG",@progbits,_Z6kernelI14exclusive_scanILN6hipcub18BlockScanAlgorithmE1EEfLj256ELj16ELj100EEvPKT0_PS4_S4_,comdat
.Lfunc_end143:
	.size	_Z6kernelI14exclusive_scanILN6hipcub18BlockScanAlgorithmE1EEfLj256ELj16ELj100EEvPKT0_PS4_S4_, .Lfunc_end143-_Z6kernelI14exclusive_scanILN6hipcub18BlockScanAlgorithmE1EEfLj256ELj16ELj100EEvPKT0_PS4_S4_
                                        ; -- End function
	.section	.AMDGPU.csdata,"",@progbits
; Kernel info:
; codeLenInByte = 1020
; NumSgprs: 18
; NumVgprs: 36
; ScratchSize: 0
; MemoryBound: 0
; FloatMode: 240
; IeeeMode: 1
; LDSByteSize: 1056 bytes/workgroup (compile time only)
; SGPRBlocks: 2
; VGPRBlocks: 4
; NumSGPRsForWavesPerEU: 18
; NumVGPRsForWavesPerEU: 36
; Occupancy: 16
; WaveLimiterHint : 0
; COMPUTE_PGM_RSRC2:SCRATCH_EN: 0
; COMPUTE_PGM_RSRC2:USER_SGPR: 15
; COMPUTE_PGM_RSRC2:TRAP_HANDLER: 0
; COMPUTE_PGM_RSRC2:TGID_X_EN: 1
; COMPUTE_PGM_RSRC2:TGID_Y_EN: 0
; COMPUTE_PGM_RSRC2:TGID_Z_EN: 0
; COMPUTE_PGM_RSRC2:TIDIG_COMP_CNT: 0
	.section	.text._Z6kernelI14exclusive_scanILN6hipcub18BlockScanAlgorithmE1EEdLj256ELj1ELj100EEvPKT0_PS4_S4_,"axG",@progbits,_Z6kernelI14exclusive_scanILN6hipcub18BlockScanAlgorithmE1EEdLj256ELj1ELj100EEvPKT0_PS4_S4_,comdat
	.protected	_Z6kernelI14exclusive_scanILN6hipcub18BlockScanAlgorithmE1EEdLj256ELj1ELj100EEvPKT0_PS4_S4_ ; -- Begin function _Z6kernelI14exclusive_scanILN6hipcub18BlockScanAlgorithmE1EEdLj256ELj1ELj100EEvPKT0_PS4_S4_
	.globl	_Z6kernelI14exclusive_scanILN6hipcub18BlockScanAlgorithmE1EEdLj256ELj1ELj100EEvPKT0_PS4_S4_
	.p2align	8
	.type	_Z6kernelI14exclusive_scanILN6hipcub18BlockScanAlgorithmE1EEdLj256ELj1ELj100EEvPKT0_PS4_S4_,@function
_Z6kernelI14exclusive_scanILN6hipcub18BlockScanAlgorithmE1EEdLj256ELj1ELj100EEvPKT0_PS4_S4_: ; @_Z6kernelI14exclusive_scanILN6hipcub18BlockScanAlgorithmE1EEdLj256ELj1ELj100EEvPKT0_PS4_S4_
; %bb.0:
	s_clause 0x2
	s_load_b32 s2, s[0:1], 0x24
	s_load_b128 s[4:7], s[0:1], 0x0
	s_load_b64 s[8:9], s[0:1], 0x10
	v_lshrrev_b32_e32 v3, 2, v0
	v_mbcnt_lo_u32_b32 v25, -1, 0
	v_cmp_eq_u32_e64 s0, 0, v0
	v_cmp_ne_u32_e64 s1, 0, v0
	s_movk_i32 s3, 0x64
	s_delay_alu instid0(VALU_DEP_3) | instskip(SKIP_3) | instid1(SALU_CYCLE_1)
	v_and_b32_e32 v28, 15, v25
	v_and_b32_e32 v29, 16, v25
	s_waitcnt lgkmcnt(0)
	s_and_b32 s2, s2, 0xffff
	v_mad_u64_u32 v[1:2], null, s15, s2, v[0:1]
	v_mov_b32_e32 v2, 0
	s_delay_alu instid0(VALU_DEP_1) | instskip(NEXT) | instid1(VALU_DEP_1)
	v_lshlrev_b64 v[16:17], 3, v[1:2]
	v_add_co_u32 v1, vcc_lo, s4, v16
	s_delay_alu instid0(VALU_DEP_2) | instskip(SKIP_4) | instid1(VALU_DEP_2)
	v_add_co_ci_u32_e32 v2, vcc_lo, s5, v17, vcc_lo
	v_cmp_gt_u32_e32 vcc_lo, 32, v0
	global_load_b64 v[18:19], v[1:2], off
	v_lshrrev_b32_e32 v1, 5, v0
	v_add_nc_u32_e32 v2, -1, v0
	v_add_lshl_u32 v24, v1, v0, 3
	v_lshlrev_b32_e32 v1, 3, v0
	s_delay_alu instid0(VALU_DEP_3) | instskip(NEXT) | instid1(VALU_DEP_2)
	v_lshrrev_b32_e32 v4, 5, v2
	v_add_lshl_u32 v26, v3, v1, 3
	s_delay_alu instid0(VALU_DEP_2)
	v_add_lshl_u32 v27, v4, v2, 3
	s_branch .LBB144_2
.LBB144_1:                              ;   in Loop: Header=BB144_2 Depth=1
	s_or_b32 exec_lo, exec_lo, s2
	s_add_i32 s3, s3, -1
	s_delay_alu instid0(SALU_CYCLE_1)
	s_cmp_lg_u32 s3, 0
	s_cbranch_scc0 .LBB144_16
.LBB144_2:                              ; =>This Inner Loop Header: Depth=1
	s_waitcnt vmcnt(0)
	ds_store_b64 v24, v[18:19]
	s_waitcnt lgkmcnt(0)
	s_barrier
	buffer_gl0_inv
	s_and_saveexec_b32 s4, vcc_lo
	s_cbranch_execz .LBB144_14
; %bb.3:                                ;   in Loop: Header=BB144_2 Depth=1
	ds_load_2addr_b64 v[4:7], v26 offset1:1
	ds_load_2addr_b64 v[0:3], v26 offset0:2 offset1:3
	s_mov_b32 s5, exec_lo
	s_waitcnt lgkmcnt(1)
	v_add_f64 v[8:9], v[4:5], v[6:7]
	s_waitcnt lgkmcnt(0)
	s_delay_alu instid0(VALU_DEP_1) | instskip(NEXT) | instid1(VALU_DEP_1)
	v_add_f64 v[8:9], v[8:9], v[0:1]
	v_add_f64 v[20:21], v[8:9], v[2:3]
	ds_load_2addr_b64 v[8:11], v26 offset0:4 offset1:5
	ds_load_2addr_b64 v[12:15], v26 offset0:6 offset1:7
	s_waitcnt lgkmcnt(1)
	v_add_f64 v[20:21], v[20:21], v[8:9]
	s_delay_alu instid0(VALU_DEP_1) | instskip(SKIP_1) | instid1(VALU_DEP_1)
	v_add_f64 v[20:21], v[20:21], v[10:11]
	s_waitcnt lgkmcnt(0)
	v_add_f64 v[20:21], v[20:21], v[12:13]
	s_delay_alu instid0(VALU_DEP_1) | instskip(NEXT) | instid1(VALU_DEP_1)
	v_add_f64 v[20:21], v[20:21], v[14:15]
	v_mov_b32_dpp v22, v20 row_shr:1 row_mask:0xf bank_mask:0xf
	s_delay_alu instid0(VALU_DEP_2)
	v_mov_b32_dpp v23, v21 row_shr:1 row_mask:0xf bank_mask:0xf
	v_cmpx_ne_u32_e32 0, v28
; %bb.4:                                ;   in Loop: Header=BB144_2 Depth=1
	s_delay_alu instid0(VALU_DEP_2)
	v_add_f64 v[20:21], v[20:21], v[22:23]
; %bb.5:                                ;   in Loop: Header=BB144_2 Depth=1
	s_or_b32 exec_lo, exec_lo, s5
	s_delay_alu instid0(VALU_DEP_1) | instskip(NEXT) | instid1(VALU_DEP_2)
	v_mov_b32_dpp v22, v20 row_shr:2 row_mask:0xf bank_mask:0xf
	v_mov_b32_dpp v23, v21 row_shr:2 row_mask:0xf bank_mask:0xf
	s_mov_b32 s5, exec_lo
	v_cmpx_lt_u32_e32 1, v28
; %bb.6:                                ;   in Loop: Header=BB144_2 Depth=1
	s_delay_alu instid0(VALU_DEP_2)
	v_add_f64 v[20:21], v[20:21], v[22:23]
; %bb.7:                                ;   in Loop: Header=BB144_2 Depth=1
	s_or_b32 exec_lo, exec_lo, s5
	s_delay_alu instid0(VALU_DEP_1) | instskip(NEXT) | instid1(VALU_DEP_2)
	v_mov_b32_dpp v22, v20 row_shr:4 row_mask:0xf bank_mask:0xf
	v_mov_b32_dpp v23, v21 row_shr:4 row_mask:0xf bank_mask:0xf
	s_mov_b32 s5, exec_lo
	v_cmpx_lt_u32_e32 3, v28
	;; [unrolled: 10-line block ×3, first 2 shown]
; %bb.10:                               ;   in Loop: Header=BB144_2 Depth=1
	s_delay_alu instid0(VALU_DEP_2)
	v_add_f64 v[20:21], v[20:21], v[22:23]
; %bb.11:                               ;   in Loop: Header=BB144_2 Depth=1
	s_or_b32 exec_lo, exec_lo, s5
	ds_swizzle_b32 v22, v20 offset:swizzle(BROADCAST,32,15)
	ds_swizzle_b32 v23, v21 offset:swizzle(BROADCAST,32,15)
	s_mov_b32 s5, exec_lo
	v_cmpx_ne_u32_e32 0, v29
	s_cbranch_execz .LBB144_13
; %bb.12:                               ;   in Loop: Header=BB144_2 Depth=1
	s_waitcnt lgkmcnt(0)
	v_add_f64 v[20:21], v[20:21], v[22:23]
.LBB144_13:                             ;   in Loop: Header=BB144_2 Depth=1
	s_or_b32 exec_lo, exec_lo, s5
	s_waitcnt lgkmcnt(1)
	v_add_nc_u32_e32 v22, -1, v25
	s_delay_alu instid0(VALU_DEP_1) | instskip(NEXT) | instid1(VALU_DEP_1)
	v_cmp_gt_i32_e64 s2, 0, v22
	v_cndmask_b32_e64 v22, v22, v25, s2
	s_delay_alu instid0(VALU_DEP_1) | instskip(SKIP_4) | instid1(VALU_DEP_1)
	v_lshlrev_b32_e32 v22, 2, v22
	ds_bpermute_b32 v20, v22, v20
	ds_bpermute_b32 v21, v22, v21
	s_waitcnt lgkmcnt(0)
	v_add_f64 v[4:5], v[4:5], v[20:21]
	v_cndmask_b32_e64 v5, v5, v19, s0
	s_delay_alu instid0(VALU_DEP_2) | instskip(NEXT) | instid1(VALU_DEP_1)
	v_cndmask_b32_e64 v4, v4, v18, s0
	v_add_f64 v[6:7], v[6:7], v[4:5]
	s_delay_alu instid0(VALU_DEP_1) | instskip(NEXT) | instid1(VALU_DEP_1)
	v_add_f64 v[0:1], v[0:1], v[6:7]
	v_add_f64 v[2:3], v[2:3], v[0:1]
	s_delay_alu instid0(VALU_DEP_1) | instskip(NEXT) | instid1(VALU_DEP_1)
	v_add_f64 v[8:9], v[8:9], v[2:3]
	;; [unrolled: 3-line block ×3, first 2 shown]
	v_add_f64 v[14:15], v[14:15], v[12:13]
	ds_store_2addr_b64 v26, v[4:5], v[6:7] offset1:1
	ds_store_2addr_b64 v26, v[0:1], v[2:3] offset0:2 offset1:3
	ds_store_2addr_b64 v26, v[8:9], v[10:11] offset0:4 offset1:5
	;; [unrolled: 1-line block ×3, first 2 shown]
.LBB144_14:                             ;   in Loop: Header=BB144_2 Depth=1
	s_or_b32 exec_lo, exec_lo, s4
	v_dual_mov_b32 v19, s9 :: v_dual_mov_b32 v18, s8
	s_waitcnt lgkmcnt(0)
	s_barrier
	buffer_gl0_inv
	s_and_saveexec_b32 s2, s1
	s_cbranch_execz .LBB144_1
; %bb.15:                               ;   in Loop: Header=BB144_2 Depth=1
	ds_load_b64 v[0:1], v27
	s_waitcnt lgkmcnt(0)
	v_add_f64 v[18:19], v[0:1], s[8:9]
	s_branch .LBB144_1
.LBB144_16:
	v_add_co_u32 v0, vcc_lo, s6, v16
	v_add_co_ci_u32_e32 v1, vcc_lo, s7, v17, vcc_lo
	global_store_b64 v[0:1], v[18:19], off
	s_nop 0
	s_sendmsg sendmsg(MSG_DEALLOC_VGPRS)
	s_endpgm
	.section	.rodata,"a",@progbits
	.p2align	6, 0x0
	.amdhsa_kernel _Z6kernelI14exclusive_scanILN6hipcub18BlockScanAlgorithmE1EEdLj256ELj1ELj100EEvPKT0_PS4_S4_
		.amdhsa_group_segment_fixed_size 2112
		.amdhsa_private_segment_fixed_size 0
		.amdhsa_kernarg_size 280
		.amdhsa_user_sgpr_count 15
		.amdhsa_user_sgpr_dispatch_ptr 0
		.amdhsa_user_sgpr_queue_ptr 0
		.amdhsa_user_sgpr_kernarg_segment_ptr 1
		.amdhsa_user_sgpr_dispatch_id 0
		.amdhsa_user_sgpr_private_segment_size 0
		.amdhsa_wavefront_size32 1
		.amdhsa_uses_dynamic_stack 0
		.amdhsa_enable_private_segment 0
		.amdhsa_system_sgpr_workgroup_id_x 1
		.amdhsa_system_sgpr_workgroup_id_y 0
		.amdhsa_system_sgpr_workgroup_id_z 0
		.amdhsa_system_sgpr_workgroup_info 0
		.amdhsa_system_vgpr_workitem_id 0
		.amdhsa_next_free_vgpr 30
		.amdhsa_next_free_sgpr 16
		.amdhsa_reserve_vcc 1
		.amdhsa_float_round_mode_32 0
		.amdhsa_float_round_mode_16_64 0
		.amdhsa_float_denorm_mode_32 3
		.amdhsa_float_denorm_mode_16_64 3
		.amdhsa_dx10_clamp 1
		.amdhsa_ieee_mode 1
		.amdhsa_fp16_overflow 0
		.amdhsa_workgroup_processor_mode 1
		.amdhsa_memory_ordered 1
		.amdhsa_forward_progress 0
		.amdhsa_shared_vgpr_count 0
		.amdhsa_exception_fp_ieee_invalid_op 0
		.amdhsa_exception_fp_denorm_src 0
		.amdhsa_exception_fp_ieee_div_zero 0
		.amdhsa_exception_fp_ieee_overflow 0
		.amdhsa_exception_fp_ieee_underflow 0
		.amdhsa_exception_fp_ieee_inexact 0
		.amdhsa_exception_int_div_zero 0
	.end_amdhsa_kernel
	.section	.text._Z6kernelI14exclusive_scanILN6hipcub18BlockScanAlgorithmE1EEdLj256ELj1ELj100EEvPKT0_PS4_S4_,"axG",@progbits,_Z6kernelI14exclusive_scanILN6hipcub18BlockScanAlgorithmE1EEdLj256ELj1ELj100EEvPKT0_PS4_S4_,comdat
.Lfunc_end144:
	.size	_Z6kernelI14exclusive_scanILN6hipcub18BlockScanAlgorithmE1EEdLj256ELj1ELj100EEvPKT0_PS4_S4_, .Lfunc_end144-_Z6kernelI14exclusive_scanILN6hipcub18BlockScanAlgorithmE1EEdLj256ELj1ELj100EEvPKT0_PS4_S4_
                                        ; -- End function
	.section	.AMDGPU.csdata,"",@progbits
; Kernel info:
; codeLenInByte = 856
; NumSgprs: 18
; NumVgprs: 30
; ScratchSize: 0
; MemoryBound: 0
; FloatMode: 240
; IeeeMode: 1
; LDSByteSize: 2112 bytes/workgroup (compile time only)
; SGPRBlocks: 2
; VGPRBlocks: 3
; NumSGPRsForWavesPerEU: 18
; NumVGPRsForWavesPerEU: 30
; Occupancy: 16
; WaveLimiterHint : 0
; COMPUTE_PGM_RSRC2:SCRATCH_EN: 0
; COMPUTE_PGM_RSRC2:USER_SGPR: 15
; COMPUTE_PGM_RSRC2:TRAP_HANDLER: 0
; COMPUTE_PGM_RSRC2:TGID_X_EN: 1
; COMPUTE_PGM_RSRC2:TGID_Y_EN: 0
; COMPUTE_PGM_RSRC2:TGID_Z_EN: 0
; COMPUTE_PGM_RSRC2:TIDIG_COMP_CNT: 0
	.section	.text._Z6kernelI14exclusive_scanILN6hipcub18BlockScanAlgorithmE1EEdLj256ELj3ELj100EEvPKT0_PS4_S4_,"axG",@progbits,_Z6kernelI14exclusive_scanILN6hipcub18BlockScanAlgorithmE1EEdLj256ELj3ELj100EEvPKT0_PS4_S4_,comdat
	.protected	_Z6kernelI14exclusive_scanILN6hipcub18BlockScanAlgorithmE1EEdLj256ELj3ELj100EEvPKT0_PS4_S4_ ; -- Begin function _Z6kernelI14exclusive_scanILN6hipcub18BlockScanAlgorithmE1EEdLj256ELj3ELj100EEvPKT0_PS4_S4_
	.globl	_Z6kernelI14exclusive_scanILN6hipcub18BlockScanAlgorithmE1EEdLj256ELj3ELj100EEvPKT0_PS4_S4_
	.p2align	8
	.type	_Z6kernelI14exclusive_scanILN6hipcub18BlockScanAlgorithmE1EEdLj256ELj3ELj100EEvPKT0_PS4_S4_,@function
_Z6kernelI14exclusive_scanILN6hipcub18BlockScanAlgorithmE1EEdLj256ELj3ELj100EEvPKT0_PS4_S4_: ; @_Z6kernelI14exclusive_scanILN6hipcub18BlockScanAlgorithmE1EEdLj256ELj3ELj100EEvPKT0_PS4_S4_
; %bb.0:
	s_clause 0x2
	s_load_b32 s2, s[0:1], 0x24
	s_load_b128 s[4:7], s[0:1], 0x0
	s_load_b64 s[8:9], s[0:1], 0x10
	v_mbcnt_lo_u32_b32 v33, -1, 0
	v_cmp_eq_u32_e64 s0, 0, v0
	v_cmp_ne_u32_e64 s1, 0, v0
	s_movk_i32 s3, 0x64
	s_delay_alu instid0(VALU_DEP_3) | instskip(SKIP_2) | instid1(SALU_CYCLE_1)
	v_and_b32_e32 v36, 15, v33
	s_waitcnt lgkmcnt(0)
	s_and_b32 s2, s2, 0xffff
	v_mad_u64_u32 v[1:2], null, s15, s2, v[0:1]
	s_delay_alu instid0(VALU_DEP_1) | instskip(NEXT) | instid1(VALU_DEP_1)
	v_lshl_add_u32 v1, v1, 1, v1
	v_dual_mov_b32 v2, 0 :: v_dual_add_nc_u32 v3, 1, v1
	s_delay_alu instid0(VALU_DEP_1) | instskip(SKIP_2) | instid1(VALU_DEP_3)
	v_mov_b32_e32 v4, v2
	v_lshlrev_b64 v[16:17], 3, v[1:2]
	v_add_nc_u32_e32 v1, 2, v1
	v_lshlrev_b64 v[20:21], 3, v[3:4]
	s_delay_alu instid0(VALU_DEP_2) | instskip(NEXT) | instid1(VALU_DEP_4)
	v_lshlrev_b64 v[18:19], 3, v[1:2]
	v_add_co_u32 v1, vcc_lo, s4, v16
	v_add_co_ci_u32_e32 v2, vcc_lo, s5, v17, vcc_lo
	s_delay_alu instid0(VALU_DEP_4)
	v_add_co_u32 v3, vcc_lo, s4, v20
	v_add_co_ci_u32_e32 v4, vcc_lo, s5, v21, vcc_lo
	v_add_co_u32 v5, vcc_lo, s4, v18
	v_add_co_ci_u32_e32 v6, vcc_lo, s5, v19, vcc_lo
	s_clause 0x2
	global_load_b64 v[22:23], v[1:2], off
	global_load_b64 v[24:25], v[3:4], off
	;; [unrolled: 1-line block ×3, first 2 shown]
	v_lshrrev_b32_e32 v3, 5, v0
	v_add_nc_u32_e32 v4, -1, v0
	v_lshrrev_b32_e32 v5, 2, v0
	v_cmp_gt_u32_e32 vcc_lo, 32, v0
	s_delay_alu instid0(VALU_DEP_4) | instskip(SKIP_2) | instid1(VALU_DEP_2)
	v_add_lshl_u32 v32, v3, v0, 3
	v_lshlrev_b32_e32 v3, 3, v0
	v_lshrrev_b32_e32 v6, 5, v4
	v_add_lshl_u32 v34, v5, v3, 3
	s_delay_alu instid0(VALU_DEP_2)
	v_add_lshl_u32 v35, v6, v4, 3
.LBB145_1:                              ; =>This Inner Loop Header: Depth=1
	s_waitcnt vmcnt(1)
	s_delay_alu instid0(VALU_DEP_1) | instskip(SKIP_1) | instid1(VALU_DEP_1)
	v_add_f64 v[3:4], v[22:23], v[24:25]
	s_waitcnt vmcnt(0)
	v_add_f64 v[26:27], v[1:2], v[3:4]
	ds_store_b64 v32, v[26:27]
	s_waitcnt lgkmcnt(0)
	s_barrier
	buffer_gl0_inv
	s_and_saveexec_b32 s4, vcc_lo
	s_cbranch_execz .LBB145_13
; %bb.2:                                ;   in Loop: Header=BB145_1 Depth=1
	ds_load_2addr_b64 v[4:7], v34 offset1:1
	ds_load_2addr_b64 v[0:3], v34 offset0:2 offset1:3
	s_mov_b32 s5, exec_lo
	s_waitcnt lgkmcnt(1)
	v_add_f64 v[8:9], v[4:5], v[6:7]
	s_waitcnt lgkmcnt(0)
	s_delay_alu instid0(VALU_DEP_1) | instskip(NEXT) | instid1(VALU_DEP_1)
	v_add_f64 v[8:9], v[8:9], v[0:1]
	v_add_f64 v[28:29], v[8:9], v[2:3]
	ds_load_2addr_b64 v[8:11], v34 offset0:4 offset1:5
	ds_load_2addr_b64 v[12:15], v34 offset0:6 offset1:7
	s_waitcnt lgkmcnt(1)
	v_add_f64 v[28:29], v[28:29], v[8:9]
	s_delay_alu instid0(VALU_DEP_1) | instskip(SKIP_1) | instid1(VALU_DEP_1)
	v_add_f64 v[28:29], v[28:29], v[10:11]
	s_waitcnt lgkmcnt(0)
	v_add_f64 v[28:29], v[28:29], v[12:13]
	s_delay_alu instid0(VALU_DEP_1) | instskip(NEXT) | instid1(VALU_DEP_1)
	v_add_f64 v[28:29], v[28:29], v[14:15]
	v_mov_b32_dpp v30, v28 row_shr:1 row_mask:0xf bank_mask:0xf
	s_delay_alu instid0(VALU_DEP_2)
	v_mov_b32_dpp v31, v29 row_shr:1 row_mask:0xf bank_mask:0xf
	v_cmpx_ne_u32_e32 0, v36
; %bb.3:                                ;   in Loop: Header=BB145_1 Depth=1
	s_delay_alu instid0(VALU_DEP_2)
	v_add_f64 v[28:29], v[28:29], v[30:31]
; %bb.4:                                ;   in Loop: Header=BB145_1 Depth=1
	s_or_b32 exec_lo, exec_lo, s5
	s_delay_alu instid0(VALU_DEP_1) | instskip(NEXT) | instid1(VALU_DEP_2)
	v_mov_b32_dpp v30, v28 row_shr:2 row_mask:0xf bank_mask:0xf
	v_mov_b32_dpp v31, v29 row_shr:2 row_mask:0xf bank_mask:0xf
	s_mov_b32 s5, exec_lo
	v_cmpx_lt_u32_e32 1, v36
; %bb.5:                                ;   in Loop: Header=BB145_1 Depth=1
	s_delay_alu instid0(VALU_DEP_2)
	v_add_f64 v[28:29], v[28:29], v[30:31]
; %bb.6:                                ;   in Loop: Header=BB145_1 Depth=1
	s_or_b32 exec_lo, exec_lo, s5
	s_delay_alu instid0(VALU_DEP_1) | instskip(NEXT) | instid1(VALU_DEP_2)
	v_mov_b32_dpp v30, v28 row_shr:4 row_mask:0xf bank_mask:0xf
	v_mov_b32_dpp v31, v29 row_shr:4 row_mask:0xf bank_mask:0xf
	s_mov_b32 s5, exec_lo
	v_cmpx_lt_u32_e32 3, v36
	;; [unrolled: 10-line block ×3, first 2 shown]
; %bb.9:                                ;   in Loop: Header=BB145_1 Depth=1
	s_delay_alu instid0(VALU_DEP_2)
	v_add_f64 v[28:29], v[28:29], v[30:31]
; %bb.10:                               ;   in Loop: Header=BB145_1 Depth=1
	s_or_b32 exec_lo, exec_lo, s5
	ds_swizzle_b32 v30, v28 offset:swizzle(BROADCAST,32,15)
	ds_swizzle_b32 v31, v29 offset:swizzle(BROADCAST,32,15)
	v_and_b32_e32 v37, 16, v33
	s_mov_b32 s5, exec_lo
	s_delay_alu instid0(VALU_DEP_1)
	v_cmpx_ne_u32_e32 0, v37
	s_cbranch_execz .LBB145_12
; %bb.11:                               ;   in Loop: Header=BB145_1 Depth=1
	s_waitcnt lgkmcnt(0)
	v_add_f64 v[28:29], v[28:29], v[30:31]
.LBB145_12:                             ;   in Loop: Header=BB145_1 Depth=1
	s_or_b32 exec_lo, exec_lo, s5
	s_waitcnt lgkmcnt(1)
	v_add_nc_u32_e32 v30, -1, v33
	s_delay_alu instid0(VALU_DEP_1) | instskip(NEXT) | instid1(VALU_DEP_1)
	v_cmp_gt_i32_e64 s2, 0, v30
	v_cndmask_b32_e64 v30, v30, v33, s2
	s_delay_alu instid0(VALU_DEP_1) | instskip(SKIP_4) | instid1(VALU_DEP_1)
	v_lshlrev_b32_e32 v30, 2, v30
	ds_bpermute_b32 v28, v30, v28
	ds_bpermute_b32 v29, v30, v29
	s_waitcnt lgkmcnt(0)
	v_add_f64 v[4:5], v[4:5], v[28:29]
	v_cndmask_b32_e64 v5, v5, v27, s0
	s_delay_alu instid0(VALU_DEP_2) | instskip(NEXT) | instid1(VALU_DEP_1)
	v_cndmask_b32_e64 v4, v4, v26, s0
	v_add_f64 v[6:7], v[6:7], v[4:5]
	s_delay_alu instid0(VALU_DEP_1) | instskip(NEXT) | instid1(VALU_DEP_1)
	v_add_f64 v[0:1], v[0:1], v[6:7]
	v_add_f64 v[2:3], v[2:3], v[0:1]
	s_delay_alu instid0(VALU_DEP_1) | instskip(NEXT) | instid1(VALU_DEP_1)
	v_add_f64 v[8:9], v[8:9], v[2:3]
	;; [unrolled: 3-line block ×3, first 2 shown]
	v_add_f64 v[14:15], v[14:15], v[12:13]
	ds_store_2addr_b64 v34, v[4:5], v[6:7] offset1:1
	ds_store_2addr_b64 v34, v[0:1], v[2:3] offset0:2 offset1:3
	ds_store_2addr_b64 v34, v[8:9], v[10:11] offset0:4 offset1:5
	;; [unrolled: 1-line block ×3, first 2 shown]
.LBB145_13:                             ;   in Loop: Header=BB145_1 Depth=1
	s_or_b32 exec_lo, exec_lo, s4
	v_dual_mov_b32 v3, s8 :: v_dual_mov_b32 v4, s9
	s_waitcnt lgkmcnt(0)
	s_barrier
	buffer_gl0_inv
	s_and_saveexec_b32 s2, s1
	s_cbranch_execz .LBB145_15
; %bb.14:                               ;   in Loop: Header=BB145_1 Depth=1
	ds_load_b64 v[0:1], v35
	s_waitcnt lgkmcnt(0)
	v_add_f64 v[3:4], v[0:1], s[8:9]
.LBB145_15:                             ;   in Loop: Header=BB145_1 Depth=1
	s_or_b32 exec_lo, exec_lo, s2
	s_delay_alu instid0(VALU_DEP_1) | instskip(SKIP_1) | instid1(SALU_CYCLE_1)
	v_add_f64 v[5:6], v[22:23], v[3:4]
	s_add_i32 s3, s3, -1
	s_cmp_lg_u32 s3, 0
	s_delay_alu instid0(VALU_DEP_1)
	v_add_f64 v[1:2], v[24:25], v[5:6]
	s_cbranch_scc0 .LBB145_17
; %bb.16:                               ;   in Loop: Header=BB145_1 Depth=1
	v_dual_mov_b32 v23, v4 :: v_dual_mov_b32 v22, v3
	v_dual_mov_b32 v25, v6 :: v_dual_mov_b32 v24, v5
	s_branch .LBB145_1
.LBB145_17:
	v_add_co_u32 v7, vcc_lo, s6, v16
	v_add_co_ci_u32_e32 v8, vcc_lo, s7, v17, vcc_lo
	v_add_co_u32 v9, vcc_lo, s6, v20
	v_add_co_ci_u32_e32 v10, vcc_lo, s7, v21, vcc_lo
	;; [unrolled: 2-line block ×3, first 2 shown]
	s_clause 0x2
	global_store_b64 v[7:8], v[3:4], off
	global_store_b64 v[9:10], v[5:6], off
	;; [unrolled: 1-line block ×3, first 2 shown]
	s_nop 0
	s_sendmsg sendmsg(MSG_DEALLOC_VGPRS)
	s_endpgm
	.section	.rodata,"a",@progbits
	.p2align	6, 0x0
	.amdhsa_kernel _Z6kernelI14exclusive_scanILN6hipcub18BlockScanAlgorithmE1EEdLj256ELj3ELj100EEvPKT0_PS4_S4_
		.amdhsa_group_segment_fixed_size 2112
		.amdhsa_private_segment_fixed_size 0
		.amdhsa_kernarg_size 280
		.amdhsa_user_sgpr_count 15
		.amdhsa_user_sgpr_dispatch_ptr 0
		.amdhsa_user_sgpr_queue_ptr 0
		.amdhsa_user_sgpr_kernarg_segment_ptr 1
		.amdhsa_user_sgpr_dispatch_id 0
		.amdhsa_user_sgpr_private_segment_size 0
		.amdhsa_wavefront_size32 1
		.amdhsa_uses_dynamic_stack 0
		.amdhsa_enable_private_segment 0
		.amdhsa_system_sgpr_workgroup_id_x 1
		.amdhsa_system_sgpr_workgroup_id_y 0
		.amdhsa_system_sgpr_workgroup_id_z 0
		.amdhsa_system_sgpr_workgroup_info 0
		.amdhsa_system_vgpr_workitem_id 0
		.amdhsa_next_free_vgpr 38
		.amdhsa_next_free_sgpr 16
		.amdhsa_reserve_vcc 1
		.amdhsa_float_round_mode_32 0
		.amdhsa_float_round_mode_16_64 0
		.amdhsa_float_denorm_mode_32 3
		.amdhsa_float_denorm_mode_16_64 3
		.amdhsa_dx10_clamp 1
		.amdhsa_ieee_mode 1
		.amdhsa_fp16_overflow 0
		.amdhsa_workgroup_processor_mode 1
		.amdhsa_memory_ordered 1
		.amdhsa_forward_progress 0
		.amdhsa_shared_vgpr_count 0
		.amdhsa_exception_fp_ieee_invalid_op 0
		.amdhsa_exception_fp_denorm_src 0
		.amdhsa_exception_fp_ieee_div_zero 0
		.amdhsa_exception_fp_ieee_overflow 0
		.amdhsa_exception_fp_ieee_underflow 0
		.amdhsa_exception_fp_ieee_inexact 0
		.amdhsa_exception_int_div_zero 0
	.end_amdhsa_kernel
	.section	.text._Z6kernelI14exclusive_scanILN6hipcub18BlockScanAlgorithmE1EEdLj256ELj3ELj100EEvPKT0_PS4_S4_,"axG",@progbits,_Z6kernelI14exclusive_scanILN6hipcub18BlockScanAlgorithmE1EEdLj256ELj3ELj100EEvPKT0_PS4_S4_,comdat
.Lfunc_end145:
	.size	_Z6kernelI14exclusive_scanILN6hipcub18BlockScanAlgorithmE1EEdLj256ELj3ELj100EEvPKT0_PS4_S4_, .Lfunc_end145-_Z6kernelI14exclusive_scanILN6hipcub18BlockScanAlgorithmE1EEdLj256ELj3ELj100EEvPKT0_PS4_S4_
                                        ; -- End function
	.section	.AMDGPU.csdata,"",@progbits
; Kernel info:
; codeLenInByte = 1048
; NumSgprs: 18
; NumVgprs: 38
; ScratchSize: 0
; MemoryBound: 0
; FloatMode: 240
; IeeeMode: 1
; LDSByteSize: 2112 bytes/workgroup (compile time only)
; SGPRBlocks: 2
; VGPRBlocks: 4
; NumSGPRsForWavesPerEU: 18
; NumVGPRsForWavesPerEU: 38
; Occupancy: 16
; WaveLimiterHint : 0
; COMPUTE_PGM_RSRC2:SCRATCH_EN: 0
; COMPUTE_PGM_RSRC2:USER_SGPR: 15
; COMPUTE_PGM_RSRC2:TRAP_HANDLER: 0
; COMPUTE_PGM_RSRC2:TGID_X_EN: 1
; COMPUTE_PGM_RSRC2:TGID_Y_EN: 0
; COMPUTE_PGM_RSRC2:TGID_Z_EN: 0
; COMPUTE_PGM_RSRC2:TIDIG_COMP_CNT: 0
	.section	.text._Z6kernelI14exclusive_scanILN6hipcub18BlockScanAlgorithmE1EEdLj256ELj4ELj100EEvPKT0_PS4_S4_,"axG",@progbits,_Z6kernelI14exclusive_scanILN6hipcub18BlockScanAlgorithmE1EEdLj256ELj4ELj100EEvPKT0_PS4_S4_,comdat
	.protected	_Z6kernelI14exclusive_scanILN6hipcub18BlockScanAlgorithmE1EEdLj256ELj4ELj100EEvPKT0_PS4_S4_ ; -- Begin function _Z6kernelI14exclusive_scanILN6hipcub18BlockScanAlgorithmE1EEdLj256ELj4ELj100EEvPKT0_PS4_S4_
	.globl	_Z6kernelI14exclusive_scanILN6hipcub18BlockScanAlgorithmE1EEdLj256ELj4ELj100EEvPKT0_PS4_S4_
	.p2align	8
	.type	_Z6kernelI14exclusive_scanILN6hipcub18BlockScanAlgorithmE1EEdLj256ELj4ELj100EEvPKT0_PS4_S4_,@function
_Z6kernelI14exclusive_scanILN6hipcub18BlockScanAlgorithmE1EEdLj256ELj4ELj100EEvPKT0_PS4_S4_: ; @_Z6kernelI14exclusive_scanILN6hipcub18BlockScanAlgorithmE1EEdLj256ELj4ELj100EEvPKT0_PS4_S4_
; %bb.0:
	s_clause 0x1
	s_load_b32 s2, s[0:1], 0x24
	s_load_b128 s[4:7], s[0:1], 0x0
	v_mov_b32_e32 v2, 0
	v_lshrrev_b32_e32 v9, 5, v0
	s_load_b64 s[8:9], s[0:1], 0x10
	v_add_nc_u32_e32 v10, -1, v0
	v_lshrrev_b32_e32 v11, 2, v0
	v_mbcnt_lo_u32_b32 v32, -1, 0
	v_add_lshl_u32 v31, v9, v0, 3
	v_lshlrev_b32_e32 v9, 3, v0
	v_lshrrev_b32_e32 v12, 5, v10
	v_cmp_eq_u32_e64 s0, 0, v0
	v_cmp_ne_u32_e64 s1, 0, v0
	v_and_b32_e32 v34, 15, v32
	s_movk_i32 s3, 0x64
	v_add_lshl_u32 v33, v12, v10, 3
	s_waitcnt lgkmcnt(0)
	s_and_b32 s2, s2, 0xffff
	s_delay_alu instid0(SALU_CYCLE_1) | instskip(NEXT) | instid1(SALU_CYCLE_1)
	s_mul_i32 s15, s15, s2
	v_add_lshl_u32 v1, s15, v0, 2
	s_delay_alu instid0(VALU_DEP_1) | instskip(NEXT) | instid1(VALU_DEP_1)
	v_lshlrev_b64 v[25:26], 3, v[1:2]
	v_add_co_u32 v5, vcc_lo, s4, v25
	s_delay_alu instid0(VALU_DEP_2)
	v_add_co_ci_u32_e32 v6, vcc_lo, s5, v26, vcc_lo
	v_cmp_gt_u32_e32 vcc_lo, 32, v0
	v_add_lshl_u32 v0, v11, v9, 3
	s_clause 0x1
	global_load_b128 v[1:4], v[5:6], off offset:16
	global_load_b128 v[5:8], v[5:6], off
.LBB146_1:                              ; =>This Inner Loop Header: Depth=1
	s_waitcnt vmcnt(0)
	s_delay_alu instid0(VALU_DEP_2) | instskip(NEXT) | instid1(VALU_DEP_1)
	v_add_f64 v[9:10], v[5:6], v[7:8]
	v_add_f64 v[9:10], v[1:2], v[9:10]
	s_delay_alu instid0(VALU_DEP_1)
	v_add_f64 v[3:4], v[3:4], v[9:10]
	ds_store_b64 v31, v[3:4]
	s_waitcnt lgkmcnt(0)
	s_barrier
	buffer_gl0_inv
	s_and_saveexec_b32 s4, vcc_lo
	s_cbranch_execz .LBB146_13
; %bb.2:                                ;   in Loop: Header=BB146_1 Depth=1
	ds_load_2addr_b64 v[13:16], v0 offset1:1
	ds_load_2addr_b64 v[9:12], v0 offset0:2 offset1:3
	s_mov_b32 s5, exec_lo
	s_waitcnt lgkmcnt(1)
	v_add_f64 v[17:18], v[13:14], v[15:16]
	s_waitcnt lgkmcnt(0)
	s_delay_alu instid0(VALU_DEP_1) | instskip(NEXT) | instid1(VALU_DEP_1)
	v_add_f64 v[17:18], v[17:18], v[9:10]
	v_add_f64 v[27:28], v[17:18], v[11:12]
	ds_load_2addr_b64 v[17:20], v0 offset0:4 offset1:5
	ds_load_2addr_b64 v[21:24], v0 offset0:6 offset1:7
	s_waitcnt lgkmcnt(1)
	v_add_f64 v[27:28], v[27:28], v[17:18]
	s_delay_alu instid0(VALU_DEP_1) | instskip(SKIP_1) | instid1(VALU_DEP_1)
	v_add_f64 v[27:28], v[27:28], v[19:20]
	s_waitcnt lgkmcnt(0)
	v_add_f64 v[27:28], v[27:28], v[21:22]
	s_delay_alu instid0(VALU_DEP_1) | instskip(NEXT) | instid1(VALU_DEP_1)
	v_add_f64 v[27:28], v[27:28], v[23:24]
	v_mov_b32_dpp v29, v27 row_shr:1 row_mask:0xf bank_mask:0xf
	s_delay_alu instid0(VALU_DEP_2)
	v_mov_b32_dpp v30, v28 row_shr:1 row_mask:0xf bank_mask:0xf
	v_cmpx_ne_u32_e32 0, v34
; %bb.3:                                ;   in Loop: Header=BB146_1 Depth=1
	s_delay_alu instid0(VALU_DEP_2)
	v_add_f64 v[27:28], v[27:28], v[29:30]
; %bb.4:                                ;   in Loop: Header=BB146_1 Depth=1
	s_or_b32 exec_lo, exec_lo, s5
	s_delay_alu instid0(VALU_DEP_1) | instskip(NEXT) | instid1(VALU_DEP_2)
	v_mov_b32_dpp v29, v27 row_shr:2 row_mask:0xf bank_mask:0xf
	v_mov_b32_dpp v30, v28 row_shr:2 row_mask:0xf bank_mask:0xf
	s_mov_b32 s5, exec_lo
	v_cmpx_lt_u32_e32 1, v34
; %bb.5:                                ;   in Loop: Header=BB146_1 Depth=1
	s_delay_alu instid0(VALU_DEP_2)
	v_add_f64 v[27:28], v[27:28], v[29:30]
; %bb.6:                                ;   in Loop: Header=BB146_1 Depth=1
	s_or_b32 exec_lo, exec_lo, s5
	s_delay_alu instid0(VALU_DEP_1) | instskip(NEXT) | instid1(VALU_DEP_2)
	v_mov_b32_dpp v29, v27 row_shr:4 row_mask:0xf bank_mask:0xf
	v_mov_b32_dpp v30, v28 row_shr:4 row_mask:0xf bank_mask:0xf
	s_mov_b32 s5, exec_lo
	v_cmpx_lt_u32_e32 3, v34
	;; [unrolled: 10-line block ×3, first 2 shown]
; %bb.9:                                ;   in Loop: Header=BB146_1 Depth=1
	s_delay_alu instid0(VALU_DEP_2)
	v_add_f64 v[27:28], v[27:28], v[29:30]
; %bb.10:                               ;   in Loop: Header=BB146_1 Depth=1
	s_or_b32 exec_lo, exec_lo, s5
	ds_swizzle_b32 v29, v27 offset:swizzle(BROADCAST,32,15)
	ds_swizzle_b32 v30, v28 offset:swizzle(BROADCAST,32,15)
	v_and_b32_e32 v35, 16, v32
	s_mov_b32 s5, exec_lo
	s_delay_alu instid0(VALU_DEP_1)
	v_cmpx_ne_u32_e32 0, v35
	s_cbranch_execz .LBB146_12
; %bb.11:                               ;   in Loop: Header=BB146_1 Depth=1
	s_waitcnt lgkmcnt(0)
	v_add_f64 v[27:28], v[27:28], v[29:30]
.LBB146_12:                             ;   in Loop: Header=BB146_1 Depth=1
	s_or_b32 exec_lo, exec_lo, s5
	s_waitcnt lgkmcnt(1)
	v_add_nc_u32_e32 v29, -1, v32
	s_delay_alu instid0(VALU_DEP_1) | instskip(NEXT) | instid1(VALU_DEP_1)
	v_cmp_gt_i32_e64 s2, 0, v29
	v_cndmask_b32_e64 v29, v29, v32, s2
	s_delay_alu instid0(VALU_DEP_1) | instskip(SKIP_4) | instid1(VALU_DEP_1)
	v_lshlrev_b32_e32 v29, 2, v29
	ds_bpermute_b32 v27, v29, v27
	ds_bpermute_b32 v28, v29, v28
	s_waitcnt lgkmcnt(0)
	v_add_f64 v[13:14], v[13:14], v[27:28]
	v_cndmask_b32_e64 v4, v14, v4, s0
	s_delay_alu instid0(VALU_DEP_2) | instskip(NEXT) | instid1(VALU_DEP_1)
	v_cndmask_b32_e64 v3, v13, v3, s0
	v_add_f64 v[13:14], v[15:16], v[3:4]
	s_delay_alu instid0(VALU_DEP_1) | instskip(NEXT) | instid1(VALU_DEP_1)
	v_add_f64 v[9:10], v[9:10], v[13:14]
	v_add_f64 v[11:12], v[11:12], v[9:10]
	s_delay_alu instid0(VALU_DEP_1) | instskip(NEXT) | instid1(VALU_DEP_1)
	v_add_f64 v[15:16], v[17:18], v[11:12]
	;; [unrolled: 3-line block ×3, first 2 shown]
	v_add_f64 v[21:22], v[23:24], v[19:20]
	ds_store_2addr_b64 v0, v[3:4], v[13:14] offset1:1
	ds_store_2addr_b64 v0, v[9:10], v[11:12] offset0:2 offset1:3
	ds_store_2addr_b64 v0, v[15:16], v[17:18] offset0:4 offset1:5
	;; [unrolled: 1-line block ×3, first 2 shown]
.LBB146_13:                             ;   in Loop: Header=BB146_1 Depth=1
	s_or_b32 exec_lo, exec_lo, s4
	v_dual_mov_b32 v10, s9 :: v_dual_mov_b32 v9, s8
	s_waitcnt lgkmcnt(0)
	s_barrier
	buffer_gl0_inv
	s_and_saveexec_b32 s2, s1
	s_cbranch_execz .LBB146_15
; %bb.14:                               ;   in Loop: Header=BB146_1 Depth=1
	ds_load_b64 v[3:4], v33
	s_waitcnt lgkmcnt(0)
	v_add_f64 v[9:10], v[3:4], s[8:9]
.LBB146_15:                             ;   in Loop: Header=BB146_1 Depth=1
	s_or_b32 exec_lo, exec_lo, s2
	s_delay_alu instid0(VALU_DEP_1) | instskip(SKIP_1) | instid1(SALU_CYCLE_1)
	v_add_f64 v[11:12], v[5:6], v[9:10]
	s_add_i32 s3, s3, -1
	s_cmp_lg_u32 s3, 0
	s_delay_alu instid0(VALU_DEP_1) | instskip(NEXT) | instid1(VALU_DEP_1)
	v_add_f64 v[13:14], v[7:8], v[11:12]
	v_add_f64 v[3:4], v[1:2], v[13:14]
	s_cbranch_scc0 .LBB146_17
; %bb.16:                               ;   in Loop: Header=BB146_1 Depth=1
	v_dual_mov_b32 v5, v9 :: v_dual_mov_b32 v6, v10
	v_dual_mov_b32 v7, v11 :: v_dual_mov_b32 v8, v12
	;; [unrolled: 1-line block ×3, first 2 shown]
	s_branch .LBB146_1
.LBB146_17:
	v_add_co_u32 v0, vcc_lo, s6, v25
	v_add_co_ci_u32_e32 v1, vcc_lo, s7, v26, vcc_lo
	s_delay_alu instid0(VALU_DEP_3)
	v_dual_mov_b32 v15, v3 :: v_dual_mov_b32 v16, v4
	s_clause 0x1
	global_store_b128 v[0:1], v[9:12], off
	global_store_b128 v[0:1], v[13:16], off offset:16
	s_nop 0
	s_sendmsg sendmsg(MSG_DEALLOC_VGPRS)
	s_endpgm
	.section	.rodata,"a",@progbits
	.p2align	6, 0x0
	.amdhsa_kernel _Z6kernelI14exclusive_scanILN6hipcub18BlockScanAlgorithmE1EEdLj256ELj4ELj100EEvPKT0_PS4_S4_
		.amdhsa_group_segment_fixed_size 2112
		.amdhsa_private_segment_fixed_size 0
		.amdhsa_kernarg_size 280
		.amdhsa_user_sgpr_count 15
		.amdhsa_user_sgpr_dispatch_ptr 0
		.amdhsa_user_sgpr_queue_ptr 0
		.amdhsa_user_sgpr_kernarg_segment_ptr 1
		.amdhsa_user_sgpr_dispatch_id 0
		.amdhsa_user_sgpr_private_segment_size 0
		.amdhsa_wavefront_size32 1
		.amdhsa_uses_dynamic_stack 0
		.amdhsa_enable_private_segment 0
		.amdhsa_system_sgpr_workgroup_id_x 1
		.amdhsa_system_sgpr_workgroup_id_y 0
		.amdhsa_system_sgpr_workgroup_id_z 0
		.amdhsa_system_sgpr_workgroup_info 0
		.amdhsa_system_vgpr_workitem_id 0
		.amdhsa_next_free_vgpr 36
		.amdhsa_next_free_sgpr 16
		.amdhsa_reserve_vcc 1
		.amdhsa_float_round_mode_32 0
		.amdhsa_float_round_mode_16_64 0
		.amdhsa_float_denorm_mode_32 3
		.amdhsa_float_denorm_mode_16_64 3
		.amdhsa_dx10_clamp 1
		.amdhsa_ieee_mode 1
		.amdhsa_fp16_overflow 0
		.amdhsa_workgroup_processor_mode 1
		.amdhsa_memory_ordered 1
		.amdhsa_forward_progress 0
		.amdhsa_shared_vgpr_count 0
		.amdhsa_exception_fp_ieee_invalid_op 0
		.amdhsa_exception_fp_denorm_src 0
		.amdhsa_exception_fp_ieee_div_zero 0
		.amdhsa_exception_fp_ieee_overflow 0
		.amdhsa_exception_fp_ieee_underflow 0
		.amdhsa_exception_fp_ieee_inexact 0
		.amdhsa_exception_int_div_zero 0
	.end_amdhsa_kernel
	.section	.text._Z6kernelI14exclusive_scanILN6hipcub18BlockScanAlgorithmE1EEdLj256ELj4ELj100EEvPKT0_PS4_S4_,"axG",@progbits,_Z6kernelI14exclusive_scanILN6hipcub18BlockScanAlgorithmE1EEdLj256ELj4ELj100EEvPKT0_PS4_S4_,comdat
.Lfunc_end146:
	.size	_Z6kernelI14exclusive_scanILN6hipcub18BlockScanAlgorithmE1EEdLj256ELj4ELj100EEvPKT0_PS4_S4_, .Lfunc_end146-_Z6kernelI14exclusive_scanILN6hipcub18BlockScanAlgorithmE1EEdLj256ELj4ELj100EEvPKT0_PS4_S4_
                                        ; -- End function
	.section	.AMDGPU.csdata,"",@progbits
; Kernel info:
; codeLenInByte = 972
; NumSgprs: 18
; NumVgprs: 36
; ScratchSize: 0
; MemoryBound: 0
; FloatMode: 240
; IeeeMode: 1
; LDSByteSize: 2112 bytes/workgroup (compile time only)
; SGPRBlocks: 2
; VGPRBlocks: 4
; NumSGPRsForWavesPerEU: 18
; NumVGPRsForWavesPerEU: 36
; Occupancy: 16
; WaveLimiterHint : 0
; COMPUTE_PGM_RSRC2:SCRATCH_EN: 0
; COMPUTE_PGM_RSRC2:USER_SGPR: 15
; COMPUTE_PGM_RSRC2:TRAP_HANDLER: 0
; COMPUTE_PGM_RSRC2:TGID_X_EN: 1
; COMPUTE_PGM_RSRC2:TGID_Y_EN: 0
; COMPUTE_PGM_RSRC2:TGID_Z_EN: 0
; COMPUTE_PGM_RSRC2:TIDIG_COMP_CNT: 0
	.section	.text._Z6kernelI14exclusive_scanILN6hipcub18BlockScanAlgorithmE1EEdLj256ELj8ELj100EEvPKT0_PS4_S4_,"axG",@progbits,_Z6kernelI14exclusive_scanILN6hipcub18BlockScanAlgorithmE1EEdLj256ELj8ELj100EEvPKT0_PS4_S4_,comdat
	.protected	_Z6kernelI14exclusive_scanILN6hipcub18BlockScanAlgorithmE1EEdLj256ELj8ELj100EEvPKT0_PS4_S4_ ; -- Begin function _Z6kernelI14exclusive_scanILN6hipcub18BlockScanAlgorithmE1EEdLj256ELj8ELj100EEvPKT0_PS4_S4_
	.globl	_Z6kernelI14exclusive_scanILN6hipcub18BlockScanAlgorithmE1EEdLj256ELj8ELj100EEvPKT0_PS4_S4_
	.p2align	8
	.type	_Z6kernelI14exclusive_scanILN6hipcub18BlockScanAlgorithmE1EEdLj256ELj8ELj100EEvPKT0_PS4_S4_,@function
_Z6kernelI14exclusive_scanILN6hipcub18BlockScanAlgorithmE1EEdLj256ELj8ELj100EEvPKT0_PS4_S4_: ; @_Z6kernelI14exclusive_scanILN6hipcub18BlockScanAlgorithmE1EEdLj256ELj8ELj100EEvPKT0_PS4_S4_
; %bb.0:
	s_clause 0x1
	s_load_b32 s2, s[0:1], 0x24
	s_load_b128 s[4:7], s[0:1], 0x0
	v_mov_b32_e32 v2, 0
	v_lshrrev_b32_e32 v17, 5, v0
	s_load_b64 s[8:9], s[0:1], 0x10
	v_add_nc_u32_e32 v18, -1, v0
	v_lshrrev_b32_e32 v19, 2, v0
	v_mbcnt_lo_u32_b32 v40, -1, 0
	v_add_lshl_u32 v39, v17, v0, 3
	v_lshlrev_b32_e32 v17, 3, v0
	v_lshrrev_b32_e32 v20, 5, v18
	v_cmp_eq_u32_e64 s0, 0, v0
	v_cmp_ne_u32_e64 s1, 0, v0
	v_and_b32_e32 v42, 15, v40
	s_movk_i32 s3, 0x64
	v_add_lshl_u32 v41, v20, v18, 3
	s_waitcnt lgkmcnt(0)
	s_and_b32 s2, s2, 0xffff
	s_delay_alu instid0(SALU_CYCLE_1) | instskip(NEXT) | instid1(SALU_CYCLE_1)
	s_mul_i32 s15, s15, s2
	v_add_lshl_u32 v1, s15, v0, 3
	s_delay_alu instid0(VALU_DEP_1) | instskip(NEXT) | instid1(VALU_DEP_1)
	v_lshlrev_b64 v[33:34], 3, v[1:2]
	v_add_co_u32 v13, vcc_lo, s4, v33
	s_delay_alu instid0(VALU_DEP_2)
	v_add_co_ci_u32_e32 v14, vcc_lo, s5, v34, vcc_lo
	v_cmp_gt_u32_e32 vcc_lo, 32, v0
	v_add_lshl_u32 v0, v19, v17, 3
	s_clause 0x3
	global_load_b128 v[1:4], v[13:14], off offset:48
	global_load_b128 v[5:8], v[13:14], off offset:32
	;; [unrolled: 1-line block ×3, first 2 shown]
	global_load_b128 v[13:16], v[13:14], off
.LBB147_1:                              ; =>This Inner Loop Header: Depth=1
	s_waitcnt vmcnt(0)
	s_delay_alu instid0(VALU_DEP_1) | instskip(NEXT) | instid1(VALU_DEP_1)
	v_add_f64 v[17:18], v[15:16], v[13:14]
	v_add_f64 v[17:18], v[9:10], v[17:18]
	s_delay_alu instid0(VALU_DEP_1) | instskip(NEXT) | instid1(VALU_DEP_1)
	v_add_f64 v[17:18], v[11:12], v[17:18]
	v_add_f64 v[17:18], v[5:6], v[17:18]
	;; [unrolled: 3-line block ×3, first 2 shown]
	s_delay_alu instid0(VALU_DEP_1)
	v_add_f64 v[3:4], v[3:4], v[17:18]
	ds_store_b64 v39, v[3:4]
	s_waitcnt lgkmcnt(0)
	s_barrier
	buffer_gl0_inv
	s_and_saveexec_b32 s4, vcc_lo
	s_cbranch_execz .LBB147_13
; %bb.2:                                ;   in Loop: Header=BB147_1 Depth=1
	ds_load_2addr_b64 v[21:24], v0 offset1:1
	ds_load_2addr_b64 v[17:20], v0 offset0:2 offset1:3
	s_mov_b32 s5, exec_lo
	s_waitcnt lgkmcnt(1)
	v_add_f64 v[25:26], v[21:22], v[23:24]
	s_waitcnt lgkmcnt(0)
	s_delay_alu instid0(VALU_DEP_1) | instskip(NEXT) | instid1(VALU_DEP_1)
	v_add_f64 v[25:26], v[25:26], v[17:18]
	v_add_f64 v[35:36], v[25:26], v[19:20]
	ds_load_2addr_b64 v[25:28], v0 offset0:4 offset1:5
	ds_load_2addr_b64 v[29:32], v0 offset0:6 offset1:7
	s_waitcnt lgkmcnt(1)
	v_add_f64 v[35:36], v[35:36], v[25:26]
	s_delay_alu instid0(VALU_DEP_1) | instskip(SKIP_1) | instid1(VALU_DEP_1)
	v_add_f64 v[35:36], v[35:36], v[27:28]
	s_waitcnt lgkmcnt(0)
	v_add_f64 v[35:36], v[35:36], v[29:30]
	s_delay_alu instid0(VALU_DEP_1) | instskip(NEXT) | instid1(VALU_DEP_1)
	v_add_f64 v[35:36], v[35:36], v[31:32]
	v_mov_b32_dpp v37, v35 row_shr:1 row_mask:0xf bank_mask:0xf
	s_delay_alu instid0(VALU_DEP_2)
	v_mov_b32_dpp v38, v36 row_shr:1 row_mask:0xf bank_mask:0xf
	v_cmpx_ne_u32_e32 0, v42
; %bb.3:                                ;   in Loop: Header=BB147_1 Depth=1
	s_delay_alu instid0(VALU_DEP_2)
	v_add_f64 v[35:36], v[35:36], v[37:38]
; %bb.4:                                ;   in Loop: Header=BB147_1 Depth=1
	s_or_b32 exec_lo, exec_lo, s5
	s_delay_alu instid0(VALU_DEP_1) | instskip(NEXT) | instid1(VALU_DEP_2)
	v_mov_b32_dpp v37, v35 row_shr:2 row_mask:0xf bank_mask:0xf
	v_mov_b32_dpp v38, v36 row_shr:2 row_mask:0xf bank_mask:0xf
	s_mov_b32 s5, exec_lo
	v_cmpx_lt_u32_e32 1, v42
; %bb.5:                                ;   in Loop: Header=BB147_1 Depth=1
	s_delay_alu instid0(VALU_DEP_2)
	v_add_f64 v[35:36], v[35:36], v[37:38]
; %bb.6:                                ;   in Loop: Header=BB147_1 Depth=1
	s_or_b32 exec_lo, exec_lo, s5
	s_delay_alu instid0(VALU_DEP_1) | instskip(NEXT) | instid1(VALU_DEP_2)
	v_mov_b32_dpp v37, v35 row_shr:4 row_mask:0xf bank_mask:0xf
	v_mov_b32_dpp v38, v36 row_shr:4 row_mask:0xf bank_mask:0xf
	s_mov_b32 s5, exec_lo
	v_cmpx_lt_u32_e32 3, v42
	;; [unrolled: 10-line block ×3, first 2 shown]
; %bb.9:                                ;   in Loop: Header=BB147_1 Depth=1
	s_delay_alu instid0(VALU_DEP_2)
	v_add_f64 v[35:36], v[35:36], v[37:38]
; %bb.10:                               ;   in Loop: Header=BB147_1 Depth=1
	s_or_b32 exec_lo, exec_lo, s5
	ds_swizzle_b32 v37, v35 offset:swizzle(BROADCAST,32,15)
	ds_swizzle_b32 v38, v36 offset:swizzle(BROADCAST,32,15)
	v_and_b32_e32 v43, 16, v40
	s_mov_b32 s5, exec_lo
	s_delay_alu instid0(VALU_DEP_1)
	v_cmpx_ne_u32_e32 0, v43
	s_cbranch_execz .LBB147_12
; %bb.11:                               ;   in Loop: Header=BB147_1 Depth=1
	s_waitcnt lgkmcnt(0)
	v_add_f64 v[35:36], v[35:36], v[37:38]
.LBB147_12:                             ;   in Loop: Header=BB147_1 Depth=1
	s_or_b32 exec_lo, exec_lo, s5
	s_waitcnt lgkmcnt(1)
	v_add_nc_u32_e32 v37, -1, v40
	s_delay_alu instid0(VALU_DEP_1) | instskip(NEXT) | instid1(VALU_DEP_1)
	v_cmp_gt_i32_e64 s2, 0, v37
	v_cndmask_b32_e64 v37, v37, v40, s2
	s_delay_alu instid0(VALU_DEP_1) | instskip(SKIP_4) | instid1(VALU_DEP_1)
	v_lshlrev_b32_e32 v37, 2, v37
	ds_bpermute_b32 v35, v37, v35
	ds_bpermute_b32 v36, v37, v36
	s_waitcnt lgkmcnt(0)
	v_add_f64 v[21:22], v[21:22], v[35:36]
	v_cndmask_b32_e64 v4, v22, v4, s0
	s_delay_alu instid0(VALU_DEP_2) | instskip(NEXT) | instid1(VALU_DEP_1)
	v_cndmask_b32_e64 v3, v21, v3, s0
	v_add_f64 v[21:22], v[23:24], v[3:4]
	s_delay_alu instid0(VALU_DEP_1) | instskip(NEXT) | instid1(VALU_DEP_1)
	v_add_f64 v[17:18], v[17:18], v[21:22]
	v_add_f64 v[19:20], v[19:20], v[17:18]
	s_delay_alu instid0(VALU_DEP_1) | instskip(NEXT) | instid1(VALU_DEP_1)
	v_add_f64 v[23:24], v[25:26], v[19:20]
	;; [unrolled: 3-line block ×3, first 2 shown]
	v_add_f64 v[29:30], v[31:32], v[27:28]
	ds_store_2addr_b64 v0, v[3:4], v[21:22] offset1:1
	ds_store_2addr_b64 v0, v[17:18], v[19:20] offset0:2 offset1:3
	ds_store_2addr_b64 v0, v[23:24], v[25:26] offset0:4 offset1:5
	;; [unrolled: 1-line block ×3, first 2 shown]
.LBB147_13:                             ;   in Loop: Header=BB147_1 Depth=1
	s_or_b32 exec_lo, exec_lo, s4
	v_dual_mov_b32 v18, s9 :: v_dual_mov_b32 v17, s8
	s_waitcnt lgkmcnt(0)
	s_barrier
	buffer_gl0_inv
	s_and_saveexec_b32 s2, s1
	s_cbranch_execz .LBB147_15
; %bb.14:                               ;   in Loop: Header=BB147_1 Depth=1
	ds_load_b64 v[3:4], v41
	s_waitcnt lgkmcnt(0)
	v_add_f64 v[17:18], v[3:4], s[8:9]
.LBB147_15:                             ;   in Loop: Header=BB147_1 Depth=1
	s_or_b32 exec_lo, exec_lo, s2
	s_delay_alu instid0(VALU_DEP_1) | instskip(SKIP_1) | instid1(SALU_CYCLE_1)
	v_add_f64 v[19:20], v[13:14], v[17:18]
	s_add_i32 s3, s3, -1
	s_cmp_lg_u32 s3, 0
	s_delay_alu instid0(VALU_DEP_1) | instskip(NEXT) | instid1(VALU_DEP_1)
	v_add_f64 v[13:14], v[15:16], v[19:20]
	v_add_f64 v[15:16], v[9:10], v[13:14]
	s_delay_alu instid0(VALU_DEP_1) | instskip(NEXT) | instid1(VALU_DEP_1)
	v_add_f64 v[9:10], v[11:12], v[15:16]
	v_add_f64 v[11:12], v[5:6], v[9:10]
	;; [unrolled: 3-line block ×3, first 2 shown]
	s_cbranch_scc0 .LBB147_17
; %bb.16:                               ;   in Loop: Header=BB147_1 Depth=1
	v_dual_mov_b32 v1, v5 :: v_dual_mov_b32 v2, v6
	v_dual_mov_b32 v7, v11 :: v_dual_mov_b32 v8, v12
	;; [unrolled: 1-line block ×7, first 2 shown]
	s_branch .LBB147_1
.LBB147_17:
	v_add_co_u32 v0, vcc_lo, s6, v33
	v_add_co_ci_u32_e32 v1, vcc_lo, s7, v34, vcc_lo
	s_delay_alu instid0(VALU_DEP_3)
	v_dual_mov_b32 v7, v3 :: v_dual_mov_b32 v8, v4
	s_clause 0x3
	global_store_b128 v[0:1], v[17:20], off
	global_store_b128 v[0:1], v[13:16], off offset:16
	global_store_b128 v[0:1], v[9:12], off offset:32
	;; [unrolled: 1-line block ×3, first 2 shown]
	s_nop 0
	s_sendmsg sendmsg(MSG_DEALLOC_VGPRS)
	s_endpgm
	.section	.rodata,"a",@progbits
	.p2align	6, 0x0
	.amdhsa_kernel _Z6kernelI14exclusive_scanILN6hipcub18BlockScanAlgorithmE1EEdLj256ELj8ELj100EEvPKT0_PS4_S4_
		.amdhsa_group_segment_fixed_size 2112
		.amdhsa_private_segment_fixed_size 0
		.amdhsa_kernarg_size 280
		.amdhsa_user_sgpr_count 15
		.amdhsa_user_sgpr_dispatch_ptr 0
		.amdhsa_user_sgpr_queue_ptr 0
		.amdhsa_user_sgpr_kernarg_segment_ptr 1
		.amdhsa_user_sgpr_dispatch_id 0
		.amdhsa_user_sgpr_private_segment_size 0
		.amdhsa_wavefront_size32 1
		.amdhsa_uses_dynamic_stack 0
		.amdhsa_enable_private_segment 0
		.amdhsa_system_sgpr_workgroup_id_x 1
		.amdhsa_system_sgpr_workgroup_id_y 0
		.amdhsa_system_sgpr_workgroup_id_z 0
		.amdhsa_system_sgpr_workgroup_info 0
		.amdhsa_system_vgpr_workitem_id 0
		.amdhsa_next_free_vgpr 44
		.amdhsa_next_free_sgpr 16
		.amdhsa_reserve_vcc 1
		.amdhsa_float_round_mode_32 0
		.amdhsa_float_round_mode_16_64 0
		.amdhsa_float_denorm_mode_32 3
		.amdhsa_float_denorm_mode_16_64 3
		.amdhsa_dx10_clamp 1
		.amdhsa_ieee_mode 1
		.amdhsa_fp16_overflow 0
		.amdhsa_workgroup_processor_mode 1
		.amdhsa_memory_ordered 1
		.amdhsa_forward_progress 0
		.amdhsa_shared_vgpr_count 0
		.amdhsa_exception_fp_ieee_invalid_op 0
		.amdhsa_exception_fp_denorm_src 0
		.amdhsa_exception_fp_ieee_div_zero 0
		.amdhsa_exception_fp_ieee_overflow 0
		.amdhsa_exception_fp_ieee_underflow 0
		.amdhsa_exception_fp_ieee_inexact 0
		.amdhsa_exception_int_div_zero 0
	.end_amdhsa_kernel
	.section	.text._Z6kernelI14exclusive_scanILN6hipcub18BlockScanAlgorithmE1EEdLj256ELj8ELj100EEvPKT0_PS4_S4_,"axG",@progbits,_Z6kernelI14exclusive_scanILN6hipcub18BlockScanAlgorithmE1EEdLj256ELj8ELj100EEvPKT0_PS4_S4_,comdat
.Lfunc_end147:
	.size	_Z6kernelI14exclusive_scanILN6hipcub18BlockScanAlgorithmE1EEdLj256ELj8ELj100EEvPKT0_PS4_S4_, .Lfunc_end147-_Z6kernelI14exclusive_scanILN6hipcub18BlockScanAlgorithmE1EEdLj256ELj8ELj100EEvPKT0_PS4_S4_
                                        ; -- End function
	.section	.AMDGPU.csdata,"",@progbits
; Kernel info:
; codeLenInByte = 1116
; NumSgprs: 18
; NumVgprs: 44
; ScratchSize: 0
; MemoryBound: 0
; FloatMode: 240
; IeeeMode: 1
; LDSByteSize: 2112 bytes/workgroup (compile time only)
; SGPRBlocks: 2
; VGPRBlocks: 5
; NumSGPRsForWavesPerEU: 18
; NumVGPRsForWavesPerEU: 44
; Occupancy: 16
; WaveLimiterHint : 0
; COMPUTE_PGM_RSRC2:SCRATCH_EN: 0
; COMPUTE_PGM_RSRC2:USER_SGPR: 15
; COMPUTE_PGM_RSRC2:TRAP_HANDLER: 0
; COMPUTE_PGM_RSRC2:TGID_X_EN: 1
; COMPUTE_PGM_RSRC2:TGID_Y_EN: 0
; COMPUTE_PGM_RSRC2:TGID_Z_EN: 0
; COMPUTE_PGM_RSRC2:TIDIG_COMP_CNT: 0
	.section	.text._Z6kernelI14exclusive_scanILN6hipcub18BlockScanAlgorithmE1EEdLj256ELj11ELj100EEvPKT0_PS4_S4_,"axG",@progbits,_Z6kernelI14exclusive_scanILN6hipcub18BlockScanAlgorithmE1EEdLj256ELj11ELj100EEvPKT0_PS4_S4_,comdat
	.protected	_Z6kernelI14exclusive_scanILN6hipcub18BlockScanAlgorithmE1EEdLj256ELj11ELj100EEvPKT0_PS4_S4_ ; -- Begin function _Z6kernelI14exclusive_scanILN6hipcub18BlockScanAlgorithmE1EEdLj256ELj11ELj100EEvPKT0_PS4_S4_
	.globl	_Z6kernelI14exclusive_scanILN6hipcub18BlockScanAlgorithmE1EEdLj256ELj11ELj100EEvPKT0_PS4_S4_
	.p2align	8
	.type	_Z6kernelI14exclusive_scanILN6hipcub18BlockScanAlgorithmE1EEdLj256ELj11ELj100EEvPKT0_PS4_S4_,@function
_Z6kernelI14exclusive_scanILN6hipcub18BlockScanAlgorithmE1EEdLj256ELj11ELj100EEvPKT0_PS4_S4_: ; @_Z6kernelI14exclusive_scanILN6hipcub18BlockScanAlgorithmE1EEdLj256ELj11ELj100EEvPKT0_PS4_S4_
; %bb.0:
	s_clause 0x2
	s_load_b32 s2, s[0:1], 0x24
	s_load_b128 s[4:7], s[0:1], 0x0
	s_load_b64 s[8:9], s[0:1], 0x10
	v_cmp_eq_u32_e64 s0, 0, v0
	v_cmp_ne_u32_e64 s1, 0, v0
	v_mbcnt_lo_u32_b32 v67, -1, 0
	s_movk_i32 s3, 0x64
	s_waitcnt lgkmcnt(0)
	s_and_b32 s2, s2, 0xffff
	s_delay_alu instid0(SALU_CYCLE_1) | instskip(NEXT) | instid1(VALU_DEP_1)
	v_mad_u64_u32 v[1:2], null, s15, s2, v[0:1]
	v_mul_lo_u32 v1, v1, 11
	s_delay_alu instid0(VALU_DEP_1) | instskip(NEXT) | instid1(VALU_DEP_1)
	v_dual_mov_b32 v2, 0 :: v_dual_add_nc_u32 v3, 1, v1
	v_dual_mov_b32 v4, v2 :: v_dual_add_nc_u32 v5, 2, v1
	v_lshlrev_b64 v[30:31], 3, v[1:2]
	v_dual_mov_b32 v6, v2 :: v_dual_add_nc_u32 v7, 3, v1
	s_delay_alu instid0(VALU_DEP_3) | instskip(SKIP_1) | instid1(VALU_DEP_3)
	v_lshlrev_b64 v[32:33], 3, v[3:4]
	v_dual_mov_b32 v8, v2 :: v_dual_add_nc_u32 v9, 4, v1
	v_lshlrev_b64 v[28:29], 3, v[5:6]
	v_add_co_u32 v3, vcc_lo, s4, v30
	v_add_co_ci_u32_e32 v4, vcc_lo, s5, v31, vcc_lo
	v_dual_mov_b32 v10, v2 :: v_dual_add_nc_u32 v11, 5, v1
	v_lshlrev_b64 v[24:25], 3, v[7:8]
	v_add_co_u32 v5, vcc_lo, s4, v32
	v_add_co_ci_u32_e32 v6, vcc_lo, s5, v33, vcc_lo
	v_dual_mov_b32 v12, v2 :: v_dual_add_nc_u32 v13, 6, v1
	v_add_co_u32 v7, vcc_lo, s4, v28
	v_lshlrev_b64 v[20:21], 3, v[9:10]
	v_add_co_ci_u32_e32 v8, vcc_lo, s5, v29, vcc_lo
	v_mov_b32_e32 v14, v2
	v_add_co_u32 v9, vcc_lo, s4, v24
	v_lshlrev_b64 v[18:19], 3, v[11:12]
	v_add_co_ci_u32_e32 v10, vcc_lo, s5, v25, vcc_lo
	v_dual_mov_b32 v23, v2 :: v_dual_add_nc_u32 v22, 7, v1
	s_clause 0x3
	global_load_b64 v[44:45], v[3:4], off
	global_load_b64 v[42:43], v[5:6], off
	;; [unrolled: 1-line block ×4, first 2 shown]
	v_dual_mov_b32 v6, v2 :: v_dual_add_nc_u32 v5, 8, v1
	v_lshlrev_b64 v[16:17], 3, v[13:14]
	v_add_co_u32 v11, vcc_lo, s4, v20
	v_add_co_ci_u32_e32 v12, vcc_lo, s5, v21, vcc_lo
	v_add_co_u32 v3, vcc_lo, s4, v18
	v_lshlrev_b64 v[22:23], 3, v[22:23]
	v_lshlrev_b64 v[26:27], 3, v[5:6]
	v_add_nc_u32_e32 v5, 9, v1
	v_add_co_ci_u32_e32 v4, vcc_lo, s5, v19, vcc_lo
	v_add_co_u32 v7, vcc_lo, s4, v16
	v_add_nc_u32_e32 v1, 10, v1
	v_add_co_ci_u32_e32 v8, vcc_lo, s5, v17, vcc_lo
	v_add_co_u32 v9, vcc_lo, s4, v22
	v_lshlrev_b64 v[34:35], 3, v[5:6]
	v_add_co_ci_u32_e32 v10, vcc_lo, s5, v23, vcc_lo
	v_add_co_u32 v5, vcc_lo, s4, v26
	v_lshlrev_b64 v[36:37], 3, v[1:2]
	v_add_co_ci_u32_e32 v6, vcc_lo, s5, v27, vcc_lo
	v_add_co_u32 v1, vcc_lo, s4, v34
	v_add_co_ci_u32_e32 v2, vcc_lo, s5, v35, vcc_lo
	s_delay_alu instid0(VALU_DEP_4)
	v_add_co_u32 v13, vcc_lo, s4, v36
	v_add_co_ci_u32_e32 v14, vcc_lo, s5, v37, vcc_lo
	s_clause 0x6
	global_load_b64 v[56:57], v[11:12], off
	global_load_b64 v[54:55], v[3:4], off
	;; [unrolled: 1-line block ×7, first 2 shown]
	v_lshrrev_b32_e32 v3, 5, v0
	v_add_nc_u32_e32 v4, -1, v0
	v_lshrrev_b32_e32 v5, 2, v0
	v_cmp_gt_u32_e32 vcc_lo, 32, v0
	s_delay_alu instid0(VALU_DEP_4) | instskip(SKIP_2) | instid1(VALU_DEP_2)
	v_add_lshl_u32 v64, v3, v0, 3
	v_lshlrev_b32_e32 v3, 3, v0
	v_lshrrev_b32_e32 v6, 5, v4
	v_add_lshl_u32 v65, v5, v3, 3
	s_delay_alu instid0(VALU_DEP_2)
	v_add_lshl_u32 v66, v6, v4, 3
.LBB148_1:                              ; =>This Inner Loop Header: Depth=1
	s_waitcnt vmcnt(9)
	s_delay_alu instid0(VALU_DEP_1) | instskip(SKIP_1) | instid1(VALU_DEP_1)
	v_add_f64 v[3:4], v[42:43], v[44:45]
	s_waitcnt vmcnt(8)
	v_add_f64 v[3:4], v[40:41], v[3:4]
	s_waitcnt vmcnt(7)
	s_delay_alu instid0(VALU_DEP_1) | instskip(SKIP_1) | instid1(VALU_DEP_1)
	v_add_f64 v[3:4], v[38:39], v[3:4]
	s_waitcnt vmcnt(6)
	v_add_f64 v[3:4], v[56:57], v[3:4]
	;; [unrolled: 5-line block ×5, first 2 shown]
	ds_store_b64 v64, v[58:59]
	s_waitcnt lgkmcnt(0)
	s_barrier
	buffer_gl0_inv
	s_and_saveexec_b32 s4, vcc_lo
	s_cbranch_execz .LBB148_13
; %bb.2:                                ;   in Loop: Header=BB148_1 Depth=1
	ds_load_2addr_b64 v[4:7], v65 offset1:1
	ds_load_2addr_b64 v[0:3], v65 offset0:2 offset1:3
	v_and_b32_e32 v68, 15, v67
	s_mov_b32 s5, exec_lo
	s_waitcnt lgkmcnt(1)
	v_add_f64 v[8:9], v[4:5], v[6:7]
	s_waitcnt lgkmcnt(0)
	s_delay_alu instid0(VALU_DEP_1) | instskip(NEXT) | instid1(VALU_DEP_1)
	v_add_f64 v[8:9], v[8:9], v[0:1]
	v_add_f64 v[60:61], v[8:9], v[2:3]
	ds_load_2addr_b64 v[8:11], v65 offset0:4 offset1:5
	ds_load_2addr_b64 v[12:15], v65 offset0:6 offset1:7
	s_waitcnt lgkmcnt(1)
	v_add_f64 v[60:61], v[60:61], v[8:9]
	s_delay_alu instid0(VALU_DEP_1) | instskip(SKIP_1) | instid1(VALU_DEP_1)
	v_add_f64 v[60:61], v[60:61], v[10:11]
	s_waitcnt lgkmcnt(0)
	v_add_f64 v[60:61], v[60:61], v[12:13]
	s_delay_alu instid0(VALU_DEP_1) | instskip(NEXT) | instid1(VALU_DEP_1)
	v_add_f64 v[60:61], v[60:61], v[14:15]
	v_mov_b32_dpp v62, v60 row_shr:1 row_mask:0xf bank_mask:0xf
	s_delay_alu instid0(VALU_DEP_2)
	v_mov_b32_dpp v63, v61 row_shr:1 row_mask:0xf bank_mask:0xf
	v_cmpx_ne_u32_e32 0, v68
; %bb.3:                                ;   in Loop: Header=BB148_1 Depth=1
	s_delay_alu instid0(VALU_DEP_2)
	v_add_f64 v[60:61], v[60:61], v[62:63]
; %bb.4:                                ;   in Loop: Header=BB148_1 Depth=1
	s_or_b32 exec_lo, exec_lo, s5
	s_delay_alu instid0(VALU_DEP_1) | instskip(NEXT) | instid1(VALU_DEP_2)
	v_mov_b32_dpp v62, v60 row_shr:2 row_mask:0xf bank_mask:0xf
	v_mov_b32_dpp v63, v61 row_shr:2 row_mask:0xf bank_mask:0xf
	s_mov_b32 s5, exec_lo
	v_cmpx_lt_u32_e32 1, v68
; %bb.5:                                ;   in Loop: Header=BB148_1 Depth=1
	s_delay_alu instid0(VALU_DEP_2)
	v_add_f64 v[60:61], v[60:61], v[62:63]
; %bb.6:                                ;   in Loop: Header=BB148_1 Depth=1
	s_or_b32 exec_lo, exec_lo, s5
	s_delay_alu instid0(VALU_DEP_1) | instskip(NEXT) | instid1(VALU_DEP_2)
	v_mov_b32_dpp v62, v60 row_shr:4 row_mask:0xf bank_mask:0xf
	v_mov_b32_dpp v63, v61 row_shr:4 row_mask:0xf bank_mask:0xf
	s_mov_b32 s5, exec_lo
	v_cmpx_lt_u32_e32 3, v68
	;; [unrolled: 10-line block ×3, first 2 shown]
; %bb.9:                                ;   in Loop: Header=BB148_1 Depth=1
	s_delay_alu instid0(VALU_DEP_2)
	v_add_f64 v[60:61], v[60:61], v[62:63]
; %bb.10:                               ;   in Loop: Header=BB148_1 Depth=1
	s_or_b32 exec_lo, exec_lo, s5
	ds_swizzle_b32 v62, v60 offset:swizzle(BROADCAST,32,15)
	ds_swizzle_b32 v63, v61 offset:swizzle(BROADCAST,32,15)
	v_and_b32_e32 v68, 16, v67
	s_mov_b32 s5, exec_lo
	s_delay_alu instid0(VALU_DEP_1)
	v_cmpx_ne_u32_e32 0, v68
	s_cbranch_execz .LBB148_12
; %bb.11:                               ;   in Loop: Header=BB148_1 Depth=1
	s_waitcnt lgkmcnt(0)
	v_add_f64 v[60:61], v[60:61], v[62:63]
.LBB148_12:                             ;   in Loop: Header=BB148_1 Depth=1
	s_or_b32 exec_lo, exec_lo, s5
	s_waitcnt lgkmcnt(1)
	v_add_nc_u32_e32 v62, -1, v67
	s_delay_alu instid0(VALU_DEP_1) | instskip(NEXT) | instid1(VALU_DEP_1)
	v_cmp_gt_i32_e64 s2, 0, v62
	v_cndmask_b32_e64 v62, v62, v67, s2
	s_delay_alu instid0(VALU_DEP_1) | instskip(SKIP_4) | instid1(VALU_DEP_1)
	v_lshlrev_b32_e32 v62, 2, v62
	ds_bpermute_b32 v60, v62, v60
	ds_bpermute_b32 v61, v62, v61
	s_waitcnt lgkmcnt(0)
	v_add_f64 v[4:5], v[4:5], v[60:61]
	v_cndmask_b32_e64 v5, v5, v59, s0
	s_delay_alu instid0(VALU_DEP_2) | instskip(NEXT) | instid1(VALU_DEP_1)
	v_cndmask_b32_e64 v4, v4, v58, s0
	v_add_f64 v[6:7], v[6:7], v[4:5]
	s_delay_alu instid0(VALU_DEP_1) | instskip(NEXT) | instid1(VALU_DEP_1)
	v_add_f64 v[0:1], v[0:1], v[6:7]
	v_add_f64 v[2:3], v[2:3], v[0:1]
	s_delay_alu instid0(VALU_DEP_1) | instskip(NEXT) | instid1(VALU_DEP_1)
	v_add_f64 v[8:9], v[8:9], v[2:3]
	;; [unrolled: 3-line block ×3, first 2 shown]
	v_add_f64 v[14:15], v[14:15], v[12:13]
	ds_store_2addr_b64 v65, v[4:5], v[6:7] offset1:1
	ds_store_2addr_b64 v65, v[0:1], v[2:3] offset0:2 offset1:3
	ds_store_2addr_b64 v65, v[8:9], v[10:11] offset0:4 offset1:5
	ds_store_2addr_b64 v65, v[12:13], v[14:15] offset0:6 offset1:7
.LBB148_13:                             ;   in Loop: Header=BB148_1 Depth=1
	s_or_b32 exec_lo, exec_lo, s4
	v_dual_mov_b32 v59, s9 :: v_dual_mov_b32 v58, s8
	s_waitcnt lgkmcnt(0)
	s_barrier
	buffer_gl0_inv
	s_and_saveexec_b32 s2, s1
	s_cbranch_execz .LBB148_15
; %bb.14:                               ;   in Loop: Header=BB148_1 Depth=1
	ds_load_b64 v[0:1], v66
	s_waitcnt lgkmcnt(0)
	v_add_f64 v[58:59], v[0:1], s[8:9]
.LBB148_15:                             ;   in Loop: Header=BB148_1 Depth=1
	s_or_b32 exec_lo, exec_lo, s2
	s_delay_alu instid0(VALU_DEP_1) | instskip(SKIP_1) | instid1(SALU_CYCLE_1)
	v_add_f64 v[44:45], v[44:45], v[58:59]
	s_add_i32 s3, s3, -1
	s_cmp_lg_u32 s3, 0
	s_delay_alu instid0(VALU_DEP_1) | instskip(NEXT) | instid1(VALU_DEP_1)
	v_add_f64 v[42:43], v[42:43], v[44:45]
	v_add_f64 v[40:41], v[40:41], v[42:43]
	s_delay_alu instid0(VALU_DEP_1) | instskip(NEXT) | instid1(VALU_DEP_1)
	v_add_f64 v[3:4], v[38:39], v[40:41]
	v_add_f64 v[5:6], v[56:57], v[3:4]
	;; [unrolled: 3-line block ×4, first 2 shown]
	s_delay_alu instid0(VALU_DEP_1)
	v_add_f64 v[1:2], v[46:47], v[13:14]
	s_cbranch_scc0 .LBB148_17
; %bb.16:                               ;   in Loop: Header=BB148_1 Depth=1
	v_dual_mov_b32 v47, v14 :: v_dual_mov_b32 v46, v13
	v_dual_mov_b32 v49, v12 :: v_dual_mov_b32 v48, v11
	;; [unrolled: 1-line block ×10, first 2 shown]
	s_branch .LBB148_1
.LBB148_17:
	v_add_co_u32 v30, vcc_lo, s6, v30
	v_add_co_ci_u32_e32 v31, vcc_lo, s7, v31, vcc_lo
	v_add_co_u32 v32, vcc_lo, s6, v32
	v_add_co_ci_u32_e32 v33, vcc_lo, s7, v33, vcc_lo
	;; [unrolled: 2-line block ×8, first 2 shown]
	s_clause 0x3
	global_store_b64 v[30:31], v[58:59], off
	global_store_b64 v[32:33], v[44:45], off
	global_store_b64 v[28:29], v[42:43], off
	global_store_b64 v[24:25], v[40:41], off
	v_add_co_u32 v24, vcc_lo, s6, v26
	v_add_co_ci_u32_e32 v25, vcc_lo, s7, v27, vcc_lo
	v_add_co_u32 v26, vcc_lo, s6, v34
	v_add_co_ci_u32_e32 v27, vcc_lo, s7, v35, vcc_lo
	;; [unrolled: 2-line block ×3, first 2 shown]
	s_clause 0x6
	global_store_b64 v[20:21], v[3:4], off
	global_store_b64 v[18:19], v[5:6], off
	;; [unrolled: 1-line block ×7, first 2 shown]
	s_nop 0
	s_sendmsg sendmsg(MSG_DEALLOC_VGPRS)
	s_endpgm
	.section	.rodata,"a",@progbits
	.p2align	6, 0x0
	.amdhsa_kernel _Z6kernelI14exclusive_scanILN6hipcub18BlockScanAlgorithmE1EEdLj256ELj11ELj100EEvPKT0_PS4_S4_
		.amdhsa_group_segment_fixed_size 2112
		.amdhsa_private_segment_fixed_size 0
		.amdhsa_kernarg_size 280
		.amdhsa_user_sgpr_count 15
		.amdhsa_user_sgpr_dispatch_ptr 0
		.amdhsa_user_sgpr_queue_ptr 0
		.amdhsa_user_sgpr_kernarg_segment_ptr 1
		.amdhsa_user_sgpr_dispatch_id 0
		.amdhsa_user_sgpr_private_segment_size 0
		.amdhsa_wavefront_size32 1
		.amdhsa_uses_dynamic_stack 0
		.amdhsa_enable_private_segment 0
		.amdhsa_system_sgpr_workgroup_id_x 1
		.amdhsa_system_sgpr_workgroup_id_y 0
		.amdhsa_system_sgpr_workgroup_id_z 0
		.amdhsa_system_sgpr_workgroup_info 0
		.amdhsa_system_vgpr_workitem_id 0
		.amdhsa_next_free_vgpr 69
		.amdhsa_next_free_sgpr 16
		.amdhsa_reserve_vcc 1
		.amdhsa_float_round_mode_32 0
		.amdhsa_float_round_mode_16_64 0
		.amdhsa_float_denorm_mode_32 3
		.amdhsa_float_denorm_mode_16_64 3
		.amdhsa_dx10_clamp 1
		.amdhsa_ieee_mode 1
		.amdhsa_fp16_overflow 0
		.amdhsa_workgroup_processor_mode 1
		.amdhsa_memory_ordered 1
		.amdhsa_forward_progress 0
		.amdhsa_shared_vgpr_count 0
		.amdhsa_exception_fp_ieee_invalid_op 0
		.amdhsa_exception_fp_denorm_src 0
		.amdhsa_exception_fp_ieee_div_zero 0
		.amdhsa_exception_fp_ieee_overflow 0
		.amdhsa_exception_fp_ieee_underflow 0
		.amdhsa_exception_fp_ieee_inexact 0
		.amdhsa_exception_int_div_zero 0
	.end_amdhsa_kernel
	.section	.text._Z6kernelI14exclusive_scanILN6hipcub18BlockScanAlgorithmE1EEdLj256ELj11ELj100EEvPKT0_PS4_S4_,"axG",@progbits,_Z6kernelI14exclusive_scanILN6hipcub18BlockScanAlgorithmE1EEdLj256ELj11ELj100EEvPKT0_PS4_S4_,comdat
.Lfunc_end148:
	.size	_Z6kernelI14exclusive_scanILN6hipcub18BlockScanAlgorithmE1EEdLj256ELj11ELj100EEvPKT0_PS4_S4_, .Lfunc_end148-_Z6kernelI14exclusive_scanILN6hipcub18BlockScanAlgorithmE1EEdLj256ELj11ELj100EEvPKT0_PS4_S4_
                                        ; -- End function
	.section	.AMDGPU.csdata,"",@progbits
; Kernel info:
; codeLenInByte = 1752
; NumSgprs: 18
; NumVgprs: 69
; ScratchSize: 0
; MemoryBound: 0
; FloatMode: 240
; IeeeMode: 1
; LDSByteSize: 2112 bytes/workgroup (compile time only)
; SGPRBlocks: 2
; VGPRBlocks: 8
; NumSGPRsForWavesPerEU: 18
; NumVGPRsForWavesPerEU: 69
; Occupancy: 16
; WaveLimiterHint : 0
; COMPUTE_PGM_RSRC2:SCRATCH_EN: 0
; COMPUTE_PGM_RSRC2:USER_SGPR: 15
; COMPUTE_PGM_RSRC2:TRAP_HANDLER: 0
; COMPUTE_PGM_RSRC2:TGID_X_EN: 1
; COMPUTE_PGM_RSRC2:TGID_Y_EN: 0
; COMPUTE_PGM_RSRC2:TGID_Z_EN: 0
; COMPUTE_PGM_RSRC2:TIDIG_COMP_CNT: 0
	.section	.text._Z6kernelI14exclusive_scanILN6hipcub18BlockScanAlgorithmE1EEdLj256ELj16ELj100EEvPKT0_PS4_S4_,"axG",@progbits,_Z6kernelI14exclusive_scanILN6hipcub18BlockScanAlgorithmE1EEdLj256ELj16ELj100EEvPKT0_PS4_S4_,comdat
	.protected	_Z6kernelI14exclusive_scanILN6hipcub18BlockScanAlgorithmE1EEdLj256ELj16ELj100EEvPKT0_PS4_S4_ ; -- Begin function _Z6kernelI14exclusive_scanILN6hipcub18BlockScanAlgorithmE1EEdLj256ELj16ELj100EEvPKT0_PS4_S4_
	.globl	_Z6kernelI14exclusive_scanILN6hipcub18BlockScanAlgorithmE1EEdLj256ELj16ELj100EEvPKT0_PS4_S4_
	.p2align	8
	.type	_Z6kernelI14exclusive_scanILN6hipcub18BlockScanAlgorithmE1EEdLj256ELj16ELj100EEvPKT0_PS4_S4_,@function
_Z6kernelI14exclusive_scanILN6hipcub18BlockScanAlgorithmE1EEdLj256ELj16ELj100EEvPKT0_PS4_S4_: ; @_Z6kernelI14exclusive_scanILN6hipcub18BlockScanAlgorithmE1EEdLj256ELj16ELj100EEvPKT0_PS4_S4_
; %bb.0:
	s_clause 0x1
	s_load_b32 s2, s[0:1], 0x24
	s_load_b128 s[4:7], s[0:1], 0x0
	v_mov_b32_e32 v2, 0
	v_lshrrev_b32_e32 v33, 5, v0
	s_load_b64 s[8:9], s[0:1], 0x10
	v_add_nc_u32_e32 v34, -1, v0
	v_lshrrev_b32_e32 v35, 2, v0
	v_cmp_eq_u32_e64 s0, 0, v0
	v_add_lshl_u32 v55, v33, v0, 3
	v_lshlrev_b32_e32 v33, 3, v0
	v_lshrrev_b32_e32 v36, 5, v34
	v_cmp_ne_u32_e64 s1, 0, v0
	v_mbcnt_lo_u32_b32 v57, -1, 0
	s_movk_i32 s3, 0x64
	s_delay_alu instid0(VALU_DEP_3) | instskip(SKIP_2) | instid1(SALU_CYCLE_1)
	v_add_lshl_u32 v56, v36, v34, 3
	s_waitcnt lgkmcnt(0)
	s_and_b32 s2, s2, 0xffff
	s_mul_i32 s15, s15, s2
	s_delay_alu instid0(SALU_CYCLE_1) | instskip(NEXT) | instid1(VALU_DEP_1)
	v_add_lshl_u32 v1, s15, v0, 4
	v_lshlrev_b64 v[49:50], 3, v[1:2]
	s_delay_alu instid0(VALU_DEP_1) | instskip(NEXT) | instid1(VALU_DEP_2)
	v_add_co_u32 v29, vcc_lo, s4, v49
	v_add_co_ci_u32_e32 v30, vcc_lo, s5, v50, vcc_lo
	v_cmp_gt_u32_e32 vcc_lo, 32, v0
	v_add_lshl_u32 v0, v35, v33, 3
	s_clause 0x7
	global_load_b128 v[5:8], v[29:30], off offset:48
	global_load_b128 v[9:12], v[29:30], off offset:32
	;; [unrolled: 1-line block ×3, first 2 shown]
	global_load_b128 v[17:20], v[29:30], off
	global_load_b128 v[1:4], v[29:30], off offset:112
	global_load_b128 v[21:24], v[29:30], off offset:96
	;; [unrolled: 1-line block ×4, first 2 shown]
.LBB149_1:                              ; =>This Inner Loop Header: Depth=1
	s_waitcnt vmcnt(4)
	s_delay_alu instid0(VALU_DEP_1) | instskip(NEXT) | instid1(VALU_DEP_1)
	v_add_f64 v[33:34], v[19:20], v[17:18]
	v_add_f64 v[33:34], v[13:14], v[33:34]
	s_delay_alu instid0(VALU_DEP_1) | instskip(NEXT) | instid1(VALU_DEP_1)
	v_add_f64 v[33:34], v[15:16], v[33:34]
	v_add_f64 v[33:34], v[9:10], v[33:34]
	;; [unrolled: 3-line block ×3, first 2 shown]
	s_delay_alu instid0(VALU_DEP_1) | instskip(SKIP_1) | instid1(VALU_DEP_1)
	v_add_f64 v[33:34], v[7:8], v[33:34]
	s_waitcnt vmcnt(0)
	v_add_f64 v[33:34], v[29:30], v[33:34]
	s_delay_alu instid0(VALU_DEP_1) | instskip(NEXT) | instid1(VALU_DEP_1)
	v_add_f64 v[33:34], v[31:32], v[33:34]
	v_add_f64 v[33:34], v[25:26], v[33:34]
	s_delay_alu instid0(VALU_DEP_1) | instskip(NEXT) | instid1(VALU_DEP_1)
	v_add_f64 v[33:34], v[27:28], v[33:34]
	;; [unrolled: 3-line block ×3, first 2 shown]
	v_add_f64 v[33:34], v[1:2], v[33:34]
	s_delay_alu instid0(VALU_DEP_1)
	v_add_f64 v[3:4], v[3:4], v[33:34]
	ds_store_b64 v55, v[3:4]
	s_waitcnt lgkmcnt(0)
	s_barrier
	buffer_gl0_inv
	s_and_saveexec_b32 s4, vcc_lo
	s_cbranch_execz .LBB149_13
; %bb.2:                                ;   in Loop: Header=BB149_1 Depth=1
	ds_load_2addr_b64 v[37:40], v0 offset1:1
	ds_load_2addr_b64 v[33:36], v0 offset0:2 offset1:3
	v_and_b32_e32 v58, 15, v57
	s_mov_b32 s5, exec_lo
	s_waitcnt lgkmcnt(1)
	v_add_f64 v[41:42], v[37:38], v[39:40]
	s_waitcnt lgkmcnt(0)
	s_delay_alu instid0(VALU_DEP_1) | instskip(NEXT) | instid1(VALU_DEP_1)
	v_add_f64 v[41:42], v[41:42], v[33:34]
	v_add_f64 v[51:52], v[41:42], v[35:36]
	ds_load_2addr_b64 v[41:44], v0 offset0:4 offset1:5
	ds_load_2addr_b64 v[45:48], v0 offset0:6 offset1:7
	s_waitcnt lgkmcnt(1)
	v_add_f64 v[51:52], v[51:52], v[41:42]
	s_delay_alu instid0(VALU_DEP_1) | instskip(SKIP_1) | instid1(VALU_DEP_1)
	v_add_f64 v[51:52], v[51:52], v[43:44]
	s_waitcnt lgkmcnt(0)
	v_add_f64 v[51:52], v[51:52], v[45:46]
	s_delay_alu instid0(VALU_DEP_1) | instskip(NEXT) | instid1(VALU_DEP_1)
	v_add_f64 v[51:52], v[51:52], v[47:48]
	v_mov_b32_dpp v53, v51 row_shr:1 row_mask:0xf bank_mask:0xf
	s_delay_alu instid0(VALU_DEP_2)
	v_mov_b32_dpp v54, v52 row_shr:1 row_mask:0xf bank_mask:0xf
	v_cmpx_ne_u32_e32 0, v58
; %bb.3:                                ;   in Loop: Header=BB149_1 Depth=1
	s_delay_alu instid0(VALU_DEP_2)
	v_add_f64 v[51:52], v[51:52], v[53:54]
; %bb.4:                                ;   in Loop: Header=BB149_1 Depth=1
	s_or_b32 exec_lo, exec_lo, s5
	s_delay_alu instid0(VALU_DEP_1) | instskip(NEXT) | instid1(VALU_DEP_2)
	v_mov_b32_dpp v53, v51 row_shr:2 row_mask:0xf bank_mask:0xf
	v_mov_b32_dpp v54, v52 row_shr:2 row_mask:0xf bank_mask:0xf
	s_mov_b32 s5, exec_lo
	v_cmpx_lt_u32_e32 1, v58
; %bb.5:                                ;   in Loop: Header=BB149_1 Depth=1
	s_delay_alu instid0(VALU_DEP_2)
	v_add_f64 v[51:52], v[51:52], v[53:54]
; %bb.6:                                ;   in Loop: Header=BB149_1 Depth=1
	s_or_b32 exec_lo, exec_lo, s5
	s_delay_alu instid0(VALU_DEP_1) | instskip(NEXT) | instid1(VALU_DEP_2)
	v_mov_b32_dpp v53, v51 row_shr:4 row_mask:0xf bank_mask:0xf
	v_mov_b32_dpp v54, v52 row_shr:4 row_mask:0xf bank_mask:0xf
	s_mov_b32 s5, exec_lo
	v_cmpx_lt_u32_e32 3, v58
	;; [unrolled: 10-line block ×3, first 2 shown]
; %bb.9:                                ;   in Loop: Header=BB149_1 Depth=1
	s_delay_alu instid0(VALU_DEP_2)
	v_add_f64 v[51:52], v[51:52], v[53:54]
; %bb.10:                               ;   in Loop: Header=BB149_1 Depth=1
	s_or_b32 exec_lo, exec_lo, s5
	ds_swizzle_b32 v53, v51 offset:swizzle(BROADCAST,32,15)
	ds_swizzle_b32 v54, v52 offset:swizzle(BROADCAST,32,15)
	v_and_b32_e32 v58, 16, v57
	s_mov_b32 s5, exec_lo
	s_delay_alu instid0(VALU_DEP_1)
	v_cmpx_ne_u32_e32 0, v58
	s_cbranch_execz .LBB149_12
; %bb.11:                               ;   in Loop: Header=BB149_1 Depth=1
	s_waitcnt lgkmcnt(0)
	v_add_f64 v[51:52], v[51:52], v[53:54]
.LBB149_12:                             ;   in Loop: Header=BB149_1 Depth=1
	s_or_b32 exec_lo, exec_lo, s5
	s_waitcnt lgkmcnt(1)
	v_add_nc_u32_e32 v53, -1, v57
	s_delay_alu instid0(VALU_DEP_1) | instskip(NEXT) | instid1(VALU_DEP_1)
	v_cmp_gt_i32_e64 s2, 0, v53
	v_cndmask_b32_e64 v53, v53, v57, s2
	s_delay_alu instid0(VALU_DEP_1) | instskip(SKIP_4) | instid1(VALU_DEP_1)
	v_lshlrev_b32_e32 v53, 2, v53
	ds_bpermute_b32 v51, v53, v51
	ds_bpermute_b32 v52, v53, v52
	s_waitcnt lgkmcnt(0)
	v_add_f64 v[37:38], v[37:38], v[51:52]
	v_cndmask_b32_e64 v4, v38, v4, s0
	s_delay_alu instid0(VALU_DEP_2) | instskip(NEXT) | instid1(VALU_DEP_1)
	v_cndmask_b32_e64 v3, v37, v3, s0
	v_add_f64 v[37:38], v[39:40], v[3:4]
	s_delay_alu instid0(VALU_DEP_1) | instskip(NEXT) | instid1(VALU_DEP_1)
	v_add_f64 v[33:34], v[33:34], v[37:38]
	v_add_f64 v[35:36], v[35:36], v[33:34]
	s_delay_alu instid0(VALU_DEP_1) | instskip(NEXT) | instid1(VALU_DEP_1)
	v_add_f64 v[39:40], v[41:42], v[35:36]
	;; [unrolled: 3-line block ×3, first 2 shown]
	v_add_f64 v[45:46], v[47:48], v[43:44]
	ds_store_2addr_b64 v0, v[3:4], v[37:38] offset1:1
	ds_store_2addr_b64 v0, v[33:34], v[35:36] offset0:2 offset1:3
	ds_store_2addr_b64 v0, v[39:40], v[41:42] offset0:4 offset1:5
	;; [unrolled: 1-line block ×3, first 2 shown]
.LBB149_13:                             ;   in Loop: Header=BB149_1 Depth=1
	s_or_b32 exec_lo, exec_lo, s4
	v_dual_mov_b32 v34, s9 :: v_dual_mov_b32 v33, s8
	s_waitcnt lgkmcnt(0)
	s_barrier
	buffer_gl0_inv
	s_and_saveexec_b32 s2, s1
	s_cbranch_execz .LBB149_15
; %bb.14:                               ;   in Loop: Header=BB149_1 Depth=1
	ds_load_b64 v[3:4], v56
	s_waitcnt lgkmcnt(0)
	v_add_f64 v[33:34], v[3:4], s[8:9]
.LBB149_15:                             ;   in Loop: Header=BB149_1 Depth=1
	s_or_b32 exec_lo, exec_lo, s2
	s_delay_alu instid0(VALU_DEP_1) | instskip(SKIP_1) | instid1(SALU_CYCLE_1)
	v_add_f64 v[35:36], v[17:18], v[33:34]
	s_add_i32 s3, s3, -1
	s_cmp_lg_u32 s3, 0
	s_delay_alu instid0(VALU_DEP_1) | instskip(NEXT) | instid1(VALU_DEP_1)
	v_add_f64 v[37:38], v[19:20], v[35:36]
	v_add_f64 v[39:40], v[13:14], v[37:38]
	s_delay_alu instid0(VALU_DEP_1) | instskip(NEXT) | instid1(VALU_DEP_1)
	v_add_f64 v[13:14], v[15:16], v[39:40]
	v_add_f64 v[15:16], v[9:10], v[13:14]
	;; [unrolled: 3-line block ×7, first 2 shown]
	s_cbranch_scc0 .LBB149_17
; %bb.16:                               ;   in Loop: Header=BB149_1 Depth=1
	v_dual_mov_b32 v1, v21 :: v_dual_mov_b32 v2, v22
	v_dual_mov_b32 v23, v27 :: v_dual_mov_b32 v24, v28
	;; [unrolled: 1-line block ×15, first 2 shown]
	s_branch .LBB149_1
.LBB149_17:
	v_add_co_u32 v0, vcc_lo, s6, v49
	v_add_co_ci_u32_e32 v1, vcc_lo, s7, v50, vcc_lo
	s_delay_alu instid0(VALU_DEP_3)
	v_dual_mov_b32 v23, v3 :: v_dual_mov_b32 v24, v4
	s_clause 0x7
	global_store_b128 v[0:1], v[33:36], off
	global_store_b128 v[0:1], v[37:40], off offset:16
	global_store_b128 v[0:1], v[13:16], off offset:32
	;; [unrolled: 1-line block ×7, first 2 shown]
	s_nop 0
	s_sendmsg sendmsg(MSG_DEALLOC_VGPRS)
	s_endpgm
	.section	.rodata,"a",@progbits
	.p2align	6, 0x0
	.amdhsa_kernel _Z6kernelI14exclusive_scanILN6hipcub18BlockScanAlgorithmE1EEdLj256ELj16ELj100EEvPKT0_PS4_S4_
		.amdhsa_group_segment_fixed_size 2112
		.amdhsa_private_segment_fixed_size 0
		.amdhsa_kernarg_size 280
		.amdhsa_user_sgpr_count 15
		.amdhsa_user_sgpr_dispatch_ptr 0
		.amdhsa_user_sgpr_queue_ptr 0
		.amdhsa_user_sgpr_kernarg_segment_ptr 1
		.amdhsa_user_sgpr_dispatch_id 0
		.amdhsa_user_sgpr_private_segment_size 0
		.amdhsa_wavefront_size32 1
		.amdhsa_uses_dynamic_stack 0
		.amdhsa_enable_private_segment 0
		.amdhsa_system_sgpr_workgroup_id_x 1
		.amdhsa_system_sgpr_workgroup_id_y 0
		.amdhsa_system_sgpr_workgroup_id_z 0
		.amdhsa_system_sgpr_workgroup_info 0
		.amdhsa_system_vgpr_workitem_id 0
		.amdhsa_next_free_vgpr 59
		.amdhsa_next_free_sgpr 16
		.amdhsa_reserve_vcc 1
		.amdhsa_float_round_mode_32 0
		.amdhsa_float_round_mode_16_64 0
		.amdhsa_float_denorm_mode_32 3
		.amdhsa_float_denorm_mode_16_64 3
		.amdhsa_dx10_clamp 1
		.amdhsa_ieee_mode 1
		.amdhsa_fp16_overflow 0
		.amdhsa_workgroup_processor_mode 1
		.amdhsa_memory_ordered 1
		.amdhsa_forward_progress 0
		.amdhsa_shared_vgpr_count 0
		.amdhsa_exception_fp_ieee_invalid_op 0
		.amdhsa_exception_fp_denorm_src 0
		.amdhsa_exception_fp_ieee_div_zero 0
		.amdhsa_exception_fp_ieee_overflow 0
		.amdhsa_exception_fp_ieee_underflow 0
		.amdhsa_exception_fp_ieee_inexact 0
		.amdhsa_exception_int_div_zero 0
	.end_amdhsa_kernel
	.section	.text._Z6kernelI14exclusive_scanILN6hipcub18BlockScanAlgorithmE1EEdLj256ELj16ELj100EEvPKT0_PS4_S4_,"axG",@progbits,_Z6kernelI14exclusive_scanILN6hipcub18BlockScanAlgorithmE1EEdLj256ELj16ELj100EEvPKT0_PS4_S4_,comdat
.Lfunc_end149:
	.size	_Z6kernelI14exclusive_scanILN6hipcub18BlockScanAlgorithmE1EEdLj256ELj16ELj100EEvPKT0_PS4_S4_, .Lfunc_end149-_Z6kernelI14exclusive_scanILN6hipcub18BlockScanAlgorithmE1EEdLj256ELj16ELj100EEvPKT0_PS4_S4_
                                        ; -- End function
	.section	.AMDGPU.csdata,"",@progbits
; Kernel info:
; codeLenInByte = 1408
; NumSgprs: 18
; NumVgprs: 59
; ScratchSize: 0
; MemoryBound: 1
; FloatMode: 240
; IeeeMode: 1
; LDSByteSize: 2112 bytes/workgroup (compile time only)
; SGPRBlocks: 2
; VGPRBlocks: 7
; NumSGPRsForWavesPerEU: 18
; NumVGPRsForWavesPerEU: 59
; Occupancy: 16
; WaveLimiterHint : 0
; COMPUTE_PGM_RSRC2:SCRATCH_EN: 0
; COMPUTE_PGM_RSRC2:USER_SGPR: 15
; COMPUTE_PGM_RSRC2:TRAP_HANDLER: 0
; COMPUTE_PGM_RSRC2:TGID_X_EN: 1
; COMPUTE_PGM_RSRC2:TGID_Y_EN: 0
; COMPUTE_PGM_RSRC2:TGID_Z_EN: 0
; COMPUTE_PGM_RSRC2:TIDIG_COMP_CNT: 0
	.section	.text._Z6kernelI14exclusive_scanILN6hipcub18BlockScanAlgorithmE1EEhLj256ELj1ELj100EEvPKT0_PS4_S4_,"axG",@progbits,_Z6kernelI14exclusive_scanILN6hipcub18BlockScanAlgorithmE1EEhLj256ELj1ELj100EEvPKT0_PS4_S4_,comdat
	.protected	_Z6kernelI14exclusive_scanILN6hipcub18BlockScanAlgorithmE1EEhLj256ELj1ELj100EEvPKT0_PS4_S4_ ; -- Begin function _Z6kernelI14exclusive_scanILN6hipcub18BlockScanAlgorithmE1EEhLj256ELj1ELj100EEvPKT0_PS4_S4_
	.globl	_Z6kernelI14exclusive_scanILN6hipcub18BlockScanAlgorithmE1EEhLj256ELj1ELj100EEvPKT0_PS4_S4_
	.p2align	8
	.type	_Z6kernelI14exclusive_scanILN6hipcub18BlockScanAlgorithmE1EEhLj256ELj1ELj100EEvPKT0_PS4_S4_,@function
_Z6kernelI14exclusive_scanILN6hipcub18BlockScanAlgorithmE1EEhLj256ELj1ELj100EEvPKT0_PS4_S4_: ; @_Z6kernelI14exclusive_scanILN6hipcub18BlockScanAlgorithmE1EEhLj256ELj1ELj100EEvPKT0_PS4_S4_
; %bb.0:
	s_clause 0x2
	s_load_b32 s2, s[0:1], 0x24
	s_load_b128 s[4:7], s[0:1], 0x0
	s_load_b32 s3, s[0:1], 0x10
	v_add_nc_u32_e32 v4, -1, v0
	v_lshrrev_b32_e32 v5, 2, v0
	v_mbcnt_lo_u32_b32 v3, -1, 0
	v_cmp_gt_u32_e32 vcc_lo, 32, v0
	v_cmp_eq_u32_e64 s0, 0, v0
	v_lshrrev_b32_e32 v6, 5, v4
	v_cmp_ne_u32_e64 s1, 0, v0
	v_add_nc_u32_e32 v7, -1, v3
	s_delay_alu instid0(VALU_DEP_3) | instskip(SKIP_3) | instid1(SALU_CYCLE_1)
	v_add_nc_u32_e32 v4, v6, v4
	v_and_b32_e32 v6, 16, v3
	s_waitcnt lgkmcnt(0)
	s_and_b32 s2, s2, 0xffff
	v_mad_u64_u32 v[1:2], null, s15, s2, v[0:1]
	v_lshrrev_b32_e32 v2, 5, v0
	s_delay_alu instid0(VALU_DEP_1)
	v_add_nc_u32_e32 v2, v2, v0
	global_load_u8 v8, v1, s[4:5]
	v_lshl_add_u32 v0, v0, 3, v5
	v_and_b32_e32 v5, 15, v3
	s_movk_i32 s4, 0x64
	s_branch .LBB150_2
.LBB150_1:                              ;   in Loop: Header=BB150_2 Depth=1
	s_or_b32 exec_lo, exec_lo, s2
	s_add_i32 s4, s4, -1
	s_delay_alu instid0(SALU_CYCLE_1)
	s_cmp_lg_u32 s4, 0
	s_cbranch_scc0 .LBB150_6
.LBB150_2:                              ; =>This Inner Loop Header: Depth=1
	s_waitcnt vmcnt(0)
	ds_store_b8 v2, v8
	s_waitcnt lgkmcnt(0)
	s_barrier
	buffer_gl0_inv
	s_and_saveexec_b32 s5, vcc_lo
	s_cbranch_execz .LBB150_4
; %bb.3:                                ;   in Loop: Header=BB150_2 Depth=1
	ds_load_b64 v[9:10], v0
	v_cmp_ne_u32_e64 s2, 0, v5
	s_waitcnt lgkmcnt(0)
	v_lshrrev_b32_e32 v11, 8, v9
	v_lshrrev_b32_e32 v12, 16, v9
	;; [unrolled: 1-line block ×5, first 2 shown]
	v_add_nc_u16 v13, v11, v9
	v_lshrrev_b32_e32 v17, 24, v10
	s_delay_alu instid0(VALU_DEP_2) | instskip(NEXT) | instid1(VALU_DEP_1)
	v_add_nc_u16 v13, v13, v12
	v_add_nc_u16 v13, v13, v14
	s_delay_alu instid0(VALU_DEP_1) | instskip(NEXT) | instid1(VALU_DEP_1)
	v_add_nc_u16 v13, v13, v10
	v_add_nc_u16 v13, v13, v15
	s_delay_alu instid0(VALU_DEP_1) | instskip(NEXT) | instid1(VALU_DEP_1)
	;; [unrolled: 3-line block ×3, first 2 shown]
	v_and_b32_e32 v18, 0xff, v13
	v_mov_b32_dpp v18, v18 row_shr:1 row_mask:0xf bank_mask:0xf
	s_delay_alu instid0(VALU_DEP_1) | instskip(SKIP_1) | instid1(VALU_DEP_2)
	v_cndmask_b32_e64 v18, 0, v18, s2
	v_cmp_lt_u32_e64 s2, 1, v5
	v_add_nc_u16 v13, v18, v13
	s_delay_alu instid0(VALU_DEP_1) | instskip(NEXT) | instid1(VALU_DEP_1)
	v_and_b32_e32 v18, 0xff, v13
	v_mov_b32_dpp v18, v18 row_shr:2 row_mask:0xf bank_mask:0xf
	s_delay_alu instid0(VALU_DEP_1) | instskip(SKIP_1) | instid1(VALU_DEP_2)
	v_cndmask_b32_e64 v18, 0, v18, s2
	v_cmp_lt_u32_e64 s2, 3, v5
	v_add_nc_u16 v13, v13, v18
	s_delay_alu instid0(VALU_DEP_1) | instskip(NEXT) | instid1(VALU_DEP_1)
	;; [unrolled: 7-line block ×3, first 2 shown]
	v_and_b32_e32 v18, 0xff, v13
	v_mov_b32_dpp v18, v18 row_shr:8 row_mask:0xf bank_mask:0xf
	s_delay_alu instid0(VALU_DEP_1) | instskip(SKIP_1) | instid1(VALU_DEP_2)
	v_cndmask_b32_e64 v18, 0, v18, s2
	v_cmp_ne_u32_e64 s2, 0, v6
	v_add_nc_u16 v13, v13, v18
	s_delay_alu instid0(VALU_DEP_1) | instskip(SKIP_4) | instid1(VALU_DEP_2)
	v_and_b32_e32 v18, 0xff, v13
	ds_swizzle_b32 v18, v18 offset:swizzle(BROADCAST,32,15)
	s_waitcnt lgkmcnt(0)
	v_cndmask_b32_e64 v18, 0, v18, s2
	v_cmp_gt_i32_e64 s2, 0, v7
	v_add_nc_u16 v13, v13, v18
	s_delay_alu instid0(VALU_DEP_2) | instskip(NEXT) | instid1(VALU_DEP_2)
	v_cndmask_b32_e64 v19, v7, v3, s2
	v_and_b32_e32 v13, 0xff, v13
	s_delay_alu instid0(VALU_DEP_2) | instskip(SKIP_3) | instid1(VALU_DEP_1)
	v_lshlrev_b32_e32 v18, 2, v19
	ds_bpermute_b32 v13, v18, v13
	s_waitcnt lgkmcnt(0)
	v_add_nc_u16 v9, v9, v13
	v_cndmask_b32_e64 v8, v9, v8, s0
	s_delay_alu instid0(VALU_DEP_1) | instskip(SKIP_1) | instid1(VALU_DEP_2)
	v_add_nc_u16 v9, v8, v11
	v_and_b32_e32 v8, 0xff, v8
	v_add_nc_u16 v11, v9, v12
	v_lshlrev_b16 v9, 8, v9
	s_delay_alu instid0(VALU_DEP_2) | instskip(SKIP_1) | instid1(VALU_DEP_3)
	v_add_nc_u16 v12, v11, v14
	v_and_b32_e32 v11, 0xff, v11
	v_or_b32_e32 v8, v8, v9
	s_delay_alu instid0(VALU_DEP_3) | instskip(SKIP_1) | instid1(VALU_DEP_3)
	v_add_nc_u16 v10, v12, v10
	v_lshlrev_b16 v12, 8, v12
	v_and_b32_e32 v8, 0xffff, v8
	s_delay_alu instid0(VALU_DEP_3) | instskip(SKIP_1) | instid1(VALU_DEP_4)
	v_add_nc_u16 v13, v10, v15
	v_and_b32_e32 v10, 0xff, v10
	v_or_b32_e32 v9, v11, v12
	s_delay_alu instid0(VALU_DEP_3) | instskip(SKIP_1) | instid1(VALU_DEP_3)
	v_add_nc_u16 v14, v13, v16
	v_lshlrev_b16 v13, 8, v13
	v_lshlrev_b32_e32 v9, 16, v9
	s_delay_alu instid0(VALU_DEP_3) | instskip(SKIP_1) | instid1(VALU_DEP_4)
	v_add_nc_u16 v15, v14, v17
	v_and_b32_e32 v14, 0xff, v14
	v_or_b32_e32 v10, v10, v13
	s_delay_alu instid0(VALU_DEP_4) | instskip(NEXT) | instid1(VALU_DEP_4)
	v_or_b32_e32 v8, v8, v9
	v_lshlrev_b16 v15, 8, v15
	s_delay_alu instid0(VALU_DEP_3) | instskip(NEXT) | instid1(VALU_DEP_2)
	v_and_b32_e32 v10, 0xffff, v10
	v_or_b32_e32 v11, v14, v15
	s_delay_alu instid0(VALU_DEP_1) | instskip(NEXT) | instid1(VALU_DEP_1)
	v_lshlrev_b32_e32 v11, 16, v11
	v_or_b32_e32 v9, v10, v11
	ds_store_b64 v0, v[8:9]
.LBB150_4:                              ;   in Loop: Header=BB150_2 Depth=1
	s_or_b32 exec_lo, exec_lo, s5
	v_mov_b32_e32 v8, s3
	s_waitcnt lgkmcnt(0)
	s_barrier
	buffer_gl0_inv
	s_and_saveexec_b32 s2, s1
	s_cbranch_execz .LBB150_1
; %bb.5:                                ;   in Loop: Header=BB150_2 Depth=1
	ds_load_u8 v8, v4
	s_waitcnt lgkmcnt(0)
	v_add_nc_u16 v8, v8, s3
	s_branch .LBB150_1
.LBB150_6:
	v_add_co_u32 v0, s0, s6, v1
	s_delay_alu instid0(VALU_DEP_1)
	v_add_co_ci_u32_e64 v1, null, s7, 0, s0
	global_store_b8 v[0:1], v8, off
	s_nop 0
	s_sendmsg sendmsg(MSG_DEALLOC_VGPRS)
	s_endpgm
	.section	.rodata,"a",@progbits
	.p2align	6, 0x0
	.amdhsa_kernel _Z6kernelI14exclusive_scanILN6hipcub18BlockScanAlgorithmE1EEhLj256ELj1ELj100EEvPKT0_PS4_S4_
		.amdhsa_group_segment_fixed_size 264
		.amdhsa_private_segment_fixed_size 0
		.amdhsa_kernarg_size 280
		.amdhsa_user_sgpr_count 15
		.amdhsa_user_sgpr_dispatch_ptr 0
		.amdhsa_user_sgpr_queue_ptr 0
		.amdhsa_user_sgpr_kernarg_segment_ptr 1
		.amdhsa_user_sgpr_dispatch_id 0
		.amdhsa_user_sgpr_private_segment_size 0
		.amdhsa_wavefront_size32 1
		.amdhsa_uses_dynamic_stack 0
		.amdhsa_enable_private_segment 0
		.amdhsa_system_sgpr_workgroup_id_x 1
		.amdhsa_system_sgpr_workgroup_id_y 0
		.amdhsa_system_sgpr_workgroup_id_z 0
		.amdhsa_system_sgpr_workgroup_info 0
		.amdhsa_system_vgpr_workitem_id 0
		.amdhsa_next_free_vgpr 20
		.amdhsa_next_free_sgpr 16
		.amdhsa_reserve_vcc 1
		.amdhsa_float_round_mode_32 0
		.amdhsa_float_round_mode_16_64 0
		.amdhsa_float_denorm_mode_32 3
		.amdhsa_float_denorm_mode_16_64 3
		.amdhsa_dx10_clamp 1
		.amdhsa_ieee_mode 1
		.amdhsa_fp16_overflow 0
		.amdhsa_workgroup_processor_mode 1
		.amdhsa_memory_ordered 1
		.amdhsa_forward_progress 0
		.amdhsa_shared_vgpr_count 0
		.amdhsa_exception_fp_ieee_invalid_op 0
		.amdhsa_exception_fp_denorm_src 0
		.amdhsa_exception_fp_ieee_div_zero 0
		.amdhsa_exception_fp_ieee_overflow 0
		.amdhsa_exception_fp_ieee_underflow 0
		.amdhsa_exception_fp_ieee_inexact 0
		.amdhsa_exception_int_div_zero 0
	.end_amdhsa_kernel
	.section	.text._Z6kernelI14exclusive_scanILN6hipcub18BlockScanAlgorithmE1EEhLj256ELj1ELj100EEvPKT0_PS4_S4_,"axG",@progbits,_Z6kernelI14exclusive_scanILN6hipcub18BlockScanAlgorithmE1EEhLj256ELj1ELj100EEvPKT0_PS4_S4_,comdat
.Lfunc_end150:
	.size	_Z6kernelI14exclusive_scanILN6hipcub18BlockScanAlgorithmE1EEhLj256ELj1ELj100EEvPKT0_PS4_S4_, .Lfunc_end150-_Z6kernelI14exclusive_scanILN6hipcub18BlockScanAlgorithmE1EEhLj256ELj1ELj100EEvPKT0_PS4_S4_
                                        ; -- End function
	.section	.AMDGPU.csdata,"",@progbits
; Kernel info:
; codeLenInByte = 916
; NumSgprs: 18
; NumVgprs: 20
; ScratchSize: 0
; MemoryBound: 0
; FloatMode: 240
; IeeeMode: 1
; LDSByteSize: 264 bytes/workgroup (compile time only)
; SGPRBlocks: 2
; VGPRBlocks: 2
; NumSGPRsForWavesPerEU: 18
; NumVGPRsForWavesPerEU: 20
; Occupancy: 16
; WaveLimiterHint : 0
; COMPUTE_PGM_RSRC2:SCRATCH_EN: 0
; COMPUTE_PGM_RSRC2:USER_SGPR: 15
; COMPUTE_PGM_RSRC2:TRAP_HANDLER: 0
; COMPUTE_PGM_RSRC2:TGID_X_EN: 1
; COMPUTE_PGM_RSRC2:TGID_Y_EN: 0
; COMPUTE_PGM_RSRC2:TGID_Z_EN: 0
; COMPUTE_PGM_RSRC2:TIDIG_COMP_CNT: 0
	.section	.text._Z6kernelI14exclusive_scanILN6hipcub18BlockScanAlgorithmE1EEhLj256ELj3ELj100EEvPKT0_PS4_S4_,"axG",@progbits,_Z6kernelI14exclusive_scanILN6hipcub18BlockScanAlgorithmE1EEhLj256ELj3ELj100EEvPKT0_PS4_S4_,comdat
	.protected	_Z6kernelI14exclusive_scanILN6hipcub18BlockScanAlgorithmE1EEhLj256ELj3ELj100EEvPKT0_PS4_S4_ ; -- Begin function _Z6kernelI14exclusive_scanILN6hipcub18BlockScanAlgorithmE1EEhLj256ELj3ELj100EEvPKT0_PS4_S4_
	.globl	_Z6kernelI14exclusive_scanILN6hipcub18BlockScanAlgorithmE1EEhLj256ELj3ELj100EEvPKT0_PS4_S4_
	.p2align	8
	.type	_Z6kernelI14exclusive_scanILN6hipcub18BlockScanAlgorithmE1EEhLj256ELj3ELj100EEvPKT0_PS4_S4_,@function
_Z6kernelI14exclusive_scanILN6hipcub18BlockScanAlgorithmE1EEhLj256ELj3ELj100EEvPKT0_PS4_S4_: ; @_Z6kernelI14exclusive_scanILN6hipcub18BlockScanAlgorithmE1EEhLj256ELj3ELj100EEvPKT0_PS4_S4_
; %bb.0:
	s_clause 0x2
	s_load_b32 s2, s[0:1], 0x24
	s_load_b32 s3, s[0:1], 0x10
	s_load_b128 s[4:7], s[0:1], 0x0
	v_add_nc_u32_e32 v8, -1, v0
	v_mbcnt_lo_u32_b32 v4, -1, 0
	v_lshrrev_b32_e32 v7, 5, v0
	v_lshrrev_b32_e32 v10, 2, v0
	v_cmp_gt_u32_e32 vcc_lo, 32, v0
	v_lshrrev_b32_e32 v11, 5, v8
	v_cmp_eq_u32_e64 s0, 0, v0
	v_cmp_ne_u32_e64 s1, 0, v0
	v_add_nc_u32_e32 v7, v7, v0
	s_delay_alu instid0(VALU_DEP_4) | instskip(SKIP_2) | instid1(SALU_CYCLE_1)
	v_add_nc_u32_e32 v8, v11, v8
	s_waitcnt lgkmcnt(0)
	s_and_b32 s2, s2, 0xffff
	v_mad_u64_u32 v[1:2], null, s15, s2, v[0:1]
	v_lshl_add_u32 v0, v0, 3, v10
	s_delay_alu instid0(VALU_DEP_2) | instskip(NEXT) | instid1(VALU_DEP_1)
	v_lshl_add_u32 v3, v1, 1, v1
	v_add_nc_u32_e32 v2, 1, v3
	v_add_nc_u32_e32 v1, 2, v3
	s_clause 0x2
	global_load_u8 v5, v2, s[4:5]
	global_load_u8 v6, v3, s[4:5]
	;; [unrolled: 1-line block ×3, first 2 shown]
	s_movk_i32 s4, 0x64
	s_waitcnt vmcnt(2)
	v_lshlrev_b16 v5, 8, v5
	s_waitcnt vmcnt(1)
	s_delay_alu instid0(VALU_DEP_1) | instskip(SKIP_1) | instid1(VALU_DEP_2)
	v_or_b32_e32 v6, v6, v5
	v_and_b32_e32 v5, 15, v4
	v_and_b32_e32 v12, 0xffff, v6
	;; [unrolled: 1-line block ×3, first 2 shown]
	s_waitcnt vmcnt(0)
	s_delay_alu instid0(VALU_DEP_2)
	v_lshl_or_b32 v10, v9, 16, v12
	v_add_nc_u32_e32 v9, -1, v4
	s_branch .LBB151_2
.LBB151_1:                              ;   in Loop: Header=BB151_2 Depth=1
	s_or_b32 exec_lo, exec_lo, s2
	s_delay_alu instid0(VALU_DEP_1) | instskip(SKIP_2) | instid1(SALU_CYCLE_1)
	v_add_nc_u16 v13, v12, v10
	v_and_b32_e32 v10, 0xff, v12
	s_add_i32 s4, s4, -1
	s_cmp_lg_u32 s4, 0
	s_delay_alu instid0(VALU_DEP_2) | instskip(SKIP_1) | instid1(VALU_DEP_2)
	v_lshlrev_b16 v14, 8, v13
	v_add_nc_u16 v11, v13, v11
	v_or_b32_e32 v10, v10, v14
	s_delay_alu instid0(VALU_DEP_2) | instskip(NEXT) | instid1(VALU_DEP_2)
	v_and_b32_e32 v14, 0xff, v11
	v_and_b32_e32 v10, 0xffff, v10
	s_delay_alu instid0(VALU_DEP_2) | instskip(NEXT) | instid1(VALU_DEP_1)
	v_lshlrev_b32_e32 v14, 16, v14
	v_or_b32_e32 v10, v10, v14
	s_cbranch_scc0 .LBB151_6
.LBB151_2:                              ; =>This Inner Loop Header: Depth=1
	s_delay_alu instid0(VALU_DEP_1) | instskip(SKIP_1) | instid1(VALU_DEP_2)
	v_lshrrev_b32_e32 v11, 8, v10
	v_lshrrev_b32_e32 v12, 16, v10
	v_add_nc_u16 v13, v11, v10
	s_delay_alu instid0(VALU_DEP_1)
	v_add_nc_u16 v12, v13, v12
	ds_store_b8 v7, v12
	s_waitcnt lgkmcnt(0)
	s_barrier
	buffer_gl0_inv
	s_and_saveexec_b32 s5, vcc_lo
	s_cbranch_execz .LBB151_4
; %bb.3:                                ;   in Loop: Header=BB151_2 Depth=1
	ds_load_b64 v[13:14], v0
	v_cmp_ne_u32_e64 s2, 0, v5
	s_waitcnt lgkmcnt(0)
	v_lshrrev_b32_e32 v15, 8, v13
	v_lshrrev_b32_e32 v16, 16, v13
	;; [unrolled: 1-line block ×5, first 2 shown]
	v_add_nc_u16 v17, v15, v13
	v_lshrrev_b32_e32 v21, 24, v14
	s_delay_alu instid0(VALU_DEP_2) | instskip(NEXT) | instid1(VALU_DEP_1)
	v_add_nc_u16 v17, v17, v16
	v_add_nc_u16 v17, v17, v18
	s_delay_alu instid0(VALU_DEP_1) | instskip(NEXT) | instid1(VALU_DEP_1)
	v_add_nc_u16 v17, v17, v14
	v_add_nc_u16 v17, v17, v19
	s_delay_alu instid0(VALU_DEP_1) | instskip(NEXT) | instid1(VALU_DEP_1)
	;; [unrolled: 3-line block ×3, first 2 shown]
	v_and_b32_e32 v22, 0xff, v17
	v_mov_b32_dpp v22, v22 row_shr:1 row_mask:0xf bank_mask:0xf
	s_delay_alu instid0(VALU_DEP_1) | instskip(SKIP_1) | instid1(VALU_DEP_2)
	v_cndmask_b32_e64 v22, 0, v22, s2
	v_cmp_lt_u32_e64 s2, 1, v5
	v_add_nc_u16 v17, v22, v17
	s_delay_alu instid0(VALU_DEP_1) | instskip(NEXT) | instid1(VALU_DEP_1)
	v_and_b32_e32 v22, 0xff, v17
	v_mov_b32_dpp v22, v22 row_shr:2 row_mask:0xf bank_mask:0xf
	s_delay_alu instid0(VALU_DEP_1) | instskip(SKIP_1) | instid1(VALU_DEP_2)
	v_cndmask_b32_e64 v22, 0, v22, s2
	v_cmp_lt_u32_e64 s2, 3, v5
	v_add_nc_u16 v17, v17, v22
	s_delay_alu instid0(VALU_DEP_1) | instskip(NEXT) | instid1(VALU_DEP_1)
	v_and_b32_e32 v22, 0xff, v17
	v_mov_b32_dpp v22, v22 row_shr:4 row_mask:0xf bank_mask:0xf
	s_delay_alu instid0(VALU_DEP_1) | instskip(SKIP_1) | instid1(VALU_DEP_2)
	v_cndmask_b32_e64 v22, 0, v22, s2
	v_cmp_lt_u32_e64 s2, 7, v5
	v_add_nc_u16 v17, v17, v22
	s_delay_alu instid0(VALU_DEP_1) | instskip(NEXT) | instid1(VALU_DEP_1)
	v_and_b32_e32 v22, 0xff, v17
	v_mov_b32_dpp v22, v22 row_shr:8 row_mask:0xf bank_mask:0xf
	s_delay_alu instid0(VALU_DEP_1) | instskip(SKIP_1) | instid1(VALU_DEP_2)
	v_cndmask_b32_e64 v22, 0, v22, s2
	v_cmp_ne_u32_e64 s2, 0, v6
	v_add_nc_u16 v17, v17, v22
	s_delay_alu instid0(VALU_DEP_1) | instskip(SKIP_4) | instid1(VALU_DEP_2)
	v_and_b32_e32 v22, 0xff, v17
	ds_swizzle_b32 v22, v22 offset:swizzle(BROADCAST,32,15)
	s_waitcnt lgkmcnt(0)
	v_cndmask_b32_e64 v22, 0, v22, s2
	v_cmp_gt_i32_e64 s2, 0, v9
	v_add_nc_u16 v17, v17, v22
	s_delay_alu instid0(VALU_DEP_2) | instskip(NEXT) | instid1(VALU_DEP_2)
	v_cndmask_b32_e64 v23, v9, v4, s2
	v_and_b32_e32 v17, 0xff, v17
	s_delay_alu instid0(VALU_DEP_2) | instskip(SKIP_3) | instid1(VALU_DEP_1)
	v_lshlrev_b32_e32 v22, 2, v23
	ds_bpermute_b32 v17, v22, v17
	s_waitcnt lgkmcnt(0)
	v_add_nc_u16 v13, v13, v17
	v_cndmask_b32_e64 v12, v13, v12, s0
	s_delay_alu instid0(VALU_DEP_1) | instskip(SKIP_1) | instid1(VALU_DEP_2)
	v_add_nc_u16 v13, v12, v15
	v_and_b32_e32 v12, 0xff, v12
	v_add_nc_u16 v15, v13, v16
	v_lshlrev_b16 v13, 8, v13
	s_delay_alu instid0(VALU_DEP_2) | instskip(SKIP_1) | instid1(VALU_DEP_3)
	v_add_nc_u16 v16, v15, v18
	v_and_b32_e32 v15, 0xff, v15
	v_or_b32_e32 v12, v12, v13
	s_delay_alu instid0(VALU_DEP_3) | instskip(SKIP_1) | instid1(VALU_DEP_3)
	v_add_nc_u16 v14, v16, v14
	v_lshlrev_b16 v16, 8, v16
	v_and_b32_e32 v12, 0xffff, v12
	s_delay_alu instid0(VALU_DEP_3) | instskip(SKIP_1) | instid1(VALU_DEP_4)
	v_add_nc_u16 v17, v14, v19
	v_and_b32_e32 v14, 0xff, v14
	v_or_b32_e32 v13, v15, v16
	s_delay_alu instid0(VALU_DEP_3) | instskip(SKIP_1) | instid1(VALU_DEP_3)
	v_add_nc_u16 v18, v17, v20
	v_lshlrev_b16 v17, 8, v17
	v_lshlrev_b32_e32 v13, 16, v13
	s_delay_alu instid0(VALU_DEP_3) | instskip(SKIP_1) | instid1(VALU_DEP_4)
	v_add_nc_u16 v19, v18, v21
	v_and_b32_e32 v18, 0xff, v18
	v_or_b32_e32 v14, v14, v17
	s_delay_alu instid0(VALU_DEP_4) | instskip(NEXT) | instid1(VALU_DEP_4)
	v_or_b32_e32 v12, v12, v13
	v_lshlrev_b16 v19, 8, v19
	s_delay_alu instid0(VALU_DEP_3) | instskip(NEXT) | instid1(VALU_DEP_2)
	v_and_b32_e32 v14, 0xffff, v14
	v_or_b32_e32 v15, v18, v19
	s_delay_alu instid0(VALU_DEP_1) | instskip(NEXT) | instid1(VALU_DEP_1)
	v_lshlrev_b32_e32 v15, 16, v15
	v_or_b32_e32 v13, v14, v15
	ds_store_b64 v0, v[12:13]
.LBB151_4:                              ;   in Loop: Header=BB151_2 Depth=1
	s_or_b32 exec_lo, exec_lo, s5
	v_mov_b32_e32 v12, s3
	s_waitcnt lgkmcnt(0)
	s_barrier
	buffer_gl0_inv
	s_and_saveexec_b32 s2, s1
	s_cbranch_execz .LBB151_1
; %bb.5:                                ;   in Loop: Header=BB151_2 Depth=1
	ds_load_u8 v12, v8
	s_waitcnt lgkmcnt(0)
	v_add_nc_u16 v12, v12, s3
	s_branch .LBB151_1
.LBB151_6:
	v_add_co_u32 v3, s0, s6, v3
	s_delay_alu instid0(VALU_DEP_1) | instskip(SKIP_1) | instid1(VALU_DEP_1)
	v_add_co_ci_u32_e64 v4, null, s7, 0, s0
	v_add_co_u32 v5, s0, s6, v2
	v_add_co_ci_u32_e64 v6, null, s7, 0, s0
	v_add_co_u32 v0, s0, s6, v1
	s_delay_alu instid0(VALU_DEP_1)
	v_add_co_ci_u32_e64 v1, null, s7, 0, s0
	s_clause 0x2
	global_store_b8 v[3:4], v12, off
	global_store_b8 v[5:6], v13, off
	global_store_b8 v[0:1], v11, off
	s_nop 0
	s_sendmsg sendmsg(MSG_DEALLOC_VGPRS)
	s_endpgm
	.section	.rodata,"a",@progbits
	.p2align	6, 0x0
	.amdhsa_kernel _Z6kernelI14exclusive_scanILN6hipcub18BlockScanAlgorithmE1EEhLj256ELj3ELj100EEvPKT0_PS4_S4_
		.amdhsa_group_segment_fixed_size 264
		.amdhsa_private_segment_fixed_size 0
		.amdhsa_kernarg_size 280
		.amdhsa_user_sgpr_count 15
		.amdhsa_user_sgpr_dispatch_ptr 0
		.amdhsa_user_sgpr_queue_ptr 0
		.amdhsa_user_sgpr_kernarg_segment_ptr 1
		.amdhsa_user_sgpr_dispatch_id 0
		.amdhsa_user_sgpr_private_segment_size 0
		.amdhsa_wavefront_size32 1
		.amdhsa_uses_dynamic_stack 0
		.amdhsa_enable_private_segment 0
		.amdhsa_system_sgpr_workgroup_id_x 1
		.amdhsa_system_sgpr_workgroup_id_y 0
		.amdhsa_system_sgpr_workgroup_id_z 0
		.amdhsa_system_sgpr_workgroup_info 0
		.amdhsa_system_vgpr_workitem_id 0
		.amdhsa_next_free_vgpr 24
		.amdhsa_next_free_sgpr 16
		.amdhsa_reserve_vcc 1
		.amdhsa_float_round_mode_32 0
		.amdhsa_float_round_mode_16_64 0
		.amdhsa_float_denorm_mode_32 3
		.amdhsa_float_denorm_mode_16_64 3
		.amdhsa_dx10_clamp 1
		.amdhsa_ieee_mode 1
		.amdhsa_fp16_overflow 0
		.amdhsa_workgroup_processor_mode 1
		.amdhsa_memory_ordered 1
		.amdhsa_forward_progress 0
		.amdhsa_shared_vgpr_count 0
		.amdhsa_exception_fp_ieee_invalid_op 0
		.amdhsa_exception_fp_denorm_src 0
		.amdhsa_exception_fp_ieee_div_zero 0
		.amdhsa_exception_fp_ieee_overflow 0
		.amdhsa_exception_fp_ieee_underflow 0
		.amdhsa_exception_fp_ieee_inexact 0
		.amdhsa_exception_int_div_zero 0
	.end_amdhsa_kernel
	.section	.text._Z6kernelI14exclusive_scanILN6hipcub18BlockScanAlgorithmE1EEhLj256ELj3ELj100EEvPKT0_PS4_S4_,"axG",@progbits,_Z6kernelI14exclusive_scanILN6hipcub18BlockScanAlgorithmE1EEhLj256ELj3ELj100EEvPKT0_PS4_S4_,comdat
.Lfunc_end151:
	.size	_Z6kernelI14exclusive_scanILN6hipcub18BlockScanAlgorithmE1EEhLj256ELj3ELj100EEvPKT0_PS4_S4_, .Lfunc_end151-_Z6kernelI14exclusive_scanILN6hipcub18BlockScanAlgorithmE1EEhLj256ELj3ELj100EEvPKT0_PS4_S4_
                                        ; -- End function
	.section	.AMDGPU.csdata,"",@progbits
; Kernel info:
; codeLenInByte = 1156
; NumSgprs: 18
; NumVgprs: 24
; ScratchSize: 0
; MemoryBound: 0
; FloatMode: 240
; IeeeMode: 1
; LDSByteSize: 264 bytes/workgroup (compile time only)
; SGPRBlocks: 2
; VGPRBlocks: 2
; NumSGPRsForWavesPerEU: 18
; NumVGPRsForWavesPerEU: 24
; Occupancy: 16
; WaveLimiterHint : 0
; COMPUTE_PGM_RSRC2:SCRATCH_EN: 0
; COMPUTE_PGM_RSRC2:USER_SGPR: 15
; COMPUTE_PGM_RSRC2:TRAP_HANDLER: 0
; COMPUTE_PGM_RSRC2:TGID_X_EN: 1
; COMPUTE_PGM_RSRC2:TGID_Y_EN: 0
; COMPUTE_PGM_RSRC2:TGID_Z_EN: 0
; COMPUTE_PGM_RSRC2:TIDIG_COMP_CNT: 0
	.section	.text._Z6kernelI14exclusive_scanILN6hipcub18BlockScanAlgorithmE1EEhLj256ELj4ELj100EEvPKT0_PS4_S4_,"axG",@progbits,_Z6kernelI14exclusive_scanILN6hipcub18BlockScanAlgorithmE1EEhLj256ELj4ELj100EEvPKT0_PS4_S4_,comdat
	.protected	_Z6kernelI14exclusive_scanILN6hipcub18BlockScanAlgorithmE1EEhLj256ELj4ELj100EEvPKT0_PS4_S4_ ; -- Begin function _Z6kernelI14exclusive_scanILN6hipcub18BlockScanAlgorithmE1EEhLj256ELj4ELj100EEvPKT0_PS4_S4_
	.globl	_Z6kernelI14exclusive_scanILN6hipcub18BlockScanAlgorithmE1EEhLj256ELj4ELj100EEvPKT0_PS4_S4_
	.p2align	8
	.type	_Z6kernelI14exclusive_scanILN6hipcub18BlockScanAlgorithmE1EEhLj256ELj4ELj100EEvPKT0_PS4_S4_,@function
_Z6kernelI14exclusive_scanILN6hipcub18BlockScanAlgorithmE1EEhLj256ELj4ELj100EEvPKT0_PS4_S4_: ; @_Z6kernelI14exclusive_scanILN6hipcub18BlockScanAlgorithmE1EEhLj256ELj4ELj100EEvPKT0_PS4_S4_
; %bb.0:
	s_clause 0x2
	s_load_b32 s2, s[0:1], 0x24
	s_load_b128 s[4:7], s[0:1], 0x0
	s_load_b32 s3, s[0:1], 0x10
	v_add_nc_u32_e32 v5, -1, v0
	v_lshrrev_b32_e32 v2, 5, v0
	v_lshrrev_b32_e32 v6, 2, v0
	v_mbcnt_lo_u32_b32 v4, -1, 0
	v_cmp_gt_u32_e32 vcc_lo, 32, v0
	v_lshrrev_b32_e32 v7, 5, v5
	v_add_nc_u32_e32 v2, v2, v0
	v_cmp_eq_u32_e64 s0, 0, v0
	v_cmp_ne_u32_e64 s1, 0, v0
	v_add_nc_u32_e32 v8, -1, v4
	v_add_nc_u32_e32 v5, v7, v5
	v_and_b32_e32 v7, 16, v4
	s_waitcnt lgkmcnt(0)
	s_and_b32 s2, s2, 0xffff
	s_delay_alu instid0(SALU_CYCLE_1) | instskip(NEXT) | instid1(SALU_CYCLE_1)
	s_mul_i32 s15, s15, s2
	v_add_lshl_u32 v1, s15, v0, 2
	v_lshl_add_u32 v0, v0, 3, v6
	v_and_b32_e32 v6, 15, v4
	global_load_b32 v3, v1, s[4:5]
	s_movk_i32 s4, 0x64
	s_branch .LBB152_2
.LBB152_1:                              ;   in Loop: Header=BB152_2 Depth=1
	s_or_b32 exec_lo, exec_lo, s2
	s_delay_alu instid0(VALU_DEP_1) | instskip(SKIP_2) | instid1(SALU_CYCLE_1)
	v_add_nc_u16 v3, v11, v3
	v_and_b32_e32 v13, 0xff, v11
	s_add_i32 s4, s4, -1
	s_cmp_lg_u32 s4, 0
	s_delay_alu instid0(VALU_DEP_2) | instskip(NEXT) | instid1(VALU_DEP_1)
	v_add_nc_u16 v10, v3, v10
	v_add_nc_u16 v12, v10, v9
	v_lshlrev_b16 v9, 8, v3
	v_and_b32_e32 v3, 0xff, v10
	s_delay_alu instid0(VALU_DEP_3) | instskip(NEXT) | instid1(VALU_DEP_3)
	v_lshlrev_b16 v10, 8, v12
	v_or_b32_e32 v12, v13, v9
	s_delay_alu instid0(VALU_DEP_2) | instskip(NEXT) | instid1(VALU_DEP_2)
	v_or_b32_e32 v3, v3, v10
	v_and_b32_e32 v12, 0xffff, v12
	s_delay_alu instid0(VALU_DEP_2) | instskip(NEXT) | instid1(VALU_DEP_1)
	v_lshlrev_b32_e32 v10, 16, v3
	v_or_b32_e32 v3, v12, v10
	s_cbranch_scc0 .LBB152_6
.LBB152_2:                              ; =>This Inner Loop Header: Depth=1
	s_waitcnt vmcnt(0)
	s_delay_alu instid0(VALU_DEP_1) | instskip(SKIP_2) | instid1(VALU_DEP_3)
	v_lshrrev_b32_e32 v10, 8, v3
	v_lshrrev_b32_e32 v9, 16, v3
	;; [unrolled: 1-line block ×3, first 2 shown]
	v_add_nc_u16 v11, v10, v3
	s_delay_alu instid0(VALU_DEP_1) | instskip(NEXT) | instid1(VALU_DEP_1)
	v_add_nc_u16 v11, v11, v9
	v_add_nc_u16 v11, v11, v12
	ds_store_b8 v2, v11
	s_waitcnt lgkmcnt(0)
	s_barrier
	buffer_gl0_inv
	s_and_saveexec_b32 s5, vcc_lo
	s_cbranch_execz .LBB152_4
; %bb.3:                                ;   in Loop: Header=BB152_2 Depth=1
	ds_load_b64 v[12:13], v0
	v_cmp_ne_u32_e64 s2, 0, v6
	s_waitcnt lgkmcnt(0)
	v_lshrrev_b32_e32 v14, 8, v12
	v_lshrrev_b32_e32 v15, 16, v12
	;; [unrolled: 1-line block ×5, first 2 shown]
	v_add_nc_u16 v16, v14, v12
	v_lshrrev_b32_e32 v20, 24, v13
	s_delay_alu instid0(VALU_DEP_2) | instskip(NEXT) | instid1(VALU_DEP_1)
	v_add_nc_u16 v16, v16, v15
	v_add_nc_u16 v16, v16, v17
	s_delay_alu instid0(VALU_DEP_1) | instskip(NEXT) | instid1(VALU_DEP_1)
	v_add_nc_u16 v16, v16, v13
	v_add_nc_u16 v16, v16, v18
	s_delay_alu instid0(VALU_DEP_1) | instskip(NEXT) | instid1(VALU_DEP_1)
	;; [unrolled: 3-line block ×3, first 2 shown]
	v_and_b32_e32 v21, 0xff, v16
	v_mov_b32_dpp v21, v21 row_shr:1 row_mask:0xf bank_mask:0xf
	s_delay_alu instid0(VALU_DEP_1) | instskip(SKIP_1) | instid1(VALU_DEP_2)
	v_cndmask_b32_e64 v21, 0, v21, s2
	v_cmp_lt_u32_e64 s2, 1, v6
	v_add_nc_u16 v16, v21, v16
	s_delay_alu instid0(VALU_DEP_1) | instskip(NEXT) | instid1(VALU_DEP_1)
	v_and_b32_e32 v21, 0xff, v16
	v_mov_b32_dpp v21, v21 row_shr:2 row_mask:0xf bank_mask:0xf
	s_delay_alu instid0(VALU_DEP_1) | instskip(SKIP_1) | instid1(VALU_DEP_2)
	v_cndmask_b32_e64 v21, 0, v21, s2
	v_cmp_lt_u32_e64 s2, 3, v6
	v_add_nc_u16 v16, v16, v21
	s_delay_alu instid0(VALU_DEP_1) | instskip(NEXT) | instid1(VALU_DEP_1)
	;; [unrolled: 7-line block ×3, first 2 shown]
	v_and_b32_e32 v21, 0xff, v16
	v_mov_b32_dpp v21, v21 row_shr:8 row_mask:0xf bank_mask:0xf
	s_delay_alu instid0(VALU_DEP_1) | instskip(SKIP_1) | instid1(VALU_DEP_2)
	v_cndmask_b32_e64 v21, 0, v21, s2
	v_cmp_ne_u32_e64 s2, 0, v7
	v_add_nc_u16 v16, v16, v21
	s_delay_alu instid0(VALU_DEP_1) | instskip(SKIP_4) | instid1(VALU_DEP_2)
	v_and_b32_e32 v21, 0xff, v16
	ds_swizzle_b32 v21, v21 offset:swizzle(BROADCAST,32,15)
	s_waitcnt lgkmcnt(0)
	v_cndmask_b32_e64 v21, 0, v21, s2
	v_cmp_gt_i32_e64 s2, 0, v8
	v_add_nc_u16 v16, v16, v21
	s_delay_alu instid0(VALU_DEP_2) | instskip(NEXT) | instid1(VALU_DEP_2)
	v_cndmask_b32_e64 v22, v8, v4, s2
	v_and_b32_e32 v16, 0xff, v16
	s_delay_alu instid0(VALU_DEP_2) | instskip(SKIP_3) | instid1(VALU_DEP_1)
	v_lshlrev_b32_e32 v21, 2, v22
	ds_bpermute_b32 v16, v21, v16
	s_waitcnt lgkmcnt(0)
	v_add_nc_u16 v12, v12, v16
	v_cndmask_b32_e64 v11, v12, v11, s0
	s_delay_alu instid0(VALU_DEP_1) | instskip(SKIP_1) | instid1(VALU_DEP_2)
	v_add_nc_u16 v12, v11, v14
	v_and_b32_e32 v11, 0xff, v11
	v_add_nc_u16 v14, v12, v15
	v_lshlrev_b16 v12, 8, v12
	s_delay_alu instid0(VALU_DEP_2) | instskip(SKIP_1) | instid1(VALU_DEP_3)
	v_add_nc_u16 v15, v14, v17
	v_and_b32_e32 v14, 0xff, v14
	v_or_b32_e32 v11, v11, v12
	s_delay_alu instid0(VALU_DEP_3) | instskip(SKIP_1) | instid1(VALU_DEP_3)
	v_add_nc_u16 v13, v15, v13
	v_lshlrev_b16 v15, 8, v15
	v_and_b32_e32 v11, 0xffff, v11
	s_delay_alu instid0(VALU_DEP_3) | instskip(SKIP_1) | instid1(VALU_DEP_4)
	v_add_nc_u16 v16, v13, v18
	v_and_b32_e32 v13, 0xff, v13
	v_or_b32_e32 v12, v14, v15
	s_delay_alu instid0(VALU_DEP_3) | instskip(SKIP_1) | instid1(VALU_DEP_3)
	v_add_nc_u16 v17, v16, v19
	v_lshlrev_b16 v16, 8, v16
	v_lshlrev_b32_e32 v12, 16, v12
	s_delay_alu instid0(VALU_DEP_3) | instskip(SKIP_1) | instid1(VALU_DEP_4)
	v_add_nc_u16 v18, v17, v20
	v_and_b32_e32 v17, 0xff, v17
	v_or_b32_e32 v13, v13, v16
	s_delay_alu instid0(VALU_DEP_4) | instskip(NEXT) | instid1(VALU_DEP_4)
	v_or_b32_e32 v11, v11, v12
	v_lshlrev_b16 v18, 8, v18
	s_delay_alu instid0(VALU_DEP_3) | instskip(NEXT) | instid1(VALU_DEP_2)
	v_and_b32_e32 v13, 0xffff, v13
	v_or_b32_e32 v14, v17, v18
	s_delay_alu instid0(VALU_DEP_1) | instskip(NEXT) | instid1(VALU_DEP_1)
	v_lshlrev_b32_e32 v14, 16, v14
	v_or_b32_e32 v12, v13, v14
	ds_store_b64 v0, v[11:12]
.LBB152_4:                              ;   in Loop: Header=BB152_2 Depth=1
	s_or_b32 exec_lo, exec_lo, s5
	v_mov_b32_e32 v11, s3
	s_waitcnt lgkmcnt(0)
	s_barrier
	buffer_gl0_inv
	s_and_saveexec_b32 s2, s1
	s_cbranch_execz .LBB152_1
; %bb.5:                                ;   in Loop: Header=BB152_2 Depth=1
	ds_load_u8 v11, v5
	s_waitcnt lgkmcnt(0)
	v_add_nc_u16 v11, v11, s3
	s_branch .LBB152_1
.LBB152_6:
	v_and_b32_e32 v0, 0xff, v11
	s_delay_alu instid0(VALU_DEP_1) | instskip(NEXT) | instid1(VALU_DEP_1)
	v_or_b32_e32 v0, v0, v9
	v_and_b32_e32 v2, 0xffff, v0
	v_add_co_u32 v0, s0, s6, v1
	s_delay_alu instid0(VALU_DEP_1) | instskip(NEXT) | instid1(VALU_DEP_3)
	v_add_co_ci_u32_e64 v1, null, s7, 0, s0
	v_or_b32_e32 v2, v2, v10
	global_store_b32 v[0:1], v2, off
	s_nop 0
	s_sendmsg sendmsg(MSG_DEALLOC_VGPRS)
	s_endpgm
	.section	.rodata,"a",@progbits
	.p2align	6, 0x0
	.amdhsa_kernel _Z6kernelI14exclusive_scanILN6hipcub18BlockScanAlgorithmE1EEhLj256ELj4ELj100EEvPKT0_PS4_S4_
		.amdhsa_group_segment_fixed_size 264
		.amdhsa_private_segment_fixed_size 0
		.amdhsa_kernarg_size 280
		.amdhsa_user_sgpr_count 15
		.amdhsa_user_sgpr_dispatch_ptr 0
		.amdhsa_user_sgpr_queue_ptr 0
		.amdhsa_user_sgpr_kernarg_segment_ptr 1
		.amdhsa_user_sgpr_dispatch_id 0
		.amdhsa_user_sgpr_private_segment_size 0
		.amdhsa_wavefront_size32 1
		.amdhsa_uses_dynamic_stack 0
		.amdhsa_enable_private_segment 0
		.amdhsa_system_sgpr_workgroup_id_x 1
		.amdhsa_system_sgpr_workgroup_id_y 0
		.amdhsa_system_sgpr_workgroup_id_z 0
		.amdhsa_system_sgpr_workgroup_info 0
		.amdhsa_system_vgpr_workitem_id 0
		.amdhsa_next_free_vgpr 23
		.amdhsa_next_free_sgpr 16
		.amdhsa_reserve_vcc 1
		.amdhsa_float_round_mode_32 0
		.amdhsa_float_round_mode_16_64 0
		.amdhsa_float_denorm_mode_32 3
		.amdhsa_float_denorm_mode_16_64 3
		.amdhsa_dx10_clamp 1
		.amdhsa_ieee_mode 1
		.amdhsa_fp16_overflow 0
		.amdhsa_workgroup_processor_mode 1
		.amdhsa_memory_ordered 1
		.amdhsa_forward_progress 0
		.amdhsa_shared_vgpr_count 0
		.amdhsa_exception_fp_ieee_invalid_op 0
		.amdhsa_exception_fp_denorm_src 0
		.amdhsa_exception_fp_ieee_div_zero 0
		.amdhsa_exception_fp_ieee_overflow 0
		.amdhsa_exception_fp_ieee_underflow 0
		.amdhsa_exception_fp_ieee_inexact 0
		.amdhsa_exception_int_div_zero 0
	.end_amdhsa_kernel
	.section	.text._Z6kernelI14exclusive_scanILN6hipcub18BlockScanAlgorithmE1EEhLj256ELj4ELj100EEvPKT0_PS4_S4_,"axG",@progbits,_Z6kernelI14exclusive_scanILN6hipcub18BlockScanAlgorithmE1EEhLj256ELj4ELj100EEvPKT0_PS4_S4_,comdat
.Lfunc_end152:
	.size	_Z6kernelI14exclusive_scanILN6hipcub18BlockScanAlgorithmE1EEhLj256ELj4ELj100EEvPKT0_PS4_S4_, .Lfunc_end152-_Z6kernelI14exclusive_scanILN6hipcub18BlockScanAlgorithmE1EEhLj256ELj4ELj100EEvPKT0_PS4_S4_
                                        ; -- End function
	.section	.AMDGPU.csdata,"",@progbits
; Kernel info:
; codeLenInByte = 1084
; NumSgprs: 18
; NumVgprs: 23
; ScratchSize: 0
; MemoryBound: 0
; FloatMode: 240
; IeeeMode: 1
; LDSByteSize: 264 bytes/workgroup (compile time only)
; SGPRBlocks: 2
; VGPRBlocks: 2
; NumSGPRsForWavesPerEU: 18
; NumVGPRsForWavesPerEU: 23
; Occupancy: 16
; WaveLimiterHint : 0
; COMPUTE_PGM_RSRC2:SCRATCH_EN: 0
; COMPUTE_PGM_RSRC2:USER_SGPR: 15
; COMPUTE_PGM_RSRC2:TRAP_HANDLER: 0
; COMPUTE_PGM_RSRC2:TGID_X_EN: 1
; COMPUTE_PGM_RSRC2:TGID_Y_EN: 0
; COMPUTE_PGM_RSRC2:TGID_Z_EN: 0
; COMPUTE_PGM_RSRC2:TIDIG_COMP_CNT: 0
	.section	.text._Z6kernelI14exclusive_scanILN6hipcub18BlockScanAlgorithmE1EEhLj256ELj8ELj100EEvPKT0_PS4_S4_,"axG",@progbits,_Z6kernelI14exclusive_scanILN6hipcub18BlockScanAlgorithmE1EEhLj256ELj8ELj100EEvPKT0_PS4_S4_,comdat
	.protected	_Z6kernelI14exclusive_scanILN6hipcub18BlockScanAlgorithmE1EEhLj256ELj8ELj100EEvPKT0_PS4_S4_ ; -- Begin function _Z6kernelI14exclusive_scanILN6hipcub18BlockScanAlgorithmE1EEhLj256ELj8ELj100EEvPKT0_PS4_S4_
	.globl	_Z6kernelI14exclusive_scanILN6hipcub18BlockScanAlgorithmE1EEhLj256ELj8ELj100EEvPKT0_PS4_S4_
	.p2align	8
	.type	_Z6kernelI14exclusive_scanILN6hipcub18BlockScanAlgorithmE1EEhLj256ELj8ELj100EEvPKT0_PS4_S4_,@function
_Z6kernelI14exclusive_scanILN6hipcub18BlockScanAlgorithmE1EEhLj256ELj8ELj100EEvPKT0_PS4_S4_: ; @_Z6kernelI14exclusive_scanILN6hipcub18BlockScanAlgorithmE1EEhLj256ELj8ELj100EEvPKT0_PS4_S4_
; %bb.0:
	s_clause 0x2
	s_load_b32 s2, s[0:1], 0x24
	s_load_b128 s[4:7], s[0:1], 0x0
	s_load_b32 s3, s[0:1], 0x10
	v_add_nc_u32_e32 v6, -1, v0
	v_lshrrev_b32_e32 v4, 5, v0
	v_lshrrev_b32_e32 v7, 2, v0
	v_mbcnt_lo_u32_b32 v5, -1, 0
	v_cmp_gt_u32_e32 vcc_lo, 32, v0
	v_lshrrev_b32_e32 v8, 5, v6
	v_add_nc_u32_e32 v4, v4, v0
	v_cmp_eq_u32_e64 s0, 0, v0
	v_cmp_ne_u32_e64 s1, 0, v0
	v_add_nc_u32_e32 v9, -1, v5
	v_add_nc_u32_e32 v6, v8, v6
	v_and_b32_e32 v8, 16, v5
	s_waitcnt lgkmcnt(0)
	s_and_b32 s2, s2, 0xffff
	s_delay_alu instid0(SALU_CYCLE_1) | instskip(NEXT) | instid1(SALU_CYCLE_1)
	s_mul_i32 s15, s15, s2
	v_add_lshl_u32 v3, s15, v0, 3
	v_lshl_add_u32 v0, v0, 3, v7
	v_and_b32_e32 v7, 15, v5
	global_load_b64 v[1:2], v3, s[4:5]
	s_movk_i32 s4, 0x64
	s_branch .LBB153_2
.LBB153_1:                              ;   in Loop: Header=BB153_2 Depth=1
	s_or_b32 exec_lo, exec_lo, s2
	s_delay_alu instid0(VALU_DEP_1) | instskip(SKIP_2) | instid1(SALU_CYCLE_1)
	v_add_nc_u16 v1, v15, v1
	v_and_b32_e32 v17, 0xff, v15
	s_add_i32 s4, s4, -1
	s_cmp_lg_u32 s4, 0
	s_delay_alu instid0(VALU_DEP_2) | instskip(SKIP_1) | instid1(VALU_DEP_2)
	v_add_nc_u16 v16, v1, v10
	v_lshlrev_b16 v10, 8, v1
	v_add_nc_u16 v11, v16, v11
	v_and_b32_e32 v1, 0xff, v16
	s_delay_alu instid0(VALU_DEP_3) | instskip(NEXT) | instid1(VALU_DEP_3)
	v_or_b32_e32 v16, v17, v10
	v_add_nc_u16 v13, v11, v13
	v_lshlrev_b16 v11, 8, v11
	s_delay_alu instid0(VALU_DEP_2) | instskip(SKIP_1) | instid1(VALU_DEP_3)
	v_add_nc_u16 v2, v13, v2
	v_and_b32_e32 v13, 0xff, v13
	v_or_b32_e32 v1, v1, v11
	s_delay_alu instid0(VALU_DEP_3) | instskip(SKIP_1) | instid1(VALU_DEP_3)
	v_add_nc_u16 v14, v2, v14
	v_lshlrev_b16 v2, 8, v2
	v_lshlrev_b32_e32 v11, 16, v1
	s_delay_alu instid0(VALU_DEP_3) | instskip(SKIP_1) | instid1(VALU_DEP_4)
	v_add_nc_u16 v12, v14, v12
	v_and_b32_e32 v14, 0xff, v14
	v_or_b32_e32 v2, v13, v2
	s_delay_alu instid0(VALU_DEP_3) | instskip(NEXT) | instid1(VALU_DEP_1)
	v_lshlrev_b16 v12, 8, v12
	v_or_b32_e32 v13, v14, v12
	v_and_b32_e32 v14, 0xffff, v16
	s_delay_alu instid0(VALU_DEP_4) | instskip(NEXT) | instid1(VALU_DEP_3)
	v_and_b32_e32 v12, 0xffff, v2
	v_lshlrev_b32_e32 v13, 16, v13
	s_delay_alu instid0(VALU_DEP_3) | instskip(NEXT) | instid1(VALU_DEP_2)
	v_or_b32_e32 v1, v14, v11
	v_or_b32_e32 v2, v12, v13
	s_cbranch_scc0 .LBB153_6
.LBB153_2:                              ; =>This Inner Loop Header: Depth=1
	s_waitcnt vmcnt(0)
	s_delay_alu instid0(VALU_DEP_2)
	v_lshrrev_b32_e32 v10, 8, v1
	v_lshrrev_b32_e32 v11, 16, v1
	;; [unrolled: 1-line block ×5, first 2 shown]
	v_add_nc_u16 v12, v10, v1
	s_delay_alu instid0(VALU_DEP_1) | instskip(NEXT) | instid1(VALU_DEP_1)
	v_add_nc_u16 v12, v12, v11
	v_add_nc_u16 v12, v12, v13
	s_delay_alu instid0(VALU_DEP_1) | instskip(SKIP_1) | instid1(VALU_DEP_2)
	v_add_nc_u16 v15, v12, v2
	v_lshrrev_b32_e32 v12, 16, v2
	v_add_nc_u16 v15, v15, v14
	s_delay_alu instid0(VALU_DEP_1) | instskip(NEXT) | instid1(VALU_DEP_1)
	v_add_nc_u16 v15, v15, v12
	v_add_nc_u16 v15, v15, v16
	ds_store_b8 v4, v15
	s_waitcnt lgkmcnt(0)
	s_barrier
	buffer_gl0_inv
	s_and_saveexec_b32 s5, vcc_lo
	s_cbranch_execz .LBB153_4
; %bb.3:                                ;   in Loop: Header=BB153_2 Depth=1
	ds_load_b64 v[16:17], v0
	v_cmp_ne_u32_e64 s2, 0, v7
	s_waitcnt lgkmcnt(0)
	v_lshrrev_b32_e32 v18, 8, v16
	v_lshrrev_b32_e32 v19, 16, v16
	;; [unrolled: 1-line block ×5, first 2 shown]
	v_add_nc_u16 v20, v18, v16
	v_lshrrev_b32_e32 v24, 24, v17
	s_delay_alu instid0(VALU_DEP_2) | instskip(NEXT) | instid1(VALU_DEP_1)
	v_add_nc_u16 v20, v20, v19
	v_add_nc_u16 v20, v20, v21
	s_delay_alu instid0(VALU_DEP_1) | instskip(NEXT) | instid1(VALU_DEP_1)
	v_add_nc_u16 v20, v20, v17
	v_add_nc_u16 v20, v20, v22
	s_delay_alu instid0(VALU_DEP_1) | instskip(NEXT) | instid1(VALU_DEP_1)
	;; [unrolled: 3-line block ×3, first 2 shown]
	v_and_b32_e32 v25, 0xff, v20
	v_mov_b32_dpp v25, v25 row_shr:1 row_mask:0xf bank_mask:0xf
	s_delay_alu instid0(VALU_DEP_1) | instskip(SKIP_1) | instid1(VALU_DEP_2)
	v_cndmask_b32_e64 v25, 0, v25, s2
	v_cmp_lt_u32_e64 s2, 1, v7
	v_add_nc_u16 v20, v25, v20
	s_delay_alu instid0(VALU_DEP_1) | instskip(NEXT) | instid1(VALU_DEP_1)
	v_and_b32_e32 v25, 0xff, v20
	v_mov_b32_dpp v25, v25 row_shr:2 row_mask:0xf bank_mask:0xf
	s_delay_alu instid0(VALU_DEP_1) | instskip(SKIP_1) | instid1(VALU_DEP_2)
	v_cndmask_b32_e64 v25, 0, v25, s2
	v_cmp_lt_u32_e64 s2, 3, v7
	v_add_nc_u16 v20, v20, v25
	s_delay_alu instid0(VALU_DEP_1) | instskip(NEXT) | instid1(VALU_DEP_1)
	;; [unrolled: 7-line block ×3, first 2 shown]
	v_and_b32_e32 v25, 0xff, v20
	v_mov_b32_dpp v25, v25 row_shr:8 row_mask:0xf bank_mask:0xf
	s_delay_alu instid0(VALU_DEP_1) | instskip(SKIP_1) | instid1(VALU_DEP_2)
	v_cndmask_b32_e64 v25, 0, v25, s2
	v_cmp_ne_u32_e64 s2, 0, v8
	v_add_nc_u16 v20, v20, v25
	s_delay_alu instid0(VALU_DEP_1) | instskip(SKIP_4) | instid1(VALU_DEP_2)
	v_and_b32_e32 v25, 0xff, v20
	ds_swizzle_b32 v25, v25 offset:swizzle(BROADCAST,32,15)
	s_waitcnt lgkmcnt(0)
	v_cndmask_b32_e64 v25, 0, v25, s2
	v_cmp_gt_i32_e64 s2, 0, v9
	v_add_nc_u16 v20, v20, v25
	s_delay_alu instid0(VALU_DEP_2) | instskip(NEXT) | instid1(VALU_DEP_2)
	v_cndmask_b32_e64 v26, v9, v5, s2
	v_and_b32_e32 v20, 0xff, v20
	s_delay_alu instid0(VALU_DEP_2) | instskip(SKIP_3) | instid1(VALU_DEP_1)
	v_lshlrev_b32_e32 v25, 2, v26
	ds_bpermute_b32 v20, v25, v20
	s_waitcnt lgkmcnt(0)
	v_add_nc_u16 v16, v16, v20
	v_cndmask_b32_e64 v15, v16, v15, s0
	s_delay_alu instid0(VALU_DEP_1) | instskip(SKIP_1) | instid1(VALU_DEP_2)
	v_add_nc_u16 v16, v15, v18
	v_and_b32_e32 v15, 0xff, v15
	v_add_nc_u16 v18, v16, v19
	v_lshlrev_b16 v16, 8, v16
	s_delay_alu instid0(VALU_DEP_2) | instskip(SKIP_1) | instid1(VALU_DEP_3)
	v_add_nc_u16 v19, v18, v21
	v_and_b32_e32 v18, 0xff, v18
	v_or_b32_e32 v15, v15, v16
	s_delay_alu instid0(VALU_DEP_3) | instskip(SKIP_1) | instid1(VALU_DEP_3)
	v_add_nc_u16 v17, v19, v17
	v_lshlrev_b16 v19, 8, v19
	v_and_b32_e32 v15, 0xffff, v15
	s_delay_alu instid0(VALU_DEP_3) | instskip(SKIP_1) | instid1(VALU_DEP_4)
	v_add_nc_u16 v20, v17, v22
	v_and_b32_e32 v17, 0xff, v17
	v_or_b32_e32 v16, v18, v19
	s_delay_alu instid0(VALU_DEP_3) | instskip(SKIP_1) | instid1(VALU_DEP_3)
	v_add_nc_u16 v21, v20, v23
	v_lshlrev_b16 v20, 8, v20
	v_lshlrev_b32_e32 v16, 16, v16
	s_delay_alu instid0(VALU_DEP_3) | instskip(SKIP_1) | instid1(VALU_DEP_4)
	v_add_nc_u16 v22, v21, v24
	v_and_b32_e32 v21, 0xff, v21
	v_or_b32_e32 v17, v17, v20
	s_delay_alu instid0(VALU_DEP_4) | instskip(NEXT) | instid1(VALU_DEP_4)
	v_or_b32_e32 v15, v15, v16
	v_lshlrev_b16 v22, 8, v22
	s_delay_alu instid0(VALU_DEP_3) | instskip(NEXT) | instid1(VALU_DEP_2)
	v_and_b32_e32 v17, 0xffff, v17
	v_or_b32_e32 v18, v21, v22
	s_delay_alu instid0(VALU_DEP_1) | instskip(NEXT) | instid1(VALU_DEP_1)
	v_lshlrev_b32_e32 v18, 16, v18
	v_or_b32_e32 v16, v17, v18
	ds_store_b64 v0, v[15:16]
.LBB153_4:                              ;   in Loop: Header=BB153_2 Depth=1
	s_or_b32 exec_lo, exec_lo, s5
	v_mov_b32_e32 v15, s3
	s_waitcnt lgkmcnt(0)
	s_barrier
	buffer_gl0_inv
	s_and_saveexec_b32 s2, s1
	s_cbranch_execz .LBB153_1
; %bb.5:                                ;   in Loop: Header=BB153_2 Depth=1
	ds_load_u8 v15, v6
	s_waitcnt lgkmcnt(0)
	v_add_nc_u16 v15, v15, s3
	s_branch .LBB153_1
.LBB153_6:
	v_and_b32_e32 v0, 0xff, v15
	s_delay_alu instid0(VALU_DEP_1) | instskip(NEXT) | instid1(VALU_DEP_1)
	v_or_b32_e32 v0, v0, v10
	v_and_b32_e32 v2, 0xffff, v0
	v_add_co_u32 v0, s0, s6, v3
	s_delay_alu instid0(VALU_DEP_1) | instskip(SKIP_1) | instid1(VALU_DEP_4)
	v_add_co_ci_u32_e64 v1, null, s7, 0, s0
	v_or_b32_e32 v3, v12, v13
	v_or_b32_e32 v2, v2, v11
	global_store_b64 v[0:1], v[2:3], off
	s_nop 0
	s_sendmsg sendmsg(MSG_DEALLOC_VGPRS)
	s_endpgm
	.section	.rodata,"a",@progbits
	.p2align	6, 0x0
	.amdhsa_kernel _Z6kernelI14exclusive_scanILN6hipcub18BlockScanAlgorithmE1EEhLj256ELj8ELj100EEvPKT0_PS4_S4_
		.amdhsa_group_segment_fixed_size 264
		.amdhsa_private_segment_fixed_size 0
		.amdhsa_kernarg_size 280
		.amdhsa_user_sgpr_count 15
		.amdhsa_user_sgpr_dispatch_ptr 0
		.amdhsa_user_sgpr_queue_ptr 0
		.amdhsa_user_sgpr_kernarg_segment_ptr 1
		.amdhsa_user_sgpr_dispatch_id 0
		.amdhsa_user_sgpr_private_segment_size 0
		.amdhsa_wavefront_size32 1
		.amdhsa_uses_dynamic_stack 0
		.amdhsa_enable_private_segment 0
		.amdhsa_system_sgpr_workgroup_id_x 1
		.amdhsa_system_sgpr_workgroup_id_y 0
		.amdhsa_system_sgpr_workgroup_id_z 0
		.amdhsa_system_sgpr_workgroup_info 0
		.amdhsa_system_vgpr_workitem_id 0
		.amdhsa_next_free_vgpr 27
		.amdhsa_next_free_sgpr 16
		.amdhsa_reserve_vcc 1
		.amdhsa_float_round_mode_32 0
		.amdhsa_float_round_mode_16_64 0
		.amdhsa_float_denorm_mode_32 3
		.amdhsa_float_denorm_mode_16_64 3
		.amdhsa_dx10_clamp 1
		.amdhsa_ieee_mode 1
		.amdhsa_fp16_overflow 0
		.amdhsa_workgroup_processor_mode 1
		.amdhsa_memory_ordered 1
		.amdhsa_forward_progress 0
		.amdhsa_shared_vgpr_count 0
		.amdhsa_exception_fp_ieee_invalid_op 0
		.amdhsa_exception_fp_denorm_src 0
		.amdhsa_exception_fp_ieee_div_zero 0
		.amdhsa_exception_fp_ieee_overflow 0
		.amdhsa_exception_fp_ieee_underflow 0
		.amdhsa_exception_fp_ieee_inexact 0
		.amdhsa_exception_int_div_zero 0
	.end_amdhsa_kernel
	.section	.text._Z6kernelI14exclusive_scanILN6hipcub18BlockScanAlgorithmE1EEhLj256ELj8ELj100EEvPKT0_PS4_S4_,"axG",@progbits,_Z6kernelI14exclusive_scanILN6hipcub18BlockScanAlgorithmE1EEhLj256ELj8ELj100EEvPKT0_PS4_S4_,comdat
.Lfunc_end153:
	.size	_Z6kernelI14exclusive_scanILN6hipcub18BlockScanAlgorithmE1EEhLj256ELj8ELj100EEvPKT0_PS4_S4_, .Lfunc_end153-_Z6kernelI14exclusive_scanILN6hipcub18BlockScanAlgorithmE1EEhLj256ELj8ELj100EEvPKT0_PS4_S4_
                                        ; -- End function
	.section	.AMDGPU.csdata,"",@progbits
; Kernel info:
; codeLenInByte = 1244
; NumSgprs: 18
; NumVgprs: 27
; ScratchSize: 0
; MemoryBound: 0
; FloatMode: 240
; IeeeMode: 1
; LDSByteSize: 264 bytes/workgroup (compile time only)
; SGPRBlocks: 2
; VGPRBlocks: 3
; NumSGPRsForWavesPerEU: 18
; NumVGPRsForWavesPerEU: 27
; Occupancy: 16
; WaveLimiterHint : 0
; COMPUTE_PGM_RSRC2:SCRATCH_EN: 0
; COMPUTE_PGM_RSRC2:USER_SGPR: 15
; COMPUTE_PGM_RSRC2:TRAP_HANDLER: 0
; COMPUTE_PGM_RSRC2:TGID_X_EN: 1
; COMPUTE_PGM_RSRC2:TGID_Y_EN: 0
; COMPUTE_PGM_RSRC2:TGID_Z_EN: 0
; COMPUTE_PGM_RSRC2:TIDIG_COMP_CNT: 0
	.section	.text._Z6kernelI14exclusive_scanILN6hipcub18BlockScanAlgorithmE1EEhLj256ELj11ELj100EEvPKT0_PS4_S4_,"axG",@progbits,_Z6kernelI14exclusive_scanILN6hipcub18BlockScanAlgorithmE1EEhLj256ELj11ELj100EEvPKT0_PS4_S4_,comdat
	.protected	_Z6kernelI14exclusive_scanILN6hipcub18BlockScanAlgorithmE1EEhLj256ELj11ELj100EEvPKT0_PS4_S4_ ; -- Begin function _Z6kernelI14exclusive_scanILN6hipcub18BlockScanAlgorithmE1EEhLj256ELj11ELj100EEvPKT0_PS4_S4_
	.globl	_Z6kernelI14exclusive_scanILN6hipcub18BlockScanAlgorithmE1EEhLj256ELj11ELj100EEvPKT0_PS4_S4_
	.p2align	8
	.type	_Z6kernelI14exclusive_scanILN6hipcub18BlockScanAlgorithmE1EEhLj256ELj11ELj100EEvPKT0_PS4_S4_,@function
_Z6kernelI14exclusive_scanILN6hipcub18BlockScanAlgorithmE1EEhLj256ELj11ELj100EEvPKT0_PS4_S4_: ; @_Z6kernelI14exclusive_scanILN6hipcub18BlockScanAlgorithmE1EEhLj256ELj11ELj100EEvPKT0_PS4_S4_
; %bb.0:
	s_clause 0x2
	s_load_b32 s2, s[0:1], 0x24
	s_load_b32 s3, s[0:1], 0x10
	s_load_b128 s[4:7], s[0:1], 0x0
	v_add_nc_u32_e32 v27, -1, v0
	v_mbcnt_lo_u32_b32 v14, -1, 0
	v_lshrrev_b32_e32 v25, 5, v0
	v_lshrrev_b32_e32 v26, 2, v0
	v_cmp_gt_u32_e32 vcc_lo, 32, v0
	v_cmp_eq_u32_e64 s0, 0, v0
	v_cmp_ne_u32_e64 s1, 0, v0
	v_and_b32_e32 v15, 15, v14
	s_waitcnt lgkmcnt(0)
	s_and_b32 s2, s2, 0xffff
	s_delay_alu instid0(SALU_CYCLE_1) | instskip(NEXT) | instid1(VALU_DEP_1)
	v_mad_u64_u32 v[1:2], null, s15, s2, v[0:1]
	v_mul_lo_u32 v11, v1, 11
	s_delay_alu instid0(VALU_DEP_1)
	v_add_nc_u32_e32 v10, 1, v11
	v_add_nc_u32_e32 v8, 3, v11
	;; [unrolled: 1-line block ×7, first 2 shown]
	s_clause 0x7
	global_load_u8 v16, v10, s[4:5]
	global_load_u8 v17, v8, s[4:5]
	global_load_u8 v18, v4, s[4:5]
	global_load_u8 v19, v1, s[4:5]
	global_load_u8 v20, v11, s[4:5]
	global_load_u8 v21, v9, s[4:5]
	global_load_u8 v23, v7, s[4:5]
	global_load_u8 v24, v6, s[4:5]
	v_add_nc_u32_e32 v5, 8, v11
	v_add_nc_u32_e32 v3, 9, v11
	;; [unrolled: 1-line block ×3, first 2 shown]
	s_clause 0x2
	global_load_u8 v13, v5, s[4:5]
	global_load_u8 v12, v3, s[4:5]
	;; [unrolled: 1-line block ×3, first 2 shown]
	s_movk_i32 s4, 0x64
	s_waitcnt vmcnt(10)
	v_lshlrev_b16 v28, 8, v16
	s_waitcnt vmcnt(9)
	v_lshlrev_b16 v17, 8, v17
	;; [unrolled: 2-line block ×4, first 2 shown]
	v_and_b32_e32 v16, 16, v14
	s_waitcnt vmcnt(6)
	v_or_b32_e32 v20, v20, v28
	s_waitcnt vmcnt(5)
	v_or_b32_e32 v17, v21, v17
	;; [unrolled: 2-line block ×4, first 2 shown]
	v_lshrrev_b32_e32 v21, 5, v27
	v_and_b32_e32 v20, 0xffff, v20
	v_lshlrev_b32_e32 v23, 16, v17
	v_and_b32_e32 v24, 0xffff, v18
	v_lshlrev_b32_e32 v19, 16, v19
	v_add_nc_u32_e32 v17, v25, v0
	v_lshl_add_u32 v0, v0, 3, v26
	v_add_nc_u32_e32 v18, v21, v27
	v_or_b32_e32 v21, v20, v23
	v_or_b32_e32 v20, v24, v19
	v_add_nc_u32_e32 v19, -1, v14
.LBB154_1:                              ; =>This Inner Loop Header: Depth=1
	s_delay_alu instid0(VALU_DEP_3)
	v_lshrrev_b32_e32 v26, 8, v21
	v_lshrrev_b32_e32 v25, 16, v21
	;; [unrolled: 1-line block ×5, first 2 shown]
	v_add_nc_u16 v23, v26, v21
	s_delay_alu instid0(VALU_DEP_1) | instskip(NEXT) | instid1(VALU_DEP_1)
	v_add_nc_u16 v23, v23, v25
	v_add_nc_u16 v23, v23, v27
	s_delay_alu instid0(VALU_DEP_1) | instskip(NEXT) | instid1(VALU_DEP_1)
	v_add_nc_u16 v23, v23, v20
	v_add_nc_u16 v29, v23, v28
	v_lshrrev_b32_e32 v23, 24, v20
	s_delay_alu instid0(VALU_DEP_2) | instskip(NEXT) | instid1(VALU_DEP_1)
	v_add_nc_u16 v29, v29, v24
	v_add_nc_u16 v29, v29, v23
	s_waitcnt vmcnt(2)
	s_delay_alu instid0(VALU_DEP_1) | instskip(SKIP_1) | instid1(VALU_DEP_1)
	v_add_nc_u16 v29, v29, v13
	s_waitcnt vmcnt(1)
	v_add_nc_u16 v29, v29, v12
	s_waitcnt vmcnt(0)
	s_delay_alu instid0(VALU_DEP_1)
	v_add_nc_u16 v22, v29, v22
	ds_store_b8 v17, v22
	s_waitcnt lgkmcnt(0)
	s_barrier
	buffer_gl0_inv
	s_and_saveexec_b32 s5, vcc_lo
	s_cbranch_execz .LBB154_3
; %bb.2:                                ;   in Loop: Header=BB154_1 Depth=1
	ds_load_b64 v[29:30], v0
	v_cmp_ne_u32_e64 s2, 0, v15
	s_waitcnt lgkmcnt(0)
	v_lshrrev_b32_e32 v31, 8, v29
	v_lshrrev_b32_e32 v32, 16, v29
	;; [unrolled: 1-line block ×5, first 2 shown]
	v_add_nc_u16 v33, v31, v29
	v_lshrrev_b32_e32 v37, 24, v30
	s_delay_alu instid0(VALU_DEP_2) | instskip(NEXT) | instid1(VALU_DEP_1)
	v_add_nc_u16 v33, v33, v32
	v_add_nc_u16 v33, v33, v34
	s_delay_alu instid0(VALU_DEP_1) | instskip(NEXT) | instid1(VALU_DEP_1)
	v_add_nc_u16 v33, v33, v30
	v_add_nc_u16 v33, v33, v35
	s_delay_alu instid0(VALU_DEP_1) | instskip(NEXT) | instid1(VALU_DEP_1)
	;; [unrolled: 3-line block ×3, first 2 shown]
	v_and_b32_e32 v38, 0xff, v33
	v_mov_b32_dpp v38, v38 row_shr:1 row_mask:0xf bank_mask:0xf
	s_delay_alu instid0(VALU_DEP_1) | instskip(SKIP_1) | instid1(VALU_DEP_2)
	v_cndmask_b32_e64 v38, 0, v38, s2
	v_cmp_lt_u32_e64 s2, 1, v15
	v_add_nc_u16 v33, v38, v33
	s_delay_alu instid0(VALU_DEP_1) | instskip(NEXT) | instid1(VALU_DEP_1)
	v_and_b32_e32 v38, 0xff, v33
	v_mov_b32_dpp v38, v38 row_shr:2 row_mask:0xf bank_mask:0xf
	s_delay_alu instid0(VALU_DEP_1) | instskip(SKIP_1) | instid1(VALU_DEP_2)
	v_cndmask_b32_e64 v38, 0, v38, s2
	v_cmp_lt_u32_e64 s2, 3, v15
	v_add_nc_u16 v33, v33, v38
	s_delay_alu instid0(VALU_DEP_1) | instskip(NEXT) | instid1(VALU_DEP_1)
	;; [unrolled: 7-line block ×3, first 2 shown]
	v_and_b32_e32 v38, 0xff, v33
	v_mov_b32_dpp v38, v38 row_shr:8 row_mask:0xf bank_mask:0xf
	s_delay_alu instid0(VALU_DEP_1) | instskip(SKIP_1) | instid1(VALU_DEP_2)
	v_cndmask_b32_e64 v38, 0, v38, s2
	v_cmp_ne_u32_e64 s2, 0, v16
	v_add_nc_u16 v33, v33, v38
	s_delay_alu instid0(VALU_DEP_1) | instskip(SKIP_4) | instid1(VALU_DEP_2)
	v_and_b32_e32 v38, 0xff, v33
	ds_swizzle_b32 v38, v38 offset:swizzle(BROADCAST,32,15)
	s_waitcnt lgkmcnt(0)
	v_cndmask_b32_e64 v38, 0, v38, s2
	v_cmp_gt_i32_e64 s2, 0, v19
	v_add_nc_u16 v33, v33, v38
	s_delay_alu instid0(VALU_DEP_2) | instskip(NEXT) | instid1(VALU_DEP_2)
	v_cndmask_b32_e64 v39, v19, v14, s2
	v_and_b32_e32 v33, 0xff, v33
	s_delay_alu instid0(VALU_DEP_2) | instskip(SKIP_3) | instid1(VALU_DEP_1)
	v_lshlrev_b32_e32 v38, 2, v39
	ds_bpermute_b32 v33, v38, v33
	s_waitcnt lgkmcnt(0)
	v_add_nc_u16 v29, v29, v33
	v_cndmask_b32_e64 v22, v29, v22, s0
	s_delay_alu instid0(VALU_DEP_1) | instskip(SKIP_1) | instid1(VALU_DEP_2)
	v_add_nc_u16 v29, v22, v31
	v_and_b32_e32 v22, 0xff, v22
	v_add_nc_u16 v31, v29, v32
	v_lshlrev_b16 v29, 8, v29
	s_delay_alu instid0(VALU_DEP_2) | instskip(SKIP_1) | instid1(VALU_DEP_3)
	v_add_nc_u16 v32, v31, v34
	v_and_b32_e32 v31, 0xff, v31
	v_or_b32_e32 v22, v22, v29
	s_delay_alu instid0(VALU_DEP_3) | instskip(SKIP_1) | instid1(VALU_DEP_3)
	v_add_nc_u16 v30, v32, v30
	v_lshlrev_b16 v32, 8, v32
	v_and_b32_e32 v22, 0xffff, v22
	s_delay_alu instid0(VALU_DEP_3) | instskip(SKIP_1) | instid1(VALU_DEP_4)
	v_add_nc_u16 v33, v30, v35
	v_and_b32_e32 v30, 0xff, v30
	v_or_b32_e32 v29, v31, v32
	s_delay_alu instid0(VALU_DEP_3) | instskip(SKIP_1) | instid1(VALU_DEP_3)
	v_add_nc_u16 v34, v33, v36
	v_lshlrev_b16 v33, 8, v33
	v_lshlrev_b32_e32 v29, 16, v29
	s_delay_alu instid0(VALU_DEP_3) | instskip(SKIP_1) | instid1(VALU_DEP_4)
	v_add_nc_u16 v35, v34, v37
	v_and_b32_e32 v34, 0xff, v34
	v_or_b32_e32 v30, v30, v33
	s_delay_alu instid0(VALU_DEP_4) | instskip(NEXT) | instid1(VALU_DEP_4)
	v_or_b32_e32 v29, v22, v29
	v_lshlrev_b16 v35, 8, v35
	s_delay_alu instid0(VALU_DEP_3) | instskip(NEXT) | instid1(VALU_DEP_2)
	v_and_b32_e32 v30, 0xffff, v30
	v_or_b32_e32 v31, v34, v35
	s_delay_alu instid0(VALU_DEP_1) | instskip(NEXT) | instid1(VALU_DEP_1)
	v_lshlrev_b32_e32 v31, 16, v31
	v_or_b32_e32 v30, v30, v31
	ds_store_b64 v0, v[29:30]
.LBB154_3:                              ;   in Loop: Header=BB154_1 Depth=1
	s_or_b32 exec_lo, exec_lo, s5
	v_mov_b32_e32 v29, s3
	s_waitcnt lgkmcnt(0)
	s_barrier
	buffer_gl0_inv
	s_and_saveexec_b32 s2, s1
	s_cbranch_execz .LBB154_5
; %bb.4:                                ;   in Loop: Header=BB154_1 Depth=1
	ds_load_u8 v22, v18
	s_waitcnt lgkmcnt(0)
	v_add_nc_u16 v29, v22, s3
.LBB154_5:                              ;   in Loop: Header=BB154_1 Depth=1
	s_or_b32 exec_lo, exec_lo, s2
	s_delay_alu instid0(VALU_DEP_1) | instskip(SKIP_1) | instid1(SALU_CYCLE_1)
	v_add_nc_u16 v30, v29, v21
	s_add_i32 s4, s4, -1
	s_cmp_lg_u32 s4, 0
	s_delay_alu instid0(VALU_DEP_1) | instskip(SKIP_1) | instid1(VALU_DEP_2)
	v_add_nc_u16 v26, v30, v26
	v_lshlrev_b16 v21, 8, v30
	v_add_nc_u16 v25, v26, v25
	v_and_b32_e32 v22, 0xff, v26
	s_delay_alu instid0(VALU_DEP_2) | instskip(SKIP_1) | instid1(VALU_DEP_2)
	v_add_nc_u16 v27, v25, v27
	v_lshlrev_b16 v32, 8, v25
	v_add_nc_u16 v31, v27, v20
	v_and_b32_e32 v20, 0xff, v29
	v_and_b32_e32 v33, 0xff, v27
	s_delay_alu instid0(VALU_DEP_3) | instskip(SKIP_1) | instid1(VALU_DEP_4)
	v_add_nc_u16 v28, v31, v28
	v_lshlrev_b16 v34, 8, v31
	v_or_b32_e32 v20, v20, v21
	v_or_b32_e32 v21, v22, v32
	s_delay_alu instid0(VALU_DEP_4)
	v_add_nc_u16 v24, v28, v24
	v_and_b32_e32 v35, 0xff, v28
	v_or_b32_e32 v22, v33, v34
	v_and_b32_e32 v20, 0xffff, v20
	v_lshlrev_b32_e32 v21, 16, v21
	v_lshlrev_b16 v36, 8, v24
	v_add_nc_u16 v23, v24, v23
	v_and_b32_e32 v34, 0xffff, v22
	s_delay_alu instid0(VALU_DEP_4) | instskip(NEXT) | instid1(VALU_DEP_4)
	v_or_b32_e32 v21, v20, v21
	v_or_b32_e32 v33, v35, v36
	s_delay_alu instid0(VALU_DEP_4) | instskip(NEXT) | instid1(VALU_DEP_2)
	v_add_nc_u16 v32, v23, v13
	v_lshlrev_b32_e32 v13, 16, v33
	s_delay_alu instid0(VALU_DEP_2) | instskip(NEXT) | instid1(VALU_DEP_2)
	v_add_nc_u16 v22, v32, v12
	v_or_b32_e32 v20, v34, v13
	s_cbranch_scc0 .LBB154_7
; %bb.6:                                ;   in Loop: Header=BB154_1 Depth=1
	v_dual_mov_b32 v13, v23 :: v_dual_mov_b32 v12, v32
	s_branch .LBB154_1
.LBB154_7:
	v_add_co_u32 v11, s0, s6, v11
	s_delay_alu instid0(VALU_DEP_1) | instskip(SKIP_1) | instid1(VALU_DEP_1)
	v_add_co_ci_u32_e64 v12, null, s7, 0, s0
	v_add_co_u32 v13, s0, s6, v10
	v_add_co_ci_u32_e64 v14, null, s7, 0, s0
	v_add_co_u32 v9, s0, s6, v9
	s_delay_alu instid0(VALU_DEP_1) | instskip(SKIP_1) | instid1(VALU_DEP_1)
	v_add_co_ci_u32_e64 v10, null, s7, 0, s0
	v_add_co_u32 v15, s0, s6, v8
	v_add_co_ci_u32_e64 v16, null, s7, 0, s0
	;; [unrolled: 5-line block ×5, first 2 shown]
	v_add_co_u32 v2, s0, s6, v2
	s_delay_alu instid0(VALU_DEP_1)
	v_add_co_ci_u32_e64 v3, null, s7, 0, s0
	s_clause 0xa
	global_store_b8 v[11:12], v29, off
	global_store_b8 v[13:14], v30, off
	;; [unrolled: 1-line block ×11, first 2 shown]
	s_nop 0
	s_sendmsg sendmsg(MSG_DEALLOC_VGPRS)
	s_endpgm
	.section	.rodata,"a",@progbits
	.p2align	6, 0x0
	.amdhsa_kernel _Z6kernelI14exclusive_scanILN6hipcub18BlockScanAlgorithmE1EEhLj256ELj11ELj100EEvPKT0_PS4_S4_
		.amdhsa_group_segment_fixed_size 264
		.amdhsa_private_segment_fixed_size 0
		.amdhsa_kernarg_size 280
		.amdhsa_user_sgpr_count 15
		.amdhsa_user_sgpr_dispatch_ptr 0
		.amdhsa_user_sgpr_queue_ptr 0
		.amdhsa_user_sgpr_kernarg_segment_ptr 1
		.amdhsa_user_sgpr_dispatch_id 0
		.amdhsa_user_sgpr_private_segment_size 0
		.amdhsa_wavefront_size32 1
		.amdhsa_uses_dynamic_stack 0
		.amdhsa_enable_private_segment 0
		.amdhsa_system_sgpr_workgroup_id_x 1
		.amdhsa_system_sgpr_workgroup_id_y 0
		.amdhsa_system_sgpr_workgroup_id_z 0
		.amdhsa_system_sgpr_workgroup_info 0
		.amdhsa_system_vgpr_workitem_id 0
		.amdhsa_next_free_vgpr 40
		.amdhsa_next_free_sgpr 16
		.amdhsa_reserve_vcc 1
		.amdhsa_float_round_mode_32 0
		.amdhsa_float_round_mode_16_64 0
		.amdhsa_float_denorm_mode_32 3
		.amdhsa_float_denorm_mode_16_64 3
		.amdhsa_dx10_clamp 1
		.amdhsa_ieee_mode 1
		.amdhsa_fp16_overflow 0
		.amdhsa_workgroup_processor_mode 1
		.amdhsa_memory_ordered 1
		.amdhsa_forward_progress 0
		.amdhsa_shared_vgpr_count 0
		.amdhsa_exception_fp_ieee_invalid_op 0
		.amdhsa_exception_fp_denorm_src 0
		.amdhsa_exception_fp_ieee_div_zero 0
		.amdhsa_exception_fp_ieee_overflow 0
		.amdhsa_exception_fp_ieee_underflow 0
		.amdhsa_exception_fp_ieee_inexact 0
		.amdhsa_exception_int_div_zero 0
	.end_amdhsa_kernel
	.section	.text._Z6kernelI14exclusive_scanILN6hipcub18BlockScanAlgorithmE1EEhLj256ELj11ELj100EEvPKT0_PS4_S4_,"axG",@progbits,_Z6kernelI14exclusive_scanILN6hipcub18BlockScanAlgorithmE1EEhLj256ELj11ELj100EEvPKT0_PS4_S4_,comdat
.Lfunc_end154:
	.size	_Z6kernelI14exclusive_scanILN6hipcub18BlockScanAlgorithmE1EEhLj256ELj11ELj100EEvPKT0_PS4_S4_, .Lfunc_end154-_Z6kernelI14exclusive_scanILN6hipcub18BlockScanAlgorithmE1EEhLj256ELj11ELj100EEvPKT0_PS4_S4_
                                        ; -- End function
	.section	.AMDGPU.csdata,"",@progbits
; Kernel info:
; codeLenInByte = 1788
; NumSgprs: 18
; NumVgprs: 40
; ScratchSize: 0
; MemoryBound: 0
; FloatMode: 240
; IeeeMode: 1
; LDSByteSize: 264 bytes/workgroup (compile time only)
; SGPRBlocks: 2
; VGPRBlocks: 4
; NumSGPRsForWavesPerEU: 18
; NumVGPRsForWavesPerEU: 40
; Occupancy: 16
; WaveLimiterHint : 0
; COMPUTE_PGM_RSRC2:SCRATCH_EN: 0
; COMPUTE_PGM_RSRC2:USER_SGPR: 15
; COMPUTE_PGM_RSRC2:TRAP_HANDLER: 0
; COMPUTE_PGM_RSRC2:TGID_X_EN: 1
; COMPUTE_PGM_RSRC2:TGID_Y_EN: 0
; COMPUTE_PGM_RSRC2:TGID_Z_EN: 0
; COMPUTE_PGM_RSRC2:TIDIG_COMP_CNT: 0
	.section	.text._Z6kernelI14exclusive_scanILN6hipcub18BlockScanAlgorithmE1EEhLj256ELj16ELj100EEvPKT0_PS4_S4_,"axG",@progbits,_Z6kernelI14exclusive_scanILN6hipcub18BlockScanAlgorithmE1EEhLj256ELj16ELj100EEvPKT0_PS4_S4_,comdat
	.protected	_Z6kernelI14exclusive_scanILN6hipcub18BlockScanAlgorithmE1EEhLj256ELj16ELj100EEvPKT0_PS4_S4_ ; -- Begin function _Z6kernelI14exclusive_scanILN6hipcub18BlockScanAlgorithmE1EEhLj256ELj16ELj100EEvPKT0_PS4_S4_
	.globl	_Z6kernelI14exclusive_scanILN6hipcub18BlockScanAlgorithmE1EEhLj256ELj16ELj100EEvPKT0_PS4_S4_
	.p2align	8
	.type	_Z6kernelI14exclusive_scanILN6hipcub18BlockScanAlgorithmE1EEhLj256ELj16ELj100EEvPKT0_PS4_S4_,@function
_Z6kernelI14exclusive_scanILN6hipcub18BlockScanAlgorithmE1EEhLj256ELj16ELj100EEvPKT0_PS4_S4_: ; @_Z6kernelI14exclusive_scanILN6hipcub18BlockScanAlgorithmE1EEhLj256ELj16ELj100EEvPKT0_PS4_S4_
; %bb.0:
	s_clause 0x2
	s_load_b32 s2, s[0:1], 0x24
	s_load_b128 s[4:7], s[0:1], 0x0
	s_load_b32 s3, s[0:1], 0x10
	v_add_nc_u32_e32 v8, -1, v0
	v_lshrrev_b32_e32 v6, 5, v0
	v_lshrrev_b32_e32 v9, 2, v0
	v_mbcnt_lo_u32_b32 v7, -1, 0
	v_cmp_gt_u32_e32 vcc_lo, 32, v0
	v_lshrrev_b32_e32 v10, 5, v8
	v_add_nc_u32_e32 v6, v6, v0
	v_cmp_eq_u32_e64 s0, 0, v0
	v_cmp_ne_u32_e64 s1, 0, v0
	v_add_nc_u32_e32 v11, -1, v7
	v_add_nc_u32_e32 v8, v10, v8
	v_and_b32_e32 v10, 16, v7
	s_waitcnt lgkmcnt(0)
	s_and_b32 s2, s2, 0xffff
	s_delay_alu instid0(SALU_CYCLE_1) | instskip(NEXT) | instid1(SALU_CYCLE_1)
	s_mul_i32 s15, s15, s2
	v_add_lshl_u32 v5, s15, v0, 4
	v_lshl_add_u32 v0, v0, 3, v9
	v_and_b32_e32 v9, 15, v7
	global_load_b128 v[1:4], v5, s[4:5]
	s_movk_i32 s4, 0x64
	s_branch .LBB155_2
.LBB155_1:                              ;   in Loop: Header=BB155_2 Depth=1
	s_or_b32 exec_lo, exec_lo, s2
	s_delay_alu instid0(VALU_DEP_1) | instskip(SKIP_2) | instid1(SALU_CYCLE_1)
	v_add_nc_u16 v1, v23, v1
	v_and_b32_e32 v25, 0xff, v23
	s_add_i32 s4, s4, -1
	s_cmp_lg_u32 s4, 0
	s_delay_alu instid0(VALU_DEP_2) | instskip(SKIP_1) | instid1(VALU_DEP_2)
	v_add_nc_u16 v24, v1, v15
	v_lshlrev_b16 v15, 8, v1
	v_add_nc_u16 v16, v24, v16
	s_delay_alu instid0(VALU_DEP_1) | instskip(SKIP_1) | instid1(VALU_DEP_2)
	v_add_nc_u16 v17, v16, v17
	v_lshlrev_b16 v16, 8, v16
	v_add_nc_u16 v2, v17, v2
	v_and_b32_e32 v17, 0xff, v17
	s_delay_alu instid0(VALU_DEP_2) | instskip(SKIP_1) | instid1(VALU_DEP_2)
	v_add_nc_u16 v18, v2, v18
	v_lshlrev_b16 v2, 8, v2
	v_add_nc_u16 v20, v18, v20
	s_delay_alu instid0(VALU_DEP_2) | instskip(SKIP_1) | instid1(VALU_DEP_3)
	v_or_b32_e32 v2, v17, v2
	v_and_b32_e32 v17, 0xff, v18
	v_add_nc_u16 v21, v20, v21
	s_delay_alu instid0(VALU_DEP_1) | instskip(SKIP_1) | instid1(VALU_DEP_2)
	v_add_nc_u16 v3, v21, v3
	v_and_b32_e32 v18, 0xff, v21
	v_add_nc_u16 v22, v3, v22
	v_lshlrev_b16 v3, 8, v3
	s_delay_alu instid0(VALU_DEP_2) | instskip(SKIP_1) | instid1(VALU_DEP_3)
	v_add_nc_u16 v1, v22, v19
	v_and_b32_e32 v19, 0xff, v24
	v_or_b32_e32 v3, v18, v3
	s_delay_alu instid0(VALU_DEP_3) | instskip(SKIP_1) | instid1(VALU_DEP_4)
	v_add_nc_u16 v24, v1, v14
	v_or_b32_e32 v14, v25, v15
	v_or_b32_e32 v16, v19, v16
	v_and_b32_e32 v19, 0xff, v22
	v_lshlrev_b16 v1, 8, v1
	v_add_nc_u16 v4, v24, v4
	v_and_b32_e32 v25, 0xffff, v14
	v_lshlrev_b32_e32 v14, 16, v16
	v_and_b32_e32 v16, 0xffff, v2
	v_or_b32_e32 v1, v19, v1
	v_add_nc_u16 v2, v4, v13
	v_lshlrev_b16 v13, 8, v20
	v_and_b32_e32 v20, 0xff, v24
	v_lshlrev_b16 v4, 8, v4
	s_delay_alu instid0(VALU_DEP_4) | instskip(SKIP_2) | instid1(VALU_DEP_4)
	v_add_nc_u16 v12, v2, v12
	v_and_b32_e32 v2, 0xff, v2
	v_or_b32_e32 v13, v17, v13
	v_or_b32_e32 v4, v20, v4
	v_lshlrev_b32_e32 v17, 16, v1
	v_lshlrev_b16 v12, 8, v12
	v_or_b32_e32 v1, v25, v14
	s_delay_alu instid0(VALU_DEP_4) | instskip(NEXT) | instid1(VALU_DEP_3)
	v_and_b32_e32 v18, 0xffff, v4
	v_or_b32_e32 v2, v2, v12
	v_lshlrev_b32_e32 v12, 16, v13
	v_and_b32_e32 v13, 0xffff, v3
	s_delay_alu instid0(VALU_DEP_3) | instskip(NEXT) | instid1(VALU_DEP_3)
	v_lshlrev_b32_e32 v19, 16, v2
	v_or_b32_e32 v2, v16, v12
	s_delay_alu instid0(VALU_DEP_3) | instskip(NEXT) | instid1(VALU_DEP_3)
	v_or_b32_e32 v3, v13, v17
	v_or_b32_e32 v4, v18, v19
	s_cbranch_scc0 .LBB155_6
.LBB155_2:                              ; =>This Inner Loop Header: Depth=1
	s_waitcnt vmcnt(0)
	v_lshrrev_b32_e32 v15, 8, v1
	v_lshrrev_b32_e32 v16, 16, v1
	;; [unrolled: 1-line block ×5, first 2 shown]
	v_add_nc_u16 v12, v15, v1
	v_lshrrev_b32_e32 v21, 24, v2
	v_lshrrev_b32_e32 v22, 8, v3
	;; [unrolled: 1-line block ×4, first 2 shown]
	v_add_nc_u16 v12, v12, v16
	v_lshrrev_b32_e32 v13, 8, v4
	v_lshrrev_b32_e32 v24, 24, v4
	s_delay_alu instid0(VALU_DEP_3) | instskip(NEXT) | instid1(VALU_DEP_1)
	v_add_nc_u16 v12, v12, v17
	v_add_nc_u16 v12, v12, v2
	s_delay_alu instid0(VALU_DEP_1) | instskip(NEXT) | instid1(VALU_DEP_1)
	v_add_nc_u16 v12, v12, v18
	v_add_nc_u16 v12, v12, v20
	s_delay_alu instid0(VALU_DEP_1) | instskip(NEXT) | instid1(VALU_DEP_1)
	;; [unrolled: 3-line block ×4, first 2 shown]
	v_add_nc_u16 v12, v12, v14
	v_add_nc_u16 v23, v12, v4
	v_lshrrev_b32_e32 v12, 16, v4
	s_delay_alu instid0(VALU_DEP_2) | instskip(NEXT) | instid1(VALU_DEP_1)
	v_add_nc_u16 v23, v23, v13
	v_add_nc_u16 v23, v23, v12
	s_delay_alu instid0(VALU_DEP_1)
	v_add_nc_u16 v23, v23, v24
	ds_store_b8 v6, v23
	s_waitcnt lgkmcnt(0)
	s_barrier
	buffer_gl0_inv
	s_and_saveexec_b32 s5, vcc_lo
	s_cbranch_execz .LBB155_4
; %bb.3:                                ;   in Loop: Header=BB155_2 Depth=1
	ds_load_b64 v[24:25], v0
	v_cmp_ne_u32_e64 s2, 0, v9
	s_waitcnt lgkmcnt(0)
	v_lshrrev_b32_e32 v26, 8, v24
	v_lshrrev_b32_e32 v27, 16, v24
	;; [unrolled: 1-line block ×5, first 2 shown]
	v_add_nc_u16 v28, v26, v24
	v_lshrrev_b32_e32 v32, 24, v25
	s_delay_alu instid0(VALU_DEP_2) | instskip(NEXT) | instid1(VALU_DEP_1)
	v_add_nc_u16 v28, v28, v27
	v_add_nc_u16 v28, v28, v29
	s_delay_alu instid0(VALU_DEP_1) | instskip(NEXT) | instid1(VALU_DEP_1)
	v_add_nc_u16 v28, v28, v25
	v_add_nc_u16 v28, v28, v30
	s_delay_alu instid0(VALU_DEP_1) | instskip(NEXT) | instid1(VALU_DEP_1)
	;; [unrolled: 3-line block ×3, first 2 shown]
	v_and_b32_e32 v33, 0xff, v28
	v_mov_b32_dpp v33, v33 row_shr:1 row_mask:0xf bank_mask:0xf
	s_delay_alu instid0(VALU_DEP_1) | instskip(SKIP_1) | instid1(VALU_DEP_2)
	v_cndmask_b32_e64 v33, 0, v33, s2
	v_cmp_lt_u32_e64 s2, 1, v9
	v_add_nc_u16 v28, v33, v28
	s_delay_alu instid0(VALU_DEP_1) | instskip(NEXT) | instid1(VALU_DEP_1)
	v_and_b32_e32 v33, 0xff, v28
	v_mov_b32_dpp v33, v33 row_shr:2 row_mask:0xf bank_mask:0xf
	s_delay_alu instid0(VALU_DEP_1) | instskip(SKIP_1) | instid1(VALU_DEP_2)
	v_cndmask_b32_e64 v33, 0, v33, s2
	v_cmp_lt_u32_e64 s2, 3, v9
	v_add_nc_u16 v28, v28, v33
	s_delay_alu instid0(VALU_DEP_1) | instskip(NEXT) | instid1(VALU_DEP_1)
	;; [unrolled: 7-line block ×3, first 2 shown]
	v_and_b32_e32 v33, 0xff, v28
	v_mov_b32_dpp v33, v33 row_shr:8 row_mask:0xf bank_mask:0xf
	s_delay_alu instid0(VALU_DEP_1) | instskip(SKIP_1) | instid1(VALU_DEP_2)
	v_cndmask_b32_e64 v33, 0, v33, s2
	v_cmp_ne_u32_e64 s2, 0, v10
	v_add_nc_u16 v28, v28, v33
	s_delay_alu instid0(VALU_DEP_1) | instskip(SKIP_4) | instid1(VALU_DEP_2)
	v_and_b32_e32 v33, 0xff, v28
	ds_swizzle_b32 v33, v33 offset:swizzle(BROADCAST,32,15)
	s_waitcnt lgkmcnt(0)
	v_cndmask_b32_e64 v33, 0, v33, s2
	v_cmp_gt_i32_e64 s2, 0, v11
	v_add_nc_u16 v28, v28, v33
	s_delay_alu instid0(VALU_DEP_2) | instskip(NEXT) | instid1(VALU_DEP_2)
	v_cndmask_b32_e64 v34, v11, v7, s2
	v_and_b32_e32 v28, 0xff, v28
	s_delay_alu instid0(VALU_DEP_2) | instskip(SKIP_3) | instid1(VALU_DEP_1)
	v_lshlrev_b32_e32 v33, 2, v34
	ds_bpermute_b32 v28, v33, v28
	s_waitcnt lgkmcnt(0)
	v_add_nc_u16 v24, v24, v28
	v_cndmask_b32_e64 v23, v24, v23, s0
	s_delay_alu instid0(VALU_DEP_1) | instskip(SKIP_1) | instid1(VALU_DEP_2)
	v_add_nc_u16 v24, v23, v26
	v_and_b32_e32 v23, 0xff, v23
	v_add_nc_u16 v26, v24, v27
	v_lshlrev_b16 v24, 8, v24
	s_delay_alu instid0(VALU_DEP_2) | instskip(SKIP_1) | instid1(VALU_DEP_3)
	v_add_nc_u16 v27, v26, v29
	v_and_b32_e32 v26, 0xff, v26
	v_or_b32_e32 v23, v23, v24
	s_delay_alu instid0(VALU_DEP_3) | instskip(SKIP_1) | instid1(VALU_DEP_3)
	v_add_nc_u16 v25, v27, v25
	v_lshlrev_b16 v27, 8, v27
	v_and_b32_e32 v23, 0xffff, v23
	s_delay_alu instid0(VALU_DEP_3) | instskip(SKIP_1) | instid1(VALU_DEP_4)
	v_add_nc_u16 v28, v25, v30
	v_and_b32_e32 v25, 0xff, v25
	v_or_b32_e32 v24, v26, v27
	s_delay_alu instid0(VALU_DEP_3) | instskip(SKIP_1) | instid1(VALU_DEP_3)
	v_add_nc_u16 v29, v28, v31
	v_lshlrev_b16 v28, 8, v28
	v_lshlrev_b32_e32 v24, 16, v24
	s_delay_alu instid0(VALU_DEP_3) | instskip(SKIP_1) | instid1(VALU_DEP_4)
	v_add_nc_u16 v30, v29, v32
	v_and_b32_e32 v29, 0xff, v29
	v_or_b32_e32 v25, v25, v28
	s_delay_alu instid0(VALU_DEP_4) | instskip(NEXT) | instid1(VALU_DEP_4)
	v_or_b32_e32 v23, v23, v24
	v_lshlrev_b16 v30, 8, v30
	s_delay_alu instid0(VALU_DEP_3) | instskip(NEXT) | instid1(VALU_DEP_2)
	v_and_b32_e32 v25, 0xffff, v25
	v_or_b32_e32 v26, v29, v30
	s_delay_alu instid0(VALU_DEP_1) | instskip(NEXT) | instid1(VALU_DEP_1)
	v_lshlrev_b32_e32 v26, 16, v26
	v_or_b32_e32 v24, v25, v26
	ds_store_b64 v0, v[23:24]
.LBB155_4:                              ;   in Loop: Header=BB155_2 Depth=1
	s_or_b32 exec_lo, exec_lo, s5
	v_mov_b32_e32 v23, s3
	s_waitcnt lgkmcnt(0)
	s_barrier
	buffer_gl0_inv
	s_and_saveexec_b32 s2, s1
	s_cbranch_execz .LBB155_1
; %bb.5:                                ;   in Loop: Header=BB155_2 Depth=1
	ds_load_u8 v23, v8
	s_waitcnt lgkmcnt(0)
	v_add_nc_u16 v23, v23, s3
	s_branch .LBB155_1
.LBB155_6:
	v_and_b32_e32 v0, 0xff, v23
	v_add_co_u32 v4, s0, s6, v5
	s_delay_alu instid0(VALU_DEP_1) | instskip(NEXT) | instid1(VALU_DEP_3)
	v_add_co_ci_u32_e64 v5, null, s7, 0, s0
	v_or_b32_e32 v0, v0, v15
	v_or_b32_e32 v3, v18, v19
	;; [unrolled: 1-line block ×4, first 2 shown]
	s_delay_alu instid0(VALU_DEP_4) | instskip(NEXT) | instid1(VALU_DEP_1)
	v_and_b32_e32 v0, 0xffff, v0
	v_or_b32_e32 v0, v0, v14
	global_store_b128 v[4:5], v[0:3], off
	s_nop 0
	s_sendmsg sendmsg(MSG_DEALLOC_VGPRS)
	s_endpgm
	.section	.rodata,"a",@progbits
	.p2align	6, 0x0
	.amdhsa_kernel _Z6kernelI14exclusive_scanILN6hipcub18BlockScanAlgorithmE1EEhLj256ELj16ELj100EEvPKT0_PS4_S4_
		.amdhsa_group_segment_fixed_size 264
		.amdhsa_private_segment_fixed_size 0
		.amdhsa_kernarg_size 280
		.amdhsa_user_sgpr_count 15
		.amdhsa_user_sgpr_dispatch_ptr 0
		.amdhsa_user_sgpr_queue_ptr 0
		.amdhsa_user_sgpr_kernarg_segment_ptr 1
		.amdhsa_user_sgpr_dispatch_id 0
		.amdhsa_user_sgpr_private_segment_size 0
		.amdhsa_wavefront_size32 1
		.amdhsa_uses_dynamic_stack 0
		.amdhsa_enable_private_segment 0
		.amdhsa_system_sgpr_workgroup_id_x 1
		.amdhsa_system_sgpr_workgroup_id_y 0
		.amdhsa_system_sgpr_workgroup_id_z 0
		.amdhsa_system_sgpr_workgroup_info 0
		.amdhsa_system_vgpr_workitem_id 0
		.amdhsa_next_free_vgpr 35
		.amdhsa_next_free_sgpr 16
		.amdhsa_reserve_vcc 1
		.amdhsa_float_round_mode_32 0
		.amdhsa_float_round_mode_16_64 0
		.amdhsa_float_denorm_mode_32 3
		.amdhsa_float_denorm_mode_16_64 3
		.amdhsa_dx10_clamp 1
		.amdhsa_ieee_mode 1
		.amdhsa_fp16_overflow 0
		.amdhsa_workgroup_processor_mode 1
		.amdhsa_memory_ordered 1
		.amdhsa_forward_progress 0
		.amdhsa_shared_vgpr_count 0
		.amdhsa_exception_fp_ieee_invalid_op 0
		.amdhsa_exception_fp_denorm_src 0
		.amdhsa_exception_fp_ieee_div_zero 0
		.amdhsa_exception_fp_ieee_overflow 0
		.amdhsa_exception_fp_ieee_underflow 0
		.amdhsa_exception_fp_ieee_inexact 0
		.amdhsa_exception_int_div_zero 0
	.end_amdhsa_kernel
	.section	.text._Z6kernelI14exclusive_scanILN6hipcub18BlockScanAlgorithmE1EEhLj256ELj16ELj100EEvPKT0_PS4_S4_,"axG",@progbits,_Z6kernelI14exclusive_scanILN6hipcub18BlockScanAlgorithmE1EEhLj256ELj16ELj100EEvPKT0_PS4_S4_,comdat
.Lfunc_end155:
	.size	_Z6kernelI14exclusive_scanILN6hipcub18BlockScanAlgorithmE1EEhLj256ELj16ELj100EEvPKT0_PS4_S4_, .Lfunc_end155-_Z6kernelI14exclusive_scanILN6hipcub18BlockScanAlgorithmE1EEhLj256ELj16ELj100EEvPKT0_PS4_S4_
                                        ; -- End function
	.section	.AMDGPU.csdata,"",@progbits
; Kernel info:
; codeLenInByte = 1540
; NumSgprs: 18
; NumVgprs: 35
; ScratchSize: 0
; MemoryBound: 0
; FloatMode: 240
; IeeeMode: 1
; LDSByteSize: 264 bytes/workgroup (compile time only)
; SGPRBlocks: 2
; VGPRBlocks: 4
; NumSGPRsForWavesPerEU: 18
; NumVGPRsForWavesPerEU: 35
; Occupancy: 16
; WaveLimiterHint : 0
; COMPUTE_PGM_RSRC2:SCRATCH_EN: 0
; COMPUTE_PGM_RSRC2:USER_SGPR: 15
; COMPUTE_PGM_RSRC2:TRAP_HANDLER: 0
; COMPUTE_PGM_RSRC2:TGID_X_EN: 1
; COMPUTE_PGM_RSRC2:TGID_Y_EN: 0
; COMPUTE_PGM_RSRC2:TGID_Z_EN: 0
; COMPUTE_PGM_RSRC2:TIDIG_COMP_CNT: 0
	.section	.text._Z6kernelI14exclusive_scanILN6hipcub18BlockScanAlgorithmE1EEN15benchmark_utils11custom_typeIffEELj256ELj1ELj100EEvPKT0_PS7_S7_,"axG",@progbits,_Z6kernelI14exclusive_scanILN6hipcub18BlockScanAlgorithmE1EEN15benchmark_utils11custom_typeIffEELj256ELj1ELj100EEvPKT0_PS7_S7_,comdat
	.protected	_Z6kernelI14exclusive_scanILN6hipcub18BlockScanAlgorithmE1EEN15benchmark_utils11custom_typeIffEELj256ELj1ELj100EEvPKT0_PS7_S7_ ; -- Begin function _Z6kernelI14exclusive_scanILN6hipcub18BlockScanAlgorithmE1EEN15benchmark_utils11custom_typeIffEELj256ELj1ELj100EEvPKT0_PS7_S7_
	.globl	_Z6kernelI14exclusive_scanILN6hipcub18BlockScanAlgorithmE1EEN15benchmark_utils11custom_typeIffEELj256ELj1ELj100EEvPKT0_PS7_S7_
	.p2align	8
	.type	_Z6kernelI14exclusive_scanILN6hipcub18BlockScanAlgorithmE1EEN15benchmark_utils11custom_typeIffEELj256ELj1ELj100EEvPKT0_PS7_S7_,@function
_Z6kernelI14exclusive_scanILN6hipcub18BlockScanAlgorithmE1EEN15benchmark_utils11custom_typeIffEELj256ELj1ELj100EEvPKT0_PS7_S7_: ; @_Z6kernelI14exclusive_scanILN6hipcub18BlockScanAlgorithmE1EEN15benchmark_utils11custom_typeIffEELj256ELj1ELj100EEvPKT0_PS7_S7_
; %bb.0:
	s_clause 0x2
	s_load_b32 s2, s[0:1], 0x24
	s_load_b128 s[4:7], s[0:1], 0x0
	s_load_b64 s[8:9], s[0:1], 0x10
	v_lshrrev_b32_e32 v3, 2, v0
	v_mbcnt_lo_u32_b32 v21, -1, 0
	v_cmp_eq_u32_e64 s0, 0, v0
	v_cmp_ne_u32_e64 s1, 0, v0
	s_movk_i32 s3, 0x64
	s_delay_alu instid0(VALU_DEP_3) | instskip(SKIP_4) | instid1(SALU_CYCLE_1)
	v_and_b32_e32 v24, 15, v21
	v_and_b32_e32 v25, 16, v21
	v_add_nc_u32_e32 v26, -1, v21
	s_waitcnt lgkmcnt(0)
	s_and_b32 s2, s2, 0xffff
	v_mad_u64_u32 v[1:2], null, s15, s2, v[0:1]
	v_mov_b32_e32 v2, 0
	s_delay_alu instid0(VALU_DEP_1) | instskip(NEXT) | instid1(VALU_DEP_1)
	v_lshlrev_b64 v[16:17], 3, v[1:2]
	v_add_co_u32 v1, vcc_lo, s4, v16
	s_delay_alu instid0(VALU_DEP_2) | instskip(SKIP_4) | instid1(VALU_DEP_2)
	v_add_co_ci_u32_e32 v2, vcc_lo, s5, v17, vcc_lo
	v_cmp_gt_u32_e32 vcc_lo, 32, v0
	global_load_b64 v[18:19], v[1:2], off
	v_lshrrev_b32_e32 v1, 5, v0
	v_add_nc_u32_e32 v2, -1, v0
	v_add_lshl_u32 v20, v1, v0, 3
	v_lshlrev_b32_e32 v1, 3, v0
	s_delay_alu instid0(VALU_DEP_3) | instskip(NEXT) | instid1(VALU_DEP_2)
	v_lshrrev_b32_e32 v4, 5, v2
	v_add_lshl_u32 v22, v3, v1, 3
	s_delay_alu instid0(VALU_DEP_2)
	v_add_lshl_u32 v23, v4, v2, 3
	s_branch .LBB156_2
.LBB156_1:                              ;   in Loop: Header=BB156_2 Depth=1
	s_or_b32 exec_lo, exec_lo, s2
	s_add_i32 s3, s3, -1
	s_delay_alu instid0(SALU_CYCLE_1)
	s_cmp_lg_u32 s3, 0
	s_cbranch_scc0 .LBB156_14
.LBB156_2:                              ; =>This Inner Loop Header: Depth=1
	s_waitcnt vmcnt(0)
	ds_store_b64 v20, v[18:19]
	s_waitcnt lgkmcnt(0)
	s_barrier
	buffer_gl0_inv
	s_and_saveexec_b32 s4, vcc_lo
	s_cbranch_execz .LBB156_12
; %bb.3:                                ;   in Loop: Header=BB156_2 Depth=1
	ds_load_2addr_b64 v[12:15], v22 offset1:1
	ds_load_2addr_b64 v[8:11], v22 offset0:2 offset1:3
	ds_load_2addr_b64 v[4:7], v22 offset0:4 offset1:5
	;; [unrolled: 1-line block ×3, first 2 shown]
	s_mov_b32 s5, exec_lo
	s_waitcnt lgkmcnt(3)
	v_dual_add_f32 v27, v12, v14 :: v_dual_add_f32 v28, v13, v15
	s_waitcnt lgkmcnt(2)
	s_delay_alu instid0(VALU_DEP_1) | instskip(NEXT) | instid1(VALU_DEP_1)
	v_dual_add_f32 v27, v27, v8 :: v_dual_add_f32 v28, v28, v9
	v_dual_add_f32 v27, v27, v10 :: v_dual_add_f32 v28, v28, v11
	s_waitcnt lgkmcnt(1)
	s_delay_alu instid0(VALU_DEP_1) | instskip(NEXT) | instid1(VALU_DEP_1)
	v_dual_add_f32 v27, v27, v4 :: v_dual_add_f32 v28, v28, v5
	;; [unrolled: 4-line block ×3, first 2 shown]
	v_dual_add_f32 v27, v27, v2 :: v_dual_add_f32 v28, v28, v3
	s_delay_alu instid0(VALU_DEP_1) | instskip(NEXT) | instid1(VALU_DEP_2)
	v_mov_b32_dpp v29, v27 row_shr:1 row_mask:0xf bank_mask:0xf
	v_mov_b32_dpp v30, v28 row_shr:1 row_mask:0xf bank_mask:0xf
	v_cmpx_ne_u32_e32 0, v24
; %bb.4:                                ;   in Loop: Header=BB156_2 Depth=1
	s_delay_alu instid0(VALU_DEP_2)
	v_dual_add_f32 v28, v28, v30 :: v_dual_add_f32 v27, v27, v29
; %bb.5:                                ;   in Loop: Header=BB156_2 Depth=1
	s_or_b32 exec_lo, exec_lo, s5
	s_delay_alu instid0(VALU_DEP_1) | instskip(NEXT) | instid1(VALU_DEP_2)
	v_mov_b32_dpp v29, v27 row_shr:2 row_mask:0xf bank_mask:0xf
	v_mov_b32_dpp v30, v28 row_shr:2 row_mask:0xf bank_mask:0xf
	s_mov_b32 s5, exec_lo
	v_cmpx_lt_u32_e32 1, v24
; %bb.6:                                ;   in Loop: Header=BB156_2 Depth=1
	s_delay_alu instid0(VALU_DEP_2)
	v_dual_add_f32 v28, v28, v30 :: v_dual_add_f32 v27, v27, v29
; %bb.7:                                ;   in Loop: Header=BB156_2 Depth=1
	s_or_b32 exec_lo, exec_lo, s5
	s_delay_alu instid0(VALU_DEP_1) | instskip(NEXT) | instid1(VALU_DEP_2)
	v_mov_b32_dpp v29, v27 row_shr:4 row_mask:0xf bank_mask:0xf
	v_mov_b32_dpp v30, v28 row_shr:4 row_mask:0xf bank_mask:0xf
	s_mov_b32 s5, exec_lo
	v_cmpx_lt_u32_e32 3, v24
	;; [unrolled: 10-line block ×3, first 2 shown]
; %bb.10:                               ;   in Loop: Header=BB156_2 Depth=1
	s_delay_alu instid0(VALU_DEP_2)
	v_dual_add_f32 v28, v28, v30 :: v_dual_add_f32 v27, v27, v29
; %bb.11:                               ;   in Loop: Header=BB156_2 Depth=1
	s_or_b32 exec_lo, exec_lo, s5
	ds_swizzle_b32 v29, v28 offset:swizzle(BROADCAST,32,15)
	ds_swizzle_b32 v30, v27 offset:swizzle(BROADCAST,32,15)
	v_cmp_gt_i32_e64 s2, 0, v26
	s_delay_alu instid0(VALU_DEP_1) | instskip(SKIP_1) | instid1(VALU_DEP_2)
	v_cndmask_b32_e64 v31, v26, v21, s2
	v_cmp_eq_u32_e64 s2, 0, v25
	v_lshlrev_b32_e32 v31, 2, v31
	s_waitcnt lgkmcnt(0)
	v_dual_add_f32 v29, v28, v29 :: v_dual_add_f32 v30, v27, v30
	s_delay_alu instid0(VALU_DEP_1) | instskip(NEXT) | instid1(VALU_DEP_2)
	v_cndmask_b32_e64 v28, v29, v28, s2
	v_cndmask_b32_e64 v27, v30, v27, s2
	ds_bpermute_b32 v27, v31, v27
	s_waitcnt lgkmcnt(0)
	v_add_f32_e32 v12, v12, v27
	s_delay_alu instid0(VALU_DEP_1) | instskip(NEXT) | instid1(VALU_DEP_1)
	v_cndmask_b32_e64 v12, v12, v18, s0
	v_add_f32_e32 v14, v14, v12
	ds_bpermute_b32 v28, v31, v28
	v_add_f32_e32 v8, v8, v14
	s_delay_alu instid0(VALU_DEP_1) | instskip(NEXT) | instid1(VALU_DEP_1)
	v_add_f32_e32 v10, v10, v8
	v_add_f32_e32 v4, v4, v10
	s_delay_alu instid0(VALU_DEP_1) | instskip(SKIP_1) | instid1(VALU_DEP_1)
	v_add_f32_e32 v6, v6, v4
	s_waitcnt lgkmcnt(0)
	v_dual_add_f32 v13, v13, v28 :: v_dual_add_f32 v0, v0, v6
	s_delay_alu instid0(VALU_DEP_1) | instskip(NEXT) | instid1(VALU_DEP_1)
	v_cndmask_b32_e64 v13, v13, v19, s0
	v_dual_add_f32 v2, v2, v0 :: v_dual_add_f32 v15, v15, v13
	s_delay_alu instid0(VALU_DEP_1) | instskip(NEXT) | instid1(VALU_DEP_1)
	v_add_f32_e32 v9, v9, v15
	v_add_f32_e32 v11, v11, v9
	s_delay_alu instid0(VALU_DEP_1) | instskip(NEXT) | instid1(VALU_DEP_1)
	v_add_f32_e32 v5, v5, v11
	v_add_f32_e32 v7, v7, v5
	;; [unrolled: 3-line block ×3, first 2 shown]
	ds_store_2addr_b64 v22, v[12:13], v[14:15] offset1:1
	ds_store_2addr_b64 v22, v[8:9], v[10:11] offset0:2 offset1:3
	ds_store_2addr_b64 v22, v[4:5], v[6:7] offset0:4 offset1:5
	;; [unrolled: 1-line block ×3, first 2 shown]
.LBB156_12:                             ;   in Loop: Header=BB156_2 Depth=1
	s_or_b32 exec_lo, exec_lo, s4
	v_dual_mov_b32 v19, s9 :: v_dual_mov_b32 v18, s8
	s_waitcnt lgkmcnt(0)
	s_barrier
	buffer_gl0_inv
	s_and_saveexec_b32 s2, s1
	s_cbranch_execz .LBB156_1
; %bb.13:                               ;   in Loop: Header=BB156_2 Depth=1
	ds_load_b64 v[0:1], v23
	s_waitcnt lgkmcnt(0)
	v_dual_add_f32 v18, s8, v0 :: v_dual_add_f32 v19, s9, v1
	s_branch .LBB156_1
.LBB156_14:
	v_add_co_u32 v0, vcc_lo, s6, v16
	v_add_co_ci_u32_e32 v1, vcc_lo, s7, v17, vcc_lo
	global_store_b64 v[0:1], v[18:19], off
	s_nop 0
	s_sendmsg sendmsg(MSG_DEALLOC_VGPRS)
	s_endpgm
	.section	.rodata,"a",@progbits
	.p2align	6, 0x0
	.amdhsa_kernel _Z6kernelI14exclusive_scanILN6hipcub18BlockScanAlgorithmE1EEN15benchmark_utils11custom_typeIffEELj256ELj1ELj100EEvPKT0_PS7_S7_
		.amdhsa_group_segment_fixed_size 2112
		.amdhsa_private_segment_fixed_size 0
		.amdhsa_kernarg_size 280
		.amdhsa_user_sgpr_count 15
		.amdhsa_user_sgpr_dispatch_ptr 0
		.amdhsa_user_sgpr_queue_ptr 0
		.amdhsa_user_sgpr_kernarg_segment_ptr 1
		.amdhsa_user_sgpr_dispatch_id 0
		.amdhsa_user_sgpr_private_segment_size 0
		.amdhsa_wavefront_size32 1
		.amdhsa_uses_dynamic_stack 0
		.amdhsa_enable_private_segment 0
		.amdhsa_system_sgpr_workgroup_id_x 1
		.amdhsa_system_sgpr_workgroup_id_y 0
		.amdhsa_system_sgpr_workgroup_id_z 0
		.amdhsa_system_sgpr_workgroup_info 0
		.amdhsa_system_vgpr_workitem_id 0
		.amdhsa_next_free_vgpr 32
		.amdhsa_next_free_sgpr 16
		.amdhsa_reserve_vcc 1
		.amdhsa_float_round_mode_32 0
		.amdhsa_float_round_mode_16_64 0
		.amdhsa_float_denorm_mode_32 3
		.amdhsa_float_denorm_mode_16_64 3
		.amdhsa_dx10_clamp 1
		.amdhsa_ieee_mode 1
		.amdhsa_fp16_overflow 0
		.amdhsa_workgroup_processor_mode 1
		.amdhsa_memory_ordered 1
		.amdhsa_forward_progress 0
		.amdhsa_shared_vgpr_count 0
		.amdhsa_exception_fp_ieee_invalid_op 0
		.amdhsa_exception_fp_denorm_src 0
		.amdhsa_exception_fp_ieee_div_zero 0
		.amdhsa_exception_fp_ieee_overflow 0
		.amdhsa_exception_fp_ieee_underflow 0
		.amdhsa_exception_fp_ieee_inexact 0
		.amdhsa_exception_int_div_zero 0
	.end_amdhsa_kernel
	.section	.text._Z6kernelI14exclusive_scanILN6hipcub18BlockScanAlgorithmE1EEN15benchmark_utils11custom_typeIffEELj256ELj1ELj100EEvPKT0_PS7_S7_,"axG",@progbits,_Z6kernelI14exclusive_scanILN6hipcub18BlockScanAlgorithmE1EEN15benchmark_utils11custom_typeIffEELj256ELj1ELj100EEvPKT0_PS7_S7_,comdat
.Lfunc_end156:
	.size	_Z6kernelI14exclusive_scanILN6hipcub18BlockScanAlgorithmE1EEN15benchmark_utils11custom_typeIffEELj256ELj1ELj100EEvPKT0_PS7_S7_, .Lfunc_end156-_Z6kernelI14exclusive_scanILN6hipcub18BlockScanAlgorithmE1EEN15benchmark_utils11custom_typeIffEELj256ELj1ELj100EEvPKT0_PS7_S7_
                                        ; -- End function
	.section	.AMDGPU.csdata,"",@progbits
; Kernel info:
; codeLenInByte = 876
; NumSgprs: 18
; NumVgprs: 32
; ScratchSize: 0
; MemoryBound: 0
; FloatMode: 240
; IeeeMode: 1
; LDSByteSize: 2112 bytes/workgroup (compile time only)
; SGPRBlocks: 2
; VGPRBlocks: 3
; NumSGPRsForWavesPerEU: 18
; NumVGPRsForWavesPerEU: 32
; Occupancy: 16
; WaveLimiterHint : 0
; COMPUTE_PGM_RSRC2:SCRATCH_EN: 0
; COMPUTE_PGM_RSRC2:USER_SGPR: 15
; COMPUTE_PGM_RSRC2:TRAP_HANDLER: 0
; COMPUTE_PGM_RSRC2:TGID_X_EN: 1
; COMPUTE_PGM_RSRC2:TGID_Y_EN: 0
; COMPUTE_PGM_RSRC2:TGID_Z_EN: 0
; COMPUTE_PGM_RSRC2:TIDIG_COMP_CNT: 0
	.section	.text._Z6kernelI14exclusive_scanILN6hipcub18BlockScanAlgorithmE1EEN15benchmark_utils11custom_typeIffEELj256ELj4ELj100EEvPKT0_PS7_S7_,"axG",@progbits,_Z6kernelI14exclusive_scanILN6hipcub18BlockScanAlgorithmE1EEN15benchmark_utils11custom_typeIffEELj256ELj4ELj100EEvPKT0_PS7_S7_,comdat
	.protected	_Z6kernelI14exclusive_scanILN6hipcub18BlockScanAlgorithmE1EEN15benchmark_utils11custom_typeIffEELj256ELj4ELj100EEvPKT0_PS7_S7_ ; -- Begin function _Z6kernelI14exclusive_scanILN6hipcub18BlockScanAlgorithmE1EEN15benchmark_utils11custom_typeIffEELj256ELj4ELj100EEvPKT0_PS7_S7_
	.globl	_Z6kernelI14exclusive_scanILN6hipcub18BlockScanAlgorithmE1EEN15benchmark_utils11custom_typeIffEELj256ELj4ELj100EEvPKT0_PS7_S7_
	.p2align	8
	.type	_Z6kernelI14exclusive_scanILN6hipcub18BlockScanAlgorithmE1EEN15benchmark_utils11custom_typeIffEELj256ELj4ELj100EEvPKT0_PS7_S7_,@function
_Z6kernelI14exclusive_scanILN6hipcub18BlockScanAlgorithmE1EEN15benchmark_utils11custom_typeIffEELj256ELj4ELj100EEvPKT0_PS7_S7_: ; @_Z6kernelI14exclusive_scanILN6hipcub18BlockScanAlgorithmE1EEN15benchmark_utils11custom_typeIffEELj256ELj4ELj100EEvPKT0_PS7_S7_
; %bb.0:
	s_clause 0x1
	s_load_b32 s2, s[0:1], 0x24
	s_load_b128 s[4:7], s[0:1], 0x0
	v_mov_b32_e32 v2, 0
	v_lshrrev_b32_e32 v9, 5, v0
	s_load_b64 s[8:9], s[0:1], 0x10
	v_add_nc_u32_e32 v10, -1, v0
	v_lshrrev_b32_e32 v11, 2, v0
	v_mbcnt_lo_u32_b32 v28, -1, 0
	v_add_lshl_u32 v27, v9, v0, 3
	v_lshlrev_b32_e32 v9, 3, v0
	v_lshrrev_b32_e32 v12, 5, v10
	v_cmp_eq_u32_e64 s0, 0, v0
	v_cmp_ne_u32_e64 s1, 0, v0
	v_and_b32_e32 v30, 15, v28
	v_and_b32_e32 v31, 16, v28
	v_add_lshl_u32 v29, v12, v10, 3
	v_add_nc_u32_e32 v32, -1, v28
	s_movk_i32 s3, 0x64
	s_waitcnt lgkmcnt(0)
	s_and_b32 s2, s2, 0xffff
	s_delay_alu instid0(SALU_CYCLE_1) | instskip(NEXT) | instid1(SALU_CYCLE_1)
	s_mul_i32 s15, s15, s2
	v_add_lshl_u32 v1, s15, v0, 2
	s_delay_alu instid0(VALU_DEP_1) | instskip(NEXT) | instid1(VALU_DEP_1)
	v_lshlrev_b64 v[25:26], 3, v[1:2]
	v_add_co_u32 v1, vcc_lo, s4, v25
	s_delay_alu instid0(VALU_DEP_2)
	v_add_co_ci_u32_e32 v2, vcc_lo, s5, v26, vcc_lo
	v_cmp_gt_u32_e32 vcc_lo, 32, v0
	v_add_lshl_u32 v0, v11, v9, 3
	s_clause 0x1
	global_load_b128 v[5:8], v[1:2], off
	global_load_b128 v[1:4], v[1:2], off offset:16
.LBB157_1:                              ; =>This Inner Loop Header: Depth=1
	s_waitcnt vmcnt(1)
	s_delay_alu instid0(VALU_DEP_1) | instskip(SKIP_1) | instid1(VALU_DEP_1)
	v_dual_add_f32 v9, v7, v5 :: v_dual_add_f32 v10, v8, v6
	s_waitcnt vmcnt(0)
	v_dual_add_f32 v9, v1, v9 :: v_dual_add_f32 v10, v2, v10
	s_delay_alu instid0(VALU_DEP_1)
	v_dual_add_f32 v3, v3, v9 :: v_dual_add_f32 v4, v4, v10
	ds_store_b64 v27, v[3:4]
	s_waitcnt lgkmcnt(0)
	s_barrier
	buffer_gl0_inv
	s_and_saveexec_b32 s4, vcc_lo
	s_cbranch_execz .LBB157_11
; %bb.2:                                ;   in Loop: Header=BB157_1 Depth=1
	ds_load_2addr_b64 v[21:24], v0 offset1:1
	ds_load_2addr_b64 v[17:20], v0 offset0:2 offset1:3
	ds_load_2addr_b64 v[13:16], v0 offset0:4 offset1:5
	;; [unrolled: 1-line block ×3, first 2 shown]
	s_mov_b32 s5, exec_lo
	s_waitcnt lgkmcnt(3)
	v_dual_add_f32 v33, v21, v23 :: v_dual_add_f32 v34, v22, v24
	s_waitcnt lgkmcnt(2)
	s_delay_alu instid0(VALU_DEP_1) | instskip(NEXT) | instid1(VALU_DEP_1)
	v_dual_add_f32 v33, v33, v17 :: v_dual_add_f32 v34, v34, v18
	v_dual_add_f32 v33, v33, v19 :: v_dual_add_f32 v34, v34, v20
	s_waitcnt lgkmcnt(1)
	s_delay_alu instid0(VALU_DEP_1) | instskip(NEXT) | instid1(VALU_DEP_1)
	v_dual_add_f32 v33, v33, v13 :: v_dual_add_f32 v34, v34, v14
	v_dual_add_f32 v33, v33, v15 :: v_dual_add_f32 v34, v34, v16
	s_waitcnt lgkmcnt(0)
	s_delay_alu instid0(VALU_DEP_1) | instskip(NEXT) | instid1(VALU_DEP_1)
	v_dual_add_f32 v33, v33, v9 :: v_dual_add_f32 v34, v34, v10
	v_dual_add_f32 v33, v33, v11 :: v_dual_add_f32 v34, v34, v12
	s_delay_alu instid0(VALU_DEP_1) | instskip(NEXT) | instid1(VALU_DEP_2)
	v_mov_b32_dpp v35, v33 row_shr:1 row_mask:0xf bank_mask:0xf
	v_mov_b32_dpp v36, v34 row_shr:1 row_mask:0xf bank_mask:0xf
	v_cmpx_ne_u32_e32 0, v30
; %bb.3:                                ;   in Loop: Header=BB157_1 Depth=1
	s_delay_alu instid0(VALU_DEP_2)
	v_dual_add_f32 v34, v34, v36 :: v_dual_add_f32 v33, v33, v35
; %bb.4:                                ;   in Loop: Header=BB157_1 Depth=1
	s_or_b32 exec_lo, exec_lo, s5
	s_delay_alu instid0(VALU_DEP_1) | instskip(NEXT) | instid1(VALU_DEP_2)
	v_mov_b32_dpp v35, v33 row_shr:2 row_mask:0xf bank_mask:0xf
	v_mov_b32_dpp v36, v34 row_shr:2 row_mask:0xf bank_mask:0xf
	s_mov_b32 s5, exec_lo
	v_cmpx_lt_u32_e32 1, v30
; %bb.5:                                ;   in Loop: Header=BB157_1 Depth=1
	s_delay_alu instid0(VALU_DEP_2)
	v_dual_add_f32 v34, v34, v36 :: v_dual_add_f32 v33, v33, v35
; %bb.6:                                ;   in Loop: Header=BB157_1 Depth=1
	s_or_b32 exec_lo, exec_lo, s5
	s_delay_alu instid0(VALU_DEP_1) | instskip(NEXT) | instid1(VALU_DEP_2)
	v_mov_b32_dpp v35, v33 row_shr:4 row_mask:0xf bank_mask:0xf
	v_mov_b32_dpp v36, v34 row_shr:4 row_mask:0xf bank_mask:0xf
	s_mov_b32 s5, exec_lo
	v_cmpx_lt_u32_e32 3, v30
	;; [unrolled: 10-line block ×3, first 2 shown]
; %bb.9:                                ;   in Loop: Header=BB157_1 Depth=1
	s_delay_alu instid0(VALU_DEP_2)
	v_dual_add_f32 v34, v34, v36 :: v_dual_add_f32 v33, v33, v35
; %bb.10:                               ;   in Loop: Header=BB157_1 Depth=1
	s_or_b32 exec_lo, exec_lo, s5
	ds_swizzle_b32 v35, v34 offset:swizzle(BROADCAST,32,15)
	ds_swizzle_b32 v36, v33 offset:swizzle(BROADCAST,32,15)
	v_cmp_gt_i32_e64 s2, 0, v32
	s_delay_alu instid0(VALU_DEP_1) | instskip(SKIP_1) | instid1(VALU_DEP_2)
	v_cndmask_b32_e64 v37, v32, v28, s2
	v_cmp_eq_u32_e64 s2, 0, v31
	v_lshlrev_b32_e32 v37, 2, v37
	s_waitcnt lgkmcnt(0)
	v_dual_add_f32 v35, v34, v35 :: v_dual_add_f32 v36, v33, v36
	s_delay_alu instid0(VALU_DEP_1) | instskip(NEXT) | instid1(VALU_DEP_2)
	v_cndmask_b32_e64 v34, v35, v34, s2
	v_cndmask_b32_e64 v33, v36, v33, s2
	ds_bpermute_b32 v34, v37, v34
	s_waitcnt lgkmcnt(0)
	v_add_f32_e32 v22, v22, v34
	ds_bpermute_b32 v33, v37, v33
	v_cndmask_b32_e64 v4, v22, v4, s0
	s_delay_alu instid0(VALU_DEP_1) | instskip(NEXT) | instid1(VALU_DEP_1)
	v_add_f32_e32 v22, v24, v4
	v_add_f32_e32 v18, v18, v22
	s_waitcnt lgkmcnt(0)
	s_delay_alu instid0(VALU_DEP_1) | instskip(NEXT) | instid1(VALU_DEP_1)
	v_dual_add_f32 v20, v20, v18 :: v_dual_add_f32 v21, v21, v33
	v_add_f32_e32 v14, v14, v20
	s_delay_alu instid0(VALU_DEP_2) | instskip(NEXT) | instid1(VALU_DEP_1)
	v_cndmask_b32_e64 v3, v21, v3, s0
	v_dual_add_f32 v16, v16, v14 :: v_dual_add_f32 v21, v23, v3
	s_delay_alu instid0(VALU_DEP_1) | instskip(NEXT) | instid1(VALU_DEP_1)
	v_dual_add_f32 v10, v10, v16 :: v_dual_add_f32 v17, v17, v21
	v_dual_add_f32 v12, v12, v10 :: v_dual_add_f32 v19, v19, v17
	s_delay_alu instid0(VALU_DEP_1) | instskip(NEXT) | instid1(VALU_DEP_1)
	v_add_f32_e32 v13, v13, v19
	v_add_f32_e32 v15, v15, v13
	s_delay_alu instid0(VALU_DEP_1) | instskip(NEXT) | instid1(VALU_DEP_1)
	v_add_f32_e32 v9, v9, v15
	v_add_f32_e32 v11, v11, v9
	ds_store_2addr_b64 v0, v[3:4], v[21:22] offset1:1
	ds_store_2addr_b64 v0, v[17:18], v[19:20] offset0:2 offset1:3
	ds_store_2addr_b64 v0, v[13:14], v[15:16] offset0:4 offset1:5
	;; [unrolled: 1-line block ×3, first 2 shown]
.LBB157_11:                             ;   in Loop: Header=BB157_1 Depth=1
	s_or_b32 exec_lo, exec_lo, s4
	v_dual_mov_b32 v9, s8 :: v_dual_mov_b32 v10, s9
	s_waitcnt lgkmcnt(0)
	s_barrier
	buffer_gl0_inv
	s_and_saveexec_b32 s2, s1
	s_cbranch_execz .LBB157_13
; %bb.12:                               ;   in Loop: Header=BB157_1 Depth=1
	ds_load_b64 v[3:4], v29
	s_waitcnt lgkmcnt(0)
	v_dual_add_f32 v9, s8, v3 :: v_dual_add_f32 v10, s9, v4
.LBB157_13:                             ;   in Loop: Header=BB157_1 Depth=1
	s_or_b32 exec_lo, exec_lo, s2
	s_delay_alu instid0(VALU_DEP_1) | instskip(SKIP_1) | instid1(SALU_CYCLE_1)
	v_dual_add_f32 v11, v5, v9 :: v_dual_add_f32 v12, v6, v10
	s_add_i32 s3, s3, -1
	s_cmp_lg_u32 s3, 0
	s_delay_alu instid0(VALU_DEP_1) | instskip(NEXT) | instid1(VALU_DEP_1)
	v_dual_add_f32 v5, v7, v11 :: v_dual_add_f32 v6, v8, v12
	v_dual_add_f32 v3, v1, v5 :: v_dual_add_f32 v4, v2, v6
	s_cbranch_scc0 .LBB157_15
; %bb.14:                               ;   in Loop: Header=BB157_1 Depth=1
	v_dual_mov_b32 v2, v6 :: v_dual_mov_b32 v1, v5
	v_dual_mov_b32 v8, v12 :: v_dual_mov_b32 v7, v11
	v_dual_mov_b32 v6, v10 :: v_dual_mov_b32 v5, v9
	s_branch .LBB157_1
.LBB157_15:
	v_add_co_u32 v0, vcc_lo, s6, v25
	v_add_co_ci_u32_e32 v1, vcc_lo, s7, v26, vcc_lo
	s_delay_alu instid0(VALU_DEP_3)
	v_dual_mov_b32 v7, v3 :: v_dual_mov_b32 v8, v4
	s_clause 0x1
	global_store_b128 v[0:1], v[9:12], off
	global_store_b128 v[0:1], v[5:8], off offset:16
	s_nop 0
	s_sendmsg sendmsg(MSG_DEALLOC_VGPRS)
	s_endpgm
	.section	.rodata,"a",@progbits
	.p2align	6, 0x0
	.amdhsa_kernel _Z6kernelI14exclusive_scanILN6hipcub18BlockScanAlgorithmE1EEN15benchmark_utils11custom_typeIffEELj256ELj4ELj100EEvPKT0_PS7_S7_
		.amdhsa_group_segment_fixed_size 2112
		.amdhsa_private_segment_fixed_size 0
		.amdhsa_kernarg_size 280
		.amdhsa_user_sgpr_count 15
		.amdhsa_user_sgpr_dispatch_ptr 0
		.amdhsa_user_sgpr_queue_ptr 0
		.amdhsa_user_sgpr_kernarg_segment_ptr 1
		.amdhsa_user_sgpr_dispatch_id 0
		.amdhsa_user_sgpr_private_segment_size 0
		.amdhsa_wavefront_size32 1
		.amdhsa_uses_dynamic_stack 0
		.amdhsa_enable_private_segment 0
		.amdhsa_system_sgpr_workgroup_id_x 1
		.amdhsa_system_sgpr_workgroup_id_y 0
		.amdhsa_system_sgpr_workgroup_id_z 0
		.amdhsa_system_sgpr_workgroup_info 0
		.amdhsa_system_vgpr_workitem_id 0
		.amdhsa_next_free_vgpr 38
		.amdhsa_next_free_sgpr 16
		.amdhsa_reserve_vcc 1
		.amdhsa_float_round_mode_32 0
		.amdhsa_float_round_mode_16_64 0
		.amdhsa_float_denorm_mode_32 3
		.amdhsa_float_denorm_mode_16_64 3
		.amdhsa_dx10_clamp 1
		.amdhsa_ieee_mode 1
		.amdhsa_fp16_overflow 0
		.amdhsa_workgroup_processor_mode 1
		.amdhsa_memory_ordered 1
		.amdhsa_forward_progress 0
		.amdhsa_shared_vgpr_count 0
		.amdhsa_exception_fp_ieee_invalid_op 0
		.amdhsa_exception_fp_denorm_src 0
		.amdhsa_exception_fp_ieee_div_zero 0
		.amdhsa_exception_fp_ieee_overflow 0
		.amdhsa_exception_fp_ieee_underflow 0
		.amdhsa_exception_fp_ieee_inexact 0
		.amdhsa_exception_int_div_zero 0
	.end_amdhsa_kernel
	.section	.text._Z6kernelI14exclusive_scanILN6hipcub18BlockScanAlgorithmE1EEN15benchmark_utils11custom_typeIffEELj256ELj4ELj100EEvPKT0_PS7_S7_,"axG",@progbits,_Z6kernelI14exclusive_scanILN6hipcub18BlockScanAlgorithmE1EEN15benchmark_utils11custom_typeIffEELj256ELj4ELj100EEvPKT0_PS7_S7_,comdat
.Lfunc_end157:
	.size	_Z6kernelI14exclusive_scanILN6hipcub18BlockScanAlgorithmE1EEN15benchmark_utils11custom_typeIffEELj256ELj4ELj100EEvPKT0_PS7_S7_, .Lfunc_end157-_Z6kernelI14exclusive_scanILN6hipcub18BlockScanAlgorithmE1EEN15benchmark_utils11custom_typeIffEELj256ELj4ELj100EEvPKT0_PS7_S7_
                                        ; -- End function
	.section	.AMDGPU.csdata,"",@progbits
; Kernel info:
; codeLenInByte = 988
; NumSgprs: 18
; NumVgprs: 38
; ScratchSize: 0
; MemoryBound: 0
; FloatMode: 240
; IeeeMode: 1
; LDSByteSize: 2112 bytes/workgroup (compile time only)
; SGPRBlocks: 2
; VGPRBlocks: 4
; NumSGPRsForWavesPerEU: 18
; NumVGPRsForWavesPerEU: 38
; Occupancy: 16
; WaveLimiterHint : 0
; COMPUTE_PGM_RSRC2:SCRATCH_EN: 0
; COMPUTE_PGM_RSRC2:USER_SGPR: 15
; COMPUTE_PGM_RSRC2:TRAP_HANDLER: 0
; COMPUTE_PGM_RSRC2:TGID_X_EN: 1
; COMPUTE_PGM_RSRC2:TGID_Y_EN: 0
; COMPUTE_PGM_RSRC2:TGID_Z_EN: 0
; COMPUTE_PGM_RSRC2:TIDIG_COMP_CNT: 0
	.section	.text._Z6kernelI14exclusive_scanILN6hipcub18BlockScanAlgorithmE1EEN15benchmark_utils11custom_typeIffEELj256ELj8ELj100EEvPKT0_PS7_S7_,"axG",@progbits,_Z6kernelI14exclusive_scanILN6hipcub18BlockScanAlgorithmE1EEN15benchmark_utils11custom_typeIffEELj256ELj8ELj100EEvPKT0_PS7_S7_,comdat
	.protected	_Z6kernelI14exclusive_scanILN6hipcub18BlockScanAlgorithmE1EEN15benchmark_utils11custom_typeIffEELj256ELj8ELj100EEvPKT0_PS7_S7_ ; -- Begin function _Z6kernelI14exclusive_scanILN6hipcub18BlockScanAlgorithmE1EEN15benchmark_utils11custom_typeIffEELj256ELj8ELj100EEvPKT0_PS7_S7_
	.globl	_Z6kernelI14exclusive_scanILN6hipcub18BlockScanAlgorithmE1EEN15benchmark_utils11custom_typeIffEELj256ELj8ELj100EEvPKT0_PS7_S7_
	.p2align	8
	.type	_Z6kernelI14exclusive_scanILN6hipcub18BlockScanAlgorithmE1EEN15benchmark_utils11custom_typeIffEELj256ELj8ELj100EEvPKT0_PS7_S7_,@function
_Z6kernelI14exclusive_scanILN6hipcub18BlockScanAlgorithmE1EEN15benchmark_utils11custom_typeIffEELj256ELj8ELj100EEvPKT0_PS7_S7_: ; @_Z6kernelI14exclusive_scanILN6hipcub18BlockScanAlgorithmE1EEN15benchmark_utils11custom_typeIffEELj256ELj8ELj100EEvPKT0_PS7_S7_
; %bb.0:
	s_clause 0x1
	s_load_b32 s2, s[0:1], 0x24
	s_load_b128 s[4:7], s[0:1], 0x0
	v_mov_b32_e32 v2, 0
	v_lshrrev_b32_e32 v17, 5, v0
	s_load_b64 s[8:9], s[0:1], 0x10
	v_add_nc_u32_e32 v18, -1, v0
	v_lshrrev_b32_e32 v19, 2, v0
	v_mbcnt_lo_u32_b32 v36, -1, 0
	v_add_lshl_u32 v35, v17, v0, 3
	v_lshlrev_b32_e32 v17, 3, v0
	v_lshrrev_b32_e32 v20, 5, v18
	v_cmp_eq_u32_e64 s0, 0, v0
	v_cmp_ne_u32_e64 s1, 0, v0
	v_and_b32_e32 v38, 15, v36
	s_movk_i32 s3, 0x64
	v_add_lshl_u32 v37, v20, v18, 3
	s_waitcnt lgkmcnt(0)
	s_and_b32 s2, s2, 0xffff
	s_delay_alu instid0(SALU_CYCLE_1) | instskip(NEXT) | instid1(SALU_CYCLE_1)
	s_mul_i32 s15, s15, s2
	v_add_lshl_u32 v1, s15, v0, 3
	s_delay_alu instid0(VALU_DEP_1) | instskip(NEXT) | instid1(VALU_DEP_1)
	v_lshlrev_b64 v[33:34], 3, v[1:2]
	v_add_co_u32 v1, vcc_lo, s4, v33
	s_delay_alu instid0(VALU_DEP_2)
	v_add_co_ci_u32_e32 v2, vcc_lo, s5, v34, vcc_lo
	v_cmp_gt_u32_e32 vcc_lo, 32, v0
	v_add_lshl_u32 v0, v19, v17, 3
	s_clause 0x3
	global_load_b128 v[13:16], v[1:2], off
	global_load_b128 v[9:12], v[1:2], off offset:16
	global_load_b128 v[5:8], v[1:2], off offset:32
	global_load_b128 v[1:4], v[1:2], off offset:48
.LBB158_1:                              ; =>This Inner Loop Header: Depth=1
	s_waitcnt vmcnt(3)
	s_delay_alu instid0(VALU_DEP_1) | instskip(SKIP_1) | instid1(VALU_DEP_1)
	v_dual_add_f32 v17, v15, v13 :: v_dual_add_f32 v18, v16, v14
	s_waitcnt vmcnt(2)
	v_dual_add_f32 v17, v9, v17 :: v_dual_add_f32 v18, v10, v18
	s_delay_alu instid0(VALU_DEP_1) | instskip(SKIP_1) | instid1(VALU_DEP_1)
	v_dual_add_f32 v17, v11, v17 :: v_dual_add_f32 v18, v12, v18
	s_waitcnt vmcnt(1)
	v_dual_add_f32 v17, v5, v17 :: v_dual_add_f32 v18, v6, v18
	s_delay_alu instid0(VALU_DEP_1) | instskip(SKIP_1) | instid1(VALU_DEP_1)
	v_dual_add_f32 v17, v7, v17 :: v_dual_add_f32 v18, v8, v18
	s_waitcnt vmcnt(0)
	v_dual_add_f32 v17, v1, v17 :: v_dual_add_f32 v18, v2, v18
	s_delay_alu instid0(VALU_DEP_1)
	v_dual_add_f32 v3, v3, v17 :: v_dual_add_f32 v4, v4, v18
	ds_store_b64 v35, v[3:4]
	s_waitcnt lgkmcnt(0)
	s_barrier
	buffer_gl0_inv
	s_and_saveexec_b32 s4, vcc_lo
	s_cbranch_execz .LBB158_11
; %bb.2:                                ;   in Loop: Header=BB158_1 Depth=1
	ds_load_2addr_b64 v[29:32], v0 offset1:1
	ds_load_2addr_b64 v[25:28], v0 offset0:2 offset1:3
	ds_load_2addr_b64 v[21:24], v0 offset0:4 offset1:5
	;; [unrolled: 1-line block ×3, first 2 shown]
	s_mov_b32 s5, exec_lo
	s_waitcnt lgkmcnt(3)
	v_dual_add_f32 v39, v29, v31 :: v_dual_add_f32 v40, v30, v32
	s_waitcnt lgkmcnt(2)
	s_delay_alu instid0(VALU_DEP_1) | instskip(NEXT) | instid1(VALU_DEP_1)
	v_dual_add_f32 v39, v39, v25 :: v_dual_add_f32 v40, v40, v26
	v_dual_add_f32 v39, v39, v27 :: v_dual_add_f32 v40, v40, v28
	s_waitcnt lgkmcnt(1)
	s_delay_alu instid0(VALU_DEP_1) | instskip(NEXT) | instid1(VALU_DEP_1)
	v_dual_add_f32 v39, v39, v21 :: v_dual_add_f32 v40, v40, v22
	;; [unrolled: 4-line block ×3, first 2 shown]
	v_dual_add_f32 v39, v39, v19 :: v_dual_add_f32 v40, v40, v20
	s_delay_alu instid0(VALU_DEP_1) | instskip(NEXT) | instid1(VALU_DEP_2)
	v_mov_b32_dpp v41, v39 row_shr:1 row_mask:0xf bank_mask:0xf
	v_mov_b32_dpp v42, v40 row_shr:1 row_mask:0xf bank_mask:0xf
	v_cmpx_ne_u32_e32 0, v38
; %bb.3:                                ;   in Loop: Header=BB158_1 Depth=1
	s_delay_alu instid0(VALU_DEP_2)
	v_dual_add_f32 v40, v40, v42 :: v_dual_add_f32 v39, v39, v41
; %bb.4:                                ;   in Loop: Header=BB158_1 Depth=1
	s_or_b32 exec_lo, exec_lo, s5
	s_delay_alu instid0(VALU_DEP_1) | instskip(NEXT) | instid1(VALU_DEP_2)
	v_mov_b32_dpp v41, v39 row_shr:2 row_mask:0xf bank_mask:0xf
	v_mov_b32_dpp v42, v40 row_shr:2 row_mask:0xf bank_mask:0xf
	s_mov_b32 s5, exec_lo
	v_cmpx_lt_u32_e32 1, v38
; %bb.5:                                ;   in Loop: Header=BB158_1 Depth=1
	s_delay_alu instid0(VALU_DEP_2)
	v_dual_add_f32 v40, v40, v42 :: v_dual_add_f32 v39, v39, v41
; %bb.6:                                ;   in Loop: Header=BB158_1 Depth=1
	s_or_b32 exec_lo, exec_lo, s5
	s_delay_alu instid0(VALU_DEP_1) | instskip(NEXT) | instid1(VALU_DEP_2)
	v_mov_b32_dpp v41, v39 row_shr:4 row_mask:0xf bank_mask:0xf
	v_mov_b32_dpp v42, v40 row_shr:4 row_mask:0xf bank_mask:0xf
	s_mov_b32 s5, exec_lo
	v_cmpx_lt_u32_e32 3, v38
	;; [unrolled: 10-line block ×3, first 2 shown]
; %bb.9:                                ;   in Loop: Header=BB158_1 Depth=1
	s_delay_alu instid0(VALU_DEP_2)
	v_dual_add_f32 v40, v40, v42 :: v_dual_add_f32 v39, v39, v41
; %bb.10:                               ;   in Loop: Header=BB158_1 Depth=1
	s_or_b32 exec_lo, exec_lo, s5
	ds_swizzle_b32 v42, v39 offset:swizzle(BROADCAST,32,15)
	ds_swizzle_b32 v41, v40 offset:swizzle(BROADCAST,32,15)
	v_add_nc_u32_e32 v43, -1, v36
	v_and_b32_e32 v44, 16, v36
	s_waitcnt lgkmcnt(0)
	v_dual_add_f32 v42, v39, v42 :: v_dual_add_f32 v41, v40, v41
	s_delay_alu instid0(VALU_DEP_3) | instskip(NEXT) | instid1(VALU_DEP_1)
	v_cmp_gt_i32_e64 s2, 0, v43
	v_cndmask_b32_e64 v43, v43, v36, s2
	v_cmp_eq_u32_e64 s2, 0, v44
	s_delay_alu instid0(VALU_DEP_2) | instskip(NEXT) | instid1(VALU_DEP_2)
	v_lshlrev_b32_e32 v43, 2, v43
	v_cndmask_b32_e64 v40, v41, v40, s2
	v_cndmask_b32_e64 v39, v42, v39, s2
	ds_bpermute_b32 v40, v43, v40
	s_waitcnt lgkmcnt(0)
	v_add_f32_e32 v30, v30, v40
	ds_bpermute_b32 v39, v43, v39
	v_cndmask_b32_e64 v4, v30, v4, s0
	s_delay_alu instid0(VALU_DEP_1) | instskip(NEXT) | instid1(VALU_DEP_1)
	v_add_f32_e32 v30, v32, v4
	v_add_f32_e32 v26, v26, v30
	s_waitcnt lgkmcnt(0)
	s_delay_alu instid0(VALU_DEP_1) | instskip(NEXT) | instid1(VALU_DEP_1)
	v_dual_add_f32 v28, v28, v26 :: v_dual_add_f32 v29, v29, v39
	v_add_f32_e32 v22, v22, v28
	s_delay_alu instid0(VALU_DEP_2) | instskip(NEXT) | instid1(VALU_DEP_1)
	v_cndmask_b32_e64 v3, v29, v3, s0
	v_dual_add_f32 v24, v24, v22 :: v_dual_add_f32 v29, v31, v3
	s_delay_alu instid0(VALU_DEP_1) | instskip(NEXT) | instid1(VALU_DEP_1)
	v_dual_add_f32 v18, v18, v24 :: v_dual_add_f32 v25, v25, v29
	v_dual_add_f32 v20, v20, v18 :: v_dual_add_f32 v27, v27, v25
	s_delay_alu instid0(VALU_DEP_1) | instskip(NEXT) | instid1(VALU_DEP_1)
	v_add_f32_e32 v21, v21, v27
	v_add_f32_e32 v23, v23, v21
	s_delay_alu instid0(VALU_DEP_1) | instskip(NEXT) | instid1(VALU_DEP_1)
	v_add_f32_e32 v17, v17, v23
	v_add_f32_e32 v19, v19, v17
	ds_store_2addr_b64 v0, v[3:4], v[29:30] offset1:1
	ds_store_2addr_b64 v0, v[25:26], v[27:28] offset0:2 offset1:3
	ds_store_2addr_b64 v0, v[21:22], v[23:24] offset0:4 offset1:5
	;; [unrolled: 1-line block ×3, first 2 shown]
.LBB158_11:                             ;   in Loop: Header=BB158_1 Depth=1
	s_or_b32 exec_lo, exec_lo, s4
	v_dual_mov_b32 v17, s8 :: v_dual_mov_b32 v18, s9
	s_waitcnt lgkmcnt(0)
	s_barrier
	buffer_gl0_inv
	s_and_saveexec_b32 s2, s1
	s_cbranch_execz .LBB158_13
; %bb.12:                               ;   in Loop: Header=BB158_1 Depth=1
	ds_load_b64 v[3:4], v37
	s_waitcnt lgkmcnt(0)
	v_dual_add_f32 v17, s8, v3 :: v_dual_add_f32 v18, s9, v4
.LBB158_13:                             ;   in Loop: Header=BB158_1 Depth=1
	s_or_b32 exec_lo, exec_lo, s2
	s_delay_alu instid0(VALU_DEP_1) | instskip(SKIP_1) | instid1(SALU_CYCLE_1)
	v_dual_add_f32 v19, v13, v17 :: v_dual_add_f32 v20, v14, v18
	s_add_i32 s3, s3, -1
	s_cmp_lg_u32 s3, 0
	s_delay_alu instid0(VALU_DEP_1) | instskip(NEXT) | instid1(VALU_DEP_1)
	v_dual_add_f32 v13, v15, v19 :: v_dual_add_f32 v14, v16, v20
	v_dual_add_f32 v15, v9, v13 :: v_dual_add_f32 v16, v10, v14
	s_delay_alu instid0(VALU_DEP_1) | instskip(NEXT) | instid1(VALU_DEP_1)
	v_dual_add_f32 v9, v11, v15 :: v_dual_add_f32 v10, v12, v16
	v_dual_add_f32 v11, v5, v9 :: v_dual_add_f32 v12, v6, v10
	;; [unrolled: 3-line block ×3, first 2 shown]
	s_cbranch_scc0 .LBB158_15
; %bb.14:                               ;   in Loop: Header=BB158_1 Depth=1
	v_dual_mov_b32 v2, v6 :: v_dual_mov_b32 v1, v5
	v_dual_mov_b32 v8, v12 :: v_dual_mov_b32 v7, v11
	v_dual_mov_b32 v6, v10 :: v_dual_mov_b32 v5, v9
	v_dual_mov_b32 v12, v16 :: v_dual_mov_b32 v11, v15
	v_dual_mov_b32 v10, v14 :: v_dual_mov_b32 v9, v13
	v_dual_mov_b32 v16, v20 :: v_dual_mov_b32 v15, v19
	v_dual_mov_b32 v14, v18 :: v_dual_mov_b32 v13, v17
	s_branch .LBB158_1
.LBB158_15:
	v_add_co_u32 v0, vcc_lo, s6, v33
	v_add_co_ci_u32_e32 v1, vcc_lo, s7, v34, vcc_lo
	s_delay_alu instid0(VALU_DEP_3)
	v_dual_mov_b32 v7, v3 :: v_dual_mov_b32 v8, v4
	s_clause 0x3
	global_store_b128 v[0:1], v[17:20], off
	global_store_b128 v[0:1], v[13:16], off offset:16
	global_store_b128 v[0:1], v[9:12], off offset:32
	;; [unrolled: 1-line block ×3, first 2 shown]
	s_nop 0
	s_sendmsg sendmsg(MSG_DEALLOC_VGPRS)
	s_endpgm
	.section	.rodata,"a",@progbits
	.p2align	6, 0x0
	.amdhsa_kernel _Z6kernelI14exclusive_scanILN6hipcub18BlockScanAlgorithmE1EEN15benchmark_utils11custom_typeIffEELj256ELj8ELj100EEvPKT0_PS7_S7_
		.amdhsa_group_segment_fixed_size 2112
		.amdhsa_private_segment_fixed_size 0
		.amdhsa_kernarg_size 280
		.amdhsa_user_sgpr_count 15
		.amdhsa_user_sgpr_dispatch_ptr 0
		.amdhsa_user_sgpr_queue_ptr 0
		.amdhsa_user_sgpr_kernarg_segment_ptr 1
		.amdhsa_user_sgpr_dispatch_id 0
		.amdhsa_user_sgpr_private_segment_size 0
		.amdhsa_wavefront_size32 1
		.amdhsa_uses_dynamic_stack 0
		.amdhsa_enable_private_segment 0
		.amdhsa_system_sgpr_workgroup_id_x 1
		.amdhsa_system_sgpr_workgroup_id_y 0
		.amdhsa_system_sgpr_workgroup_id_z 0
		.amdhsa_system_sgpr_workgroup_info 0
		.amdhsa_system_vgpr_workitem_id 0
		.amdhsa_next_free_vgpr 45
		.amdhsa_next_free_sgpr 16
		.amdhsa_reserve_vcc 1
		.amdhsa_float_round_mode_32 0
		.amdhsa_float_round_mode_16_64 0
		.amdhsa_float_denorm_mode_32 3
		.amdhsa_float_denorm_mode_16_64 3
		.amdhsa_dx10_clamp 1
		.amdhsa_ieee_mode 1
		.amdhsa_fp16_overflow 0
		.amdhsa_workgroup_processor_mode 1
		.amdhsa_memory_ordered 1
		.amdhsa_forward_progress 0
		.amdhsa_shared_vgpr_count 0
		.amdhsa_exception_fp_ieee_invalid_op 0
		.amdhsa_exception_fp_denorm_src 0
		.amdhsa_exception_fp_ieee_div_zero 0
		.amdhsa_exception_fp_ieee_overflow 0
		.amdhsa_exception_fp_ieee_underflow 0
		.amdhsa_exception_fp_ieee_inexact 0
		.amdhsa_exception_int_div_zero 0
	.end_amdhsa_kernel
	.section	.text._Z6kernelI14exclusive_scanILN6hipcub18BlockScanAlgorithmE1EEN15benchmark_utils11custom_typeIffEELj256ELj8ELj100EEvPKT0_PS7_S7_,"axG",@progbits,_Z6kernelI14exclusive_scanILN6hipcub18BlockScanAlgorithmE1EEN15benchmark_utils11custom_typeIffEELj256ELj8ELj100EEvPKT0_PS7_S7_,comdat
.Lfunc_end158:
	.size	_Z6kernelI14exclusive_scanILN6hipcub18BlockScanAlgorithmE1EEN15benchmark_utils11custom_typeIffEELj256ELj8ELj100EEvPKT0_PS7_S7_, .Lfunc_end158-_Z6kernelI14exclusive_scanILN6hipcub18BlockScanAlgorithmE1EEN15benchmark_utils11custom_typeIffEELj256ELj8ELj100EEvPKT0_PS7_S7_
                                        ; -- End function
	.section	.AMDGPU.csdata,"",@progbits
; Kernel info:
; codeLenInByte = 1140
; NumSgprs: 18
; NumVgprs: 45
; ScratchSize: 0
; MemoryBound: 0
; FloatMode: 240
; IeeeMode: 1
; LDSByteSize: 2112 bytes/workgroup (compile time only)
; SGPRBlocks: 2
; VGPRBlocks: 5
; NumSGPRsForWavesPerEU: 18
; NumVGPRsForWavesPerEU: 45
; Occupancy: 16
; WaveLimiterHint : 0
; COMPUTE_PGM_RSRC2:SCRATCH_EN: 0
; COMPUTE_PGM_RSRC2:USER_SGPR: 15
; COMPUTE_PGM_RSRC2:TRAP_HANDLER: 0
; COMPUTE_PGM_RSRC2:TGID_X_EN: 1
; COMPUTE_PGM_RSRC2:TGID_Y_EN: 0
; COMPUTE_PGM_RSRC2:TGID_Z_EN: 0
; COMPUTE_PGM_RSRC2:TIDIG_COMP_CNT: 0
	.section	.text._Z6kernelI14exclusive_scanILN6hipcub18BlockScanAlgorithmE1EEN15benchmark_utils11custom_typeIddEELj256ELj1ELj100EEvPKT0_PS7_S7_,"axG",@progbits,_Z6kernelI14exclusive_scanILN6hipcub18BlockScanAlgorithmE1EEN15benchmark_utils11custom_typeIddEELj256ELj1ELj100EEvPKT0_PS7_S7_,comdat
	.protected	_Z6kernelI14exclusive_scanILN6hipcub18BlockScanAlgorithmE1EEN15benchmark_utils11custom_typeIddEELj256ELj1ELj100EEvPKT0_PS7_S7_ ; -- Begin function _Z6kernelI14exclusive_scanILN6hipcub18BlockScanAlgorithmE1EEN15benchmark_utils11custom_typeIddEELj256ELj1ELj100EEvPKT0_PS7_S7_
	.globl	_Z6kernelI14exclusive_scanILN6hipcub18BlockScanAlgorithmE1EEN15benchmark_utils11custom_typeIddEELj256ELj1ELj100EEvPKT0_PS7_S7_
	.p2align	8
	.type	_Z6kernelI14exclusive_scanILN6hipcub18BlockScanAlgorithmE1EEN15benchmark_utils11custom_typeIddEELj256ELj1ELj100EEvPKT0_PS7_S7_,@function
_Z6kernelI14exclusive_scanILN6hipcub18BlockScanAlgorithmE1EEN15benchmark_utils11custom_typeIddEELj256ELj1ELj100EEvPKT0_PS7_S7_: ; @_Z6kernelI14exclusive_scanILN6hipcub18BlockScanAlgorithmE1EEN15benchmark_utils11custom_typeIddEELj256ELj1ELj100EEvPKT0_PS7_S7_
; %bb.0:
	s_clause 0x1
	s_load_b32 s2, s[0:1], 0x2c
	s_load_b256 s[4:11], s[0:1], 0x0
	v_lshrrev_b32_e32 v5, 5, v0
	v_add_nc_u32_e32 v6, -1, v0
	v_lshrrev_b32_e32 v7, 2, v0
	v_mbcnt_lo_u32_b32 v48, -1, 0
	v_cmp_ne_u32_e64 s1, 0, v0
	v_add_lshl_u32 v47, v5, v0, 4
	v_lshrrev_b32_e32 v8, 5, v6
	s_movk_i32 s3, 0x64
	v_and_b32_e32 v50, 15, v48
	v_lshlrev_b32_e32 v5, 3, v0
	s_delay_alu instid0(VALU_DEP_3) | instskip(SKIP_2) | instid1(SALU_CYCLE_1)
	v_add_lshl_u32 v49, v8, v6, 4
	s_waitcnt lgkmcnt(0)
	s_and_b32 s0, s2, 0xffff
	v_mad_u64_u32 v[1:2], null, s15, s0, v[0:1]
	v_mov_b32_e32 v2, 0
	v_cmp_eq_u32_e64 s0, 0, v0
	s_delay_alu instid0(VALU_DEP_2) | instskip(NEXT) | instid1(VALU_DEP_1)
	v_lshlrev_b64 v[37:38], 4, v[1:2]
	v_add_co_u32 v1, vcc_lo, s4, v37
	s_delay_alu instid0(VALU_DEP_2)
	v_add_co_ci_u32_e32 v2, vcc_lo, s5, v38, vcc_lo
	v_cmp_gt_u32_e32 vcc_lo, 32, v0
	v_add_lshl_u32 v0, v7, v5, 4
	global_load_b128 v[1:4], v[1:2], off
	s_branch .LBB159_2
.LBB159_1:                              ;   in Loop: Header=BB159_2 Depth=1
	s_or_b32 exec_lo, exec_lo, s2
	s_add_i32 s3, s3, -1
	s_delay_alu instid0(SALU_CYCLE_1)
	s_cmp_lg_u32 s3, 0
	s_cbranch_scc0 .LBB159_16
.LBB159_2:                              ; =>This Inner Loop Header: Depth=1
	s_waitcnt vmcnt(0)
	ds_store_2addr_b64 v47, v[1:2], v[3:4] offset1:1
	s_waitcnt lgkmcnt(0)
	s_barrier
	buffer_gl0_inv
	s_and_saveexec_b32 s4, vcc_lo
	s_cbranch_execz .LBB159_14
; %bb.3:                                ;   in Loop: Header=BB159_2 Depth=1
	ds_load_2addr_b64 v[33:36], v0 offset1:1
	ds_load_2addr_b64 v[5:8], v0 offset0:2 offset1:3
	ds_load_2addr_b64 v[9:12], v0 offset0:4 offset1:5
	;; [unrolled: 1-line block ×3, first 2 shown]
	s_mov_b32 s5, exec_lo
	s_waitcnt lgkmcnt(2)
	v_add_f64 v[17:18], v[33:34], v[5:6]
	v_add_f64 v[19:20], v[35:36], v[7:8]
	s_waitcnt lgkmcnt(1)
	s_delay_alu instid0(VALU_DEP_2) | instskip(NEXT) | instid1(VALU_DEP_2)
	v_add_f64 v[17:18], v[17:18], v[9:10]
	v_add_f64 v[19:20], v[19:20], v[11:12]
	s_waitcnt lgkmcnt(0)
	s_delay_alu instid0(VALU_DEP_2) | instskip(NEXT) | instid1(VALU_DEP_2)
	v_add_f64 v[25:26], v[17:18], v[13:14]
	v_add_f64 v[27:28], v[19:20], v[15:16]
	ds_load_2addr_b64 v[17:20], v0 offset0:8 offset1:9
	ds_load_2addr_b64 v[21:24], v0 offset0:10 offset1:11
	s_waitcnt lgkmcnt(1)
	v_add_f64 v[25:26], v[25:26], v[17:18]
	v_add_f64 v[27:28], v[27:28], v[19:20]
	s_waitcnt lgkmcnt(0)
	s_delay_alu instid0(VALU_DEP_2) | instskip(NEXT) | instid1(VALU_DEP_2)
	v_add_f64 v[39:40], v[25:26], v[21:22]
	v_add_f64 v[41:42], v[27:28], v[23:24]
	ds_load_2addr_b64 v[25:28], v0 offset0:12 offset1:13
	ds_load_2addr_b64 v[29:32], v0 offset0:14 offset1:15
	s_waitcnt lgkmcnt(1)
	v_add_f64 v[39:40], v[39:40], v[25:26]
	v_add_f64 v[41:42], v[41:42], v[27:28]
	s_waitcnt lgkmcnt(0)
	s_delay_alu instid0(VALU_DEP_2) | instskip(NEXT) | instid1(VALU_DEP_2)
	v_add_f64 v[39:40], v[39:40], v[29:30]
	v_add_f64 v[41:42], v[41:42], v[31:32]
	s_delay_alu instid0(VALU_DEP_2) | instskip(NEXT) | instid1(VALU_DEP_3)
	v_mov_b32_dpp v43, v39 row_shr:1 row_mask:0xf bank_mask:0xf
	v_mov_b32_dpp v44, v40 row_shr:1 row_mask:0xf bank_mask:0xf
	s_delay_alu instid0(VALU_DEP_3) | instskip(NEXT) | instid1(VALU_DEP_4)
	v_mov_b32_dpp v45, v41 row_shr:1 row_mask:0xf bank_mask:0xf
	v_mov_b32_dpp v46, v42 row_shr:1 row_mask:0xf bank_mask:0xf
	v_cmpx_ne_u32_e32 0, v50
; %bb.4:                                ;   in Loop: Header=BB159_2 Depth=1
	s_delay_alu instid0(VALU_DEP_2)
	v_add_f64 v[41:42], v[41:42], v[45:46]
	v_add_f64 v[39:40], v[39:40], v[43:44]
; %bb.5:                                ;   in Loop: Header=BB159_2 Depth=1
	s_or_b32 exec_lo, exec_lo, s5
	s_delay_alu instid0(VALU_DEP_1) | instskip(NEXT) | instid1(VALU_DEP_2)
	v_mov_b32_dpp v43, v39 row_shr:2 row_mask:0xf bank_mask:0xf
	v_mov_b32_dpp v44, v40 row_shr:2 row_mask:0xf bank_mask:0xf
	s_delay_alu instid0(VALU_DEP_4)
	v_mov_b32_dpp v45, v41 row_shr:2 row_mask:0xf bank_mask:0xf
	v_mov_b32_dpp v46, v42 row_shr:2 row_mask:0xf bank_mask:0xf
	s_mov_b32 s5, exec_lo
	v_cmpx_lt_u32_e32 1, v50
; %bb.6:                                ;   in Loop: Header=BB159_2 Depth=1
	s_delay_alu instid0(VALU_DEP_2)
	v_add_f64 v[41:42], v[41:42], v[45:46]
	v_add_f64 v[39:40], v[39:40], v[43:44]
; %bb.7:                                ;   in Loop: Header=BB159_2 Depth=1
	s_or_b32 exec_lo, exec_lo, s5
	s_delay_alu instid0(VALU_DEP_1) | instskip(NEXT) | instid1(VALU_DEP_2)
	v_mov_b32_dpp v43, v39 row_shr:4 row_mask:0xf bank_mask:0xf
	v_mov_b32_dpp v44, v40 row_shr:4 row_mask:0xf bank_mask:0xf
	s_delay_alu instid0(VALU_DEP_4)
	v_mov_b32_dpp v45, v41 row_shr:4 row_mask:0xf bank_mask:0xf
	v_mov_b32_dpp v46, v42 row_shr:4 row_mask:0xf bank_mask:0xf
	s_mov_b32 s5, exec_lo
	v_cmpx_lt_u32_e32 3, v50
	;; [unrolled: 14-line block ×3, first 2 shown]
; %bb.10:                               ;   in Loop: Header=BB159_2 Depth=1
	s_delay_alu instid0(VALU_DEP_2)
	v_add_f64 v[41:42], v[41:42], v[45:46]
	v_add_f64 v[39:40], v[39:40], v[43:44]
; %bb.11:                               ;   in Loop: Header=BB159_2 Depth=1
	s_or_b32 exec_lo, exec_lo, s5
	ds_swizzle_b32 v43, v39 offset:swizzle(BROADCAST,32,15)
	ds_swizzle_b32 v44, v40 offset:swizzle(BROADCAST,32,15)
	;; [unrolled: 1-line block ×4, first 2 shown]
	v_and_b32_e32 v51, 16, v48
	s_mov_b32 s5, exec_lo
	s_delay_alu instid0(VALU_DEP_1)
	v_cmpx_ne_u32_e32 0, v51
	s_cbranch_execz .LBB159_13
; %bb.12:                               ;   in Loop: Header=BB159_2 Depth=1
	s_waitcnt lgkmcnt(0)
	v_add_f64 v[41:42], v[41:42], v[45:46]
	v_add_f64 v[39:40], v[39:40], v[43:44]
.LBB159_13:                             ;   in Loop: Header=BB159_2 Depth=1
	s_or_b32 exec_lo, exec_lo, s5
	s_waitcnt lgkmcnt(3)
	v_add_nc_u32_e32 v43, -1, v48
	s_delay_alu instid0(VALU_DEP_1) | instskip(NEXT) | instid1(VALU_DEP_1)
	v_cmp_gt_i32_e64 s2, 0, v43
	v_cndmask_b32_e64 v43, v43, v48, s2
	s_delay_alu instid0(VALU_DEP_1)
	v_lshlrev_b32_e32 v43, 2, v43
	ds_bpermute_b32 v39, v43, v39
	ds_bpermute_b32 v41, v43, v41
	;; [unrolled: 1-line block ×4, first 2 shown]
	s_waitcnt lgkmcnt(1)
	v_add_f64 v[35:36], v[35:36], v[41:42]
	s_waitcnt lgkmcnt(0)
	v_add_f64 v[33:34], v[33:34], v[39:40]
	s_delay_alu instid0(VALU_DEP_2) | instskip(NEXT) | instid1(VALU_DEP_2)
	v_cndmask_b32_e64 v4, v36, v4, s0
	v_cndmask_b32_e64 v2, v34, v2, s0
	s_delay_alu instid0(VALU_DEP_3) | instskip(SKIP_1) | instid1(VALU_DEP_2)
	v_cndmask_b32_e64 v1, v33, v1, s0
	v_cndmask_b32_e64 v3, v35, v3, s0
	v_add_f64 v[5:6], v[5:6], v[1:2]
	s_delay_alu instid0(VALU_DEP_2) | instskip(NEXT) | instid1(VALU_DEP_2)
	v_add_f64 v[7:8], v[7:8], v[3:4]
	v_add_f64 v[9:10], v[9:10], v[5:6]
	s_delay_alu instid0(VALU_DEP_2) | instskip(NEXT) | instid1(VALU_DEP_2)
	v_add_f64 v[11:12], v[11:12], v[7:8]
	;; [unrolled: 3-line block ×6, first 2 shown]
	v_add_f64 v[29:30], v[29:30], v[25:26]
	s_delay_alu instid0(VALU_DEP_2)
	v_add_f64 v[31:32], v[31:32], v[27:28]
	ds_store_2addr_b64 v0, v[1:2], v[3:4] offset1:1
	ds_store_2addr_b64 v0, v[5:6], v[7:8] offset0:2 offset1:3
	ds_store_2addr_b64 v0, v[9:10], v[11:12] offset0:4 offset1:5
	;; [unrolled: 1-line block ×7, first 2 shown]
.LBB159_14:                             ;   in Loop: Header=BB159_2 Depth=1
	s_or_b32 exec_lo, exec_lo, s4
	v_dual_mov_b32 v3, s10 :: v_dual_mov_b32 v4, s11
	v_dual_mov_b32 v1, s8 :: v_dual_mov_b32 v2, s9
	s_waitcnt lgkmcnt(0)
	s_barrier
	buffer_gl0_inv
	s_and_saveexec_b32 s2, s1
	s_cbranch_execz .LBB159_1
; %bb.15:                               ;   in Loop: Header=BB159_2 Depth=1
	ds_load_2addr_b64 v[1:4], v49 offset1:1
	s_waitcnt lgkmcnt(0)
	v_add_f64 v[1:2], s[8:9], v[1:2]
	v_add_f64 v[3:4], s[10:11], v[3:4]
	s_branch .LBB159_1
.LBB159_16:
	v_add_co_u32 v5, vcc_lo, s6, v37
	v_add_co_ci_u32_e32 v6, vcc_lo, s7, v38, vcc_lo
	global_store_b128 v[5:6], v[1:4], off
	s_nop 0
	s_sendmsg sendmsg(MSG_DEALLOC_VGPRS)
	s_endpgm
	.section	.rodata,"a",@progbits
	.p2align	6, 0x0
	.amdhsa_kernel _Z6kernelI14exclusive_scanILN6hipcub18BlockScanAlgorithmE1EEN15benchmark_utils11custom_typeIddEELj256ELj1ELj100EEvPKT0_PS7_S7_
		.amdhsa_group_segment_fixed_size 4224
		.amdhsa_private_segment_fixed_size 0
		.amdhsa_kernarg_size 288
		.amdhsa_user_sgpr_count 15
		.amdhsa_user_sgpr_dispatch_ptr 0
		.amdhsa_user_sgpr_queue_ptr 0
		.amdhsa_user_sgpr_kernarg_segment_ptr 1
		.amdhsa_user_sgpr_dispatch_id 0
		.amdhsa_user_sgpr_private_segment_size 0
		.amdhsa_wavefront_size32 1
		.amdhsa_uses_dynamic_stack 0
		.amdhsa_enable_private_segment 0
		.amdhsa_system_sgpr_workgroup_id_x 1
		.amdhsa_system_sgpr_workgroup_id_y 0
		.amdhsa_system_sgpr_workgroup_id_z 0
		.amdhsa_system_sgpr_workgroup_info 0
		.amdhsa_system_vgpr_workitem_id 0
		.amdhsa_next_free_vgpr 52
		.amdhsa_next_free_sgpr 16
		.amdhsa_reserve_vcc 1
		.amdhsa_float_round_mode_32 0
		.amdhsa_float_round_mode_16_64 0
		.amdhsa_float_denorm_mode_32 3
		.amdhsa_float_denorm_mode_16_64 3
		.amdhsa_dx10_clamp 1
		.amdhsa_ieee_mode 1
		.amdhsa_fp16_overflow 0
		.amdhsa_workgroup_processor_mode 1
		.amdhsa_memory_ordered 1
		.amdhsa_forward_progress 0
		.amdhsa_shared_vgpr_count 0
		.amdhsa_exception_fp_ieee_invalid_op 0
		.amdhsa_exception_fp_denorm_src 0
		.amdhsa_exception_fp_ieee_div_zero 0
		.amdhsa_exception_fp_ieee_overflow 0
		.amdhsa_exception_fp_ieee_underflow 0
		.amdhsa_exception_fp_ieee_inexact 0
		.amdhsa_exception_int_div_zero 0
	.end_amdhsa_kernel
	.section	.text._Z6kernelI14exclusive_scanILN6hipcub18BlockScanAlgorithmE1EEN15benchmark_utils11custom_typeIddEELj256ELj1ELj100EEvPKT0_PS7_S7_,"axG",@progbits,_Z6kernelI14exclusive_scanILN6hipcub18BlockScanAlgorithmE1EEN15benchmark_utils11custom_typeIddEELj256ELj1ELj100EEvPKT0_PS7_S7_,comdat
.Lfunc_end159:
	.size	_Z6kernelI14exclusive_scanILN6hipcub18BlockScanAlgorithmE1EEN15benchmark_utils11custom_typeIddEELj256ELj1ELj100EEvPKT0_PS7_S7_, .Lfunc_end159-_Z6kernelI14exclusive_scanILN6hipcub18BlockScanAlgorithmE1EEN15benchmark_utils11custom_typeIddEELj256ELj1ELj100EEvPKT0_PS7_S7_
                                        ; -- End function
	.section	.AMDGPU.csdata,"",@progbits
; Kernel info:
; codeLenInByte = 1252
; NumSgprs: 18
; NumVgprs: 52
; ScratchSize: 0
; MemoryBound: 0
; FloatMode: 240
; IeeeMode: 1
; LDSByteSize: 4224 bytes/workgroup (compile time only)
; SGPRBlocks: 2
; VGPRBlocks: 6
; NumSGPRsForWavesPerEU: 18
; NumVGPRsForWavesPerEU: 52
; Occupancy: 16
; WaveLimiterHint : 0
; COMPUTE_PGM_RSRC2:SCRATCH_EN: 0
; COMPUTE_PGM_RSRC2:USER_SGPR: 15
; COMPUTE_PGM_RSRC2:TRAP_HANDLER: 0
; COMPUTE_PGM_RSRC2:TGID_X_EN: 1
; COMPUTE_PGM_RSRC2:TGID_Y_EN: 0
; COMPUTE_PGM_RSRC2:TGID_Z_EN: 0
; COMPUTE_PGM_RSRC2:TIDIG_COMP_CNT: 0
	.section	.text._Z6kernelI14exclusive_scanILN6hipcub18BlockScanAlgorithmE1EEN15benchmark_utils11custom_typeIddEELj256ELj4ELj100EEvPKT0_PS7_S7_,"axG",@progbits,_Z6kernelI14exclusive_scanILN6hipcub18BlockScanAlgorithmE1EEN15benchmark_utils11custom_typeIddEELj256ELj4ELj100EEvPKT0_PS7_S7_,comdat
	.protected	_Z6kernelI14exclusive_scanILN6hipcub18BlockScanAlgorithmE1EEN15benchmark_utils11custom_typeIddEELj256ELj4ELj100EEvPKT0_PS7_S7_ ; -- Begin function _Z6kernelI14exclusive_scanILN6hipcub18BlockScanAlgorithmE1EEN15benchmark_utils11custom_typeIddEELj256ELj4ELj100EEvPKT0_PS7_S7_
	.globl	_Z6kernelI14exclusive_scanILN6hipcub18BlockScanAlgorithmE1EEN15benchmark_utils11custom_typeIddEELj256ELj4ELj100EEvPKT0_PS7_S7_
	.p2align	8
	.type	_Z6kernelI14exclusive_scanILN6hipcub18BlockScanAlgorithmE1EEN15benchmark_utils11custom_typeIddEELj256ELj4ELj100EEvPKT0_PS7_S7_,@function
_Z6kernelI14exclusive_scanILN6hipcub18BlockScanAlgorithmE1EEN15benchmark_utils11custom_typeIddEELj256ELj4ELj100EEvPKT0_PS7_S7_: ; @_Z6kernelI14exclusive_scanILN6hipcub18BlockScanAlgorithmE1EEN15benchmark_utils11custom_typeIddEELj256ELj4ELj100EEvPKT0_PS7_S7_
; %bb.0:
	s_clause 0x1
	s_load_b32 s2, s[0:1], 0x2c
	s_load_b256 s[4:11], s[0:1], 0x0
	v_mov_b32_e32 v2, 0
	v_lshrrev_b32_e32 v17, 5, v0
	v_add_nc_u32_e32 v18, -1, v0
	v_lshrrev_b32_e32 v19, 2, v0
	v_mbcnt_lo_u32_b32 v60, -1, 0
	v_cmp_ne_u32_e64 s1, 0, v0
	v_add_lshl_u32 v59, v17, v0, 4
	v_lshlrev_b32_e32 v17, 3, v0
	v_lshrrev_b32_e32 v20, 5, v18
	v_and_b32_e32 v62, 15, v60
	s_movk_i32 s3, 0x64
	s_delay_alu instid0(VALU_DEP_2) | instskip(SKIP_2) | instid1(SALU_CYCLE_1)
	v_add_lshl_u32 v61, v20, v18, 4
	s_waitcnt lgkmcnt(0)
	s_and_b32 s0, s2, 0xffff
	s_mul_i32 s15, s15, s0
	v_cmp_eq_u32_e64 s0, 0, v0
	v_add_lshl_u32 v1, s15, v0, 2
	s_delay_alu instid0(VALU_DEP_1) | instskip(NEXT) | instid1(VALU_DEP_1)
	v_lshlrev_b64 v[45:46], 4, v[1:2]
	v_add_co_u32 v9, vcc_lo, s4, v45
	s_delay_alu instid0(VALU_DEP_2)
	v_add_co_ci_u32_e32 v10, vcc_lo, s5, v46, vcc_lo
	v_cmp_gt_u32_e32 vcc_lo, 32, v0
	v_add_lshl_u32 v0, v19, v17, 4
	s_clause 0x3
	global_load_b128 v[13:16], v[9:10], off offset:48
	global_load_b128 v[1:4], v[9:10], off offset:32
	;; [unrolled: 1-line block ×3, first 2 shown]
	global_load_b128 v[9:12], v[9:10], off
.LBB160_1:                              ; =>This Inner Loop Header: Depth=1
	s_waitcnt vmcnt(0)
	s_delay_alu instid0(VALU_DEP_1) | instskip(SKIP_1) | instid1(VALU_DEP_2)
	v_add_f64 v[17:18], v[5:6], v[9:10]
	v_add_f64 v[19:20], v[7:8], v[11:12]
	;; [unrolled: 1-line block ×3, first 2 shown]
	s_delay_alu instid0(VALU_DEP_2) | instskip(NEXT) | instid1(VALU_DEP_2)
	v_add_f64 v[19:20], v[3:4], v[19:20]
	v_add_f64 v[47:48], v[13:14], v[17:18]
	s_delay_alu instid0(VALU_DEP_2)
	v_add_f64 v[49:50], v[15:16], v[19:20]
	ds_store_2addr_b64 v59, v[47:48], v[49:50] offset1:1
	s_waitcnt lgkmcnt(0)
	s_barrier
	buffer_gl0_inv
	s_and_saveexec_b32 s4, vcc_lo
	s_cbranch_execz .LBB160_13
; %bb.2:                                ;   in Loop: Header=BB160_1 Depth=1
	ds_load_2addr_b64 v[41:44], v0 offset1:1
	ds_load_2addr_b64 v[13:16], v0 offset0:2 offset1:3
	ds_load_2addr_b64 v[17:20], v0 offset0:4 offset1:5
	;; [unrolled: 1-line block ×3, first 2 shown]
	s_mov_b32 s5, exec_lo
	s_waitcnt lgkmcnt(2)
	v_add_f64 v[25:26], v[41:42], v[13:14]
	v_add_f64 v[27:28], v[43:44], v[15:16]
	s_waitcnt lgkmcnt(1)
	s_delay_alu instid0(VALU_DEP_2) | instskip(NEXT) | instid1(VALU_DEP_2)
	v_add_f64 v[25:26], v[25:26], v[17:18]
	v_add_f64 v[27:28], v[27:28], v[19:20]
	s_waitcnt lgkmcnt(0)
	s_delay_alu instid0(VALU_DEP_2) | instskip(NEXT) | instid1(VALU_DEP_2)
	v_add_f64 v[33:34], v[25:26], v[21:22]
	v_add_f64 v[35:36], v[27:28], v[23:24]
	ds_load_2addr_b64 v[25:28], v0 offset0:8 offset1:9
	ds_load_2addr_b64 v[29:32], v0 offset0:10 offset1:11
	s_waitcnt lgkmcnt(1)
	v_add_f64 v[33:34], v[33:34], v[25:26]
	v_add_f64 v[35:36], v[35:36], v[27:28]
	s_waitcnt lgkmcnt(0)
	s_delay_alu instid0(VALU_DEP_2) | instskip(NEXT) | instid1(VALU_DEP_2)
	v_add_f64 v[51:52], v[33:34], v[29:30]
	v_add_f64 v[53:54], v[35:36], v[31:32]
	ds_load_2addr_b64 v[33:36], v0 offset0:12 offset1:13
	ds_load_2addr_b64 v[37:40], v0 offset0:14 offset1:15
	s_waitcnt lgkmcnt(1)
	v_add_f64 v[51:52], v[51:52], v[33:34]
	v_add_f64 v[53:54], v[53:54], v[35:36]
	s_waitcnt lgkmcnt(0)
	s_delay_alu instid0(VALU_DEP_2) | instskip(NEXT) | instid1(VALU_DEP_2)
	v_add_f64 v[51:52], v[51:52], v[37:38]
	v_add_f64 v[53:54], v[53:54], v[39:40]
	s_delay_alu instid0(VALU_DEP_2) | instskip(NEXT) | instid1(VALU_DEP_3)
	v_mov_b32_dpp v55, v51 row_shr:1 row_mask:0xf bank_mask:0xf
	v_mov_b32_dpp v56, v52 row_shr:1 row_mask:0xf bank_mask:0xf
	s_delay_alu instid0(VALU_DEP_3) | instskip(NEXT) | instid1(VALU_DEP_4)
	v_mov_b32_dpp v57, v53 row_shr:1 row_mask:0xf bank_mask:0xf
	v_mov_b32_dpp v58, v54 row_shr:1 row_mask:0xf bank_mask:0xf
	v_cmpx_ne_u32_e32 0, v62
; %bb.3:                                ;   in Loop: Header=BB160_1 Depth=1
	s_delay_alu instid0(VALU_DEP_2)
	v_add_f64 v[53:54], v[53:54], v[57:58]
	v_add_f64 v[51:52], v[51:52], v[55:56]
; %bb.4:                                ;   in Loop: Header=BB160_1 Depth=1
	s_or_b32 exec_lo, exec_lo, s5
	s_delay_alu instid0(VALU_DEP_1) | instskip(NEXT) | instid1(VALU_DEP_2)
	v_mov_b32_dpp v55, v51 row_shr:2 row_mask:0xf bank_mask:0xf
	v_mov_b32_dpp v56, v52 row_shr:2 row_mask:0xf bank_mask:0xf
	s_delay_alu instid0(VALU_DEP_4)
	v_mov_b32_dpp v57, v53 row_shr:2 row_mask:0xf bank_mask:0xf
	v_mov_b32_dpp v58, v54 row_shr:2 row_mask:0xf bank_mask:0xf
	s_mov_b32 s5, exec_lo
	v_cmpx_lt_u32_e32 1, v62
; %bb.5:                                ;   in Loop: Header=BB160_1 Depth=1
	s_delay_alu instid0(VALU_DEP_2)
	v_add_f64 v[53:54], v[53:54], v[57:58]
	v_add_f64 v[51:52], v[51:52], v[55:56]
; %bb.6:                                ;   in Loop: Header=BB160_1 Depth=1
	s_or_b32 exec_lo, exec_lo, s5
	s_delay_alu instid0(VALU_DEP_1) | instskip(NEXT) | instid1(VALU_DEP_2)
	v_mov_b32_dpp v55, v51 row_shr:4 row_mask:0xf bank_mask:0xf
	v_mov_b32_dpp v56, v52 row_shr:4 row_mask:0xf bank_mask:0xf
	s_delay_alu instid0(VALU_DEP_4)
	v_mov_b32_dpp v57, v53 row_shr:4 row_mask:0xf bank_mask:0xf
	v_mov_b32_dpp v58, v54 row_shr:4 row_mask:0xf bank_mask:0xf
	s_mov_b32 s5, exec_lo
	v_cmpx_lt_u32_e32 3, v62
	;; [unrolled: 14-line block ×3, first 2 shown]
; %bb.9:                                ;   in Loop: Header=BB160_1 Depth=1
	s_delay_alu instid0(VALU_DEP_2)
	v_add_f64 v[53:54], v[53:54], v[57:58]
	v_add_f64 v[51:52], v[51:52], v[55:56]
; %bb.10:                               ;   in Loop: Header=BB160_1 Depth=1
	s_or_b32 exec_lo, exec_lo, s5
	ds_swizzle_b32 v55, v51 offset:swizzle(BROADCAST,32,15)
	ds_swizzle_b32 v56, v52 offset:swizzle(BROADCAST,32,15)
	;; [unrolled: 1-line block ×4, first 2 shown]
	v_and_b32_e32 v63, 16, v60
	s_mov_b32 s5, exec_lo
	s_delay_alu instid0(VALU_DEP_1)
	v_cmpx_ne_u32_e32 0, v63
	s_cbranch_execz .LBB160_12
; %bb.11:                               ;   in Loop: Header=BB160_1 Depth=1
	s_waitcnt lgkmcnt(0)
	v_add_f64 v[53:54], v[53:54], v[57:58]
	v_add_f64 v[51:52], v[51:52], v[55:56]
.LBB160_12:                             ;   in Loop: Header=BB160_1 Depth=1
	s_or_b32 exec_lo, exec_lo, s5
	s_waitcnt lgkmcnt(3)
	v_add_nc_u32_e32 v55, -1, v60
	s_delay_alu instid0(VALU_DEP_1) | instskip(NEXT) | instid1(VALU_DEP_1)
	v_cmp_gt_i32_e64 s2, 0, v55
	v_cndmask_b32_e64 v55, v55, v60, s2
	s_delay_alu instid0(VALU_DEP_1)
	v_lshlrev_b32_e32 v55, 2, v55
	ds_bpermute_b32 v51, v55, v51
	ds_bpermute_b32 v53, v55, v53
	ds_bpermute_b32 v54, v55, v54
	ds_bpermute_b32 v52, v55, v52
	s_waitcnt lgkmcnt(1)
	v_add_f64 v[43:44], v[43:44], v[53:54]
	s_waitcnt lgkmcnt(0)
	v_add_f64 v[41:42], v[41:42], v[51:52]
	s_delay_alu instid0(VALU_DEP_2) | instskip(NEXT) | instid1(VALU_DEP_2)
	v_cndmask_b32_e64 v44, v44, v50, s0
	v_cndmask_b32_e64 v42, v42, v48, s0
	s_delay_alu instid0(VALU_DEP_3) | instskip(SKIP_1) | instid1(VALU_DEP_2)
	v_cndmask_b32_e64 v41, v41, v47, s0
	v_cndmask_b32_e64 v43, v43, v49, s0
	v_add_f64 v[13:14], v[13:14], v[41:42]
	s_delay_alu instid0(VALU_DEP_2) | instskip(NEXT) | instid1(VALU_DEP_2)
	v_add_f64 v[15:16], v[15:16], v[43:44]
	v_add_f64 v[17:18], v[17:18], v[13:14]
	s_delay_alu instid0(VALU_DEP_2) | instskip(NEXT) | instid1(VALU_DEP_2)
	v_add_f64 v[19:20], v[19:20], v[15:16]
	;; [unrolled: 3-line block ×6, first 2 shown]
	v_add_f64 v[37:38], v[37:38], v[33:34]
	s_delay_alu instid0(VALU_DEP_2)
	v_add_f64 v[39:40], v[39:40], v[35:36]
	ds_store_2addr_b64 v0, v[41:42], v[43:44] offset1:1
	ds_store_2addr_b64 v0, v[13:14], v[15:16] offset0:2 offset1:3
	ds_store_2addr_b64 v0, v[17:18], v[19:20] offset0:4 offset1:5
	;; [unrolled: 1-line block ×7, first 2 shown]
.LBB160_13:                             ;   in Loop: Header=BB160_1 Depth=1
	s_or_b32 exec_lo, exec_lo, s4
	v_dual_mov_b32 v18, s9 :: v_dual_mov_b32 v17, s8
	v_dual_mov_b32 v20, s11 :: v_dual_mov_b32 v19, s10
	s_waitcnt lgkmcnt(0)
	s_barrier
	buffer_gl0_inv
	s_and_saveexec_b32 s2, s1
	s_cbranch_execz .LBB160_15
; %bb.14:                               ;   in Loop: Header=BB160_1 Depth=1
	ds_load_2addr_b64 v[13:16], v61 offset1:1
	s_waitcnt lgkmcnt(0)
	v_add_f64 v[17:18], s[8:9], v[13:14]
	v_add_f64 v[19:20], s[10:11], v[15:16]
.LBB160_15:                             ;   in Loop: Header=BB160_1 Depth=1
	s_or_b32 exec_lo, exec_lo, s2
	s_delay_alu instid0(VALU_DEP_2) | instskip(NEXT) | instid1(VALU_DEP_2)
	v_add_f64 v[9:10], v[9:10], v[17:18]
	v_add_f64 v[11:12], v[11:12], v[19:20]
	s_add_i32 s3, s3, -1
	s_delay_alu instid0(SALU_CYCLE_1) | instskip(NEXT) | instid1(VALU_DEP_2)
	s_cmp_lg_u32 s3, 0
	v_add_f64 v[5:6], v[5:6], v[9:10]
	s_delay_alu instid0(VALU_DEP_2) | instskip(NEXT) | instid1(VALU_DEP_2)
	v_add_f64 v[7:8], v[7:8], v[11:12]
	v_add_f64 v[13:14], v[1:2], v[5:6]
	s_delay_alu instid0(VALU_DEP_2)
	v_add_f64 v[15:16], v[3:4], v[7:8]
	s_cbranch_scc0 .LBB160_17
; %bb.16:                               ;   in Loop: Header=BB160_1 Depth=1
	v_dual_mov_b32 v3, v7 :: v_dual_mov_b32 v4, v8
	v_dual_mov_b32 v1, v5 :: v_dual_mov_b32 v2, v6
	;; [unrolled: 1-line block ×6, first 2 shown]
	s_branch .LBB160_1
.LBB160_17:
	v_add_co_u32 v0, vcc_lo, s6, v45
	v_add_co_ci_u32_e32 v1, vcc_lo, s7, v46, vcc_lo
	s_clause 0x3
	global_store_b128 v[0:1], v[17:20], off
	global_store_b128 v[0:1], v[9:12], off offset:16
	global_store_b128 v[0:1], v[5:8], off offset:32
	;; [unrolled: 1-line block ×3, first 2 shown]
	s_nop 0
	s_sendmsg sendmsg(MSG_DEALLOC_VGPRS)
	s_endpgm
	.section	.rodata,"a",@progbits
	.p2align	6, 0x0
	.amdhsa_kernel _Z6kernelI14exclusive_scanILN6hipcub18BlockScanAlgorithmE1EEN15benchmark_utils11custom_typeIddEELj256ELj4ELj100EEvPKT0_PS7_S7_
		.amdhsa_group_segment_fixed_size 4224
		.amdhsa_private_segment_fixed_size 0
		.amdhsa_kernarg_size 288
		.amdhsa_user_sgpr_count 15
		.amdhsa_user_sgpr_dispatch_ptr 0
		.amdhsa_user_sgpr_queue_ptr 0
		.amdhsa_user_sgpr_kernarg_segment_ptr 1
		.amdhsa_user_sgpr_dispatch_id 0
		.amdhsa_user_sgpr_private_segment_size 0
		.amdhsa_wavefront_size32 1
		.amdhsa_uses_dynamic_stack 0
		.amdhsa_enable_private_segment 0
		.amdhsa_system_sgpr_workgroup_id_x 1
		.amdhsa_system_sgpr_workgroup_id_y 0
		.amdhsa_system_sgpr_workgroup_id_z 0
		.amdhsa_system_sgpr_workgroup_info 0
		.amdhsa_system_vgpr_workitem_id 0
		.amdhsa_next_free_vgpr 64
		.amdhsa_next_free_sgpr 16
		.amdhsa_reserve_vcc 1
		.amdhsa_float_round_mode_32 0
		.amdhsa_float_round_mode_16_64 0
		.amdhsa_float_denorm_mode_32 3
		.amdhsa_float_denorm_mode_16_64 3
		.amdhsa_dx10_clamp 1
		.amdhsa_ieee_mode 1
		.amdhsa_fp16_overflow 0
		.amdhsa_workgroup_processor_mode 1
		.amdhsa_memory_ordered 1
		.amdhsa_forward_progress 0
		.amdhsa_shared_vgpr_count 0
		.amdhsa_exception_fp_ieee_invalid_op 0
		.amdhsa_exception_fp_denorm_src 0
		.amdhsa_exception_fp_ieee_div_zero 0
		.amdhsa_exception_fp_ieee_overflow 0
		.amdhsa_exception_fp_ieee_underflow 0
		.amdhsa_exception_fp_ieee_inexact 0
		.amdhsa_exception_int_div_zero 0
	.end_amdhsa_kernel
	.section	.text._Z6kernelI14exclusive_scanILN6hipcub18BlockScanAlgorithmE1EEN15benchmark_utils11custom_typeIddEELj256ELj4ELj100EEvPKT0_PS7_S7_,"axG",@progbits,_Z6kernelI14exclusive_scanILN6hipcub18BlockScanAlgorithmE1EEN15benchmark_utils11custom_typeIddEELj256ELj4ELj100EEvPKT0_PS7_S7_,comdat
.Lfunc_end160:
	.size	_Z6kernelI14exclusive_scanILN6hipcub18BlockScanAlgorithmE1EEN15benchmark_utils11custom_typeIddEELj256ELj4ELj100EEvPKT0_PS7_S7_, .Lfunc_end160-_Z6kernelI14exclusive_scanILN6hipcub18BlockScanAlgorithmE1EEN15benchmark_utils11custom_typeIddEELj256ELj4ELj100EEvPKT0_PS7_S7_
                                        ; -- End function
	.section	.AMDGPU.csdata,"",@progbits
; Kernel info:
; codeLenInByte = 1476
; NumSgprs: 18
; NumVgprs: 64
; ScratchSize: 0
; MemoryBound: 0
; FloatMode: 240
; IeeeMode: 1
; LDSByteSize: 4224 bytes/workgroup (compile time only)
; SGPRBlocks: 2
; VGPRBlocks: 7
; NumSGPRsForWavesPerEU: 18
; NumVGPRsForWavesPerEU: 64
; Occupancy: 16
; WaveLimiterHint : 0
; COMPUTE_PGM_RSRC2:SCRATCH_EN: 0
; COMPUTE_PGM_RSRC2:USER_SGPR: 15
; COMPUTE_PGM_RSRC2:TRAP_HANDLER: 0
; COMPUTE_PGM_RSRC2:TGID_X_EN: 1
; COMPUTE_PGM_RSRC2:TGID_Y_EN: 0
; COMPUTE_PGM_RSRC2:TGID_Z_EN: 0
; COMPUTE_PGM_RSRC2:TIDIG_COMP_CNT: 0
	.section	.text._Z6kernelI14exclusive_scanILN6hipcub18BlockScanAlgorithmE1EEN15benchmark_utils11custom_typeIddEELj256ELj8ELj100EEvPKT0_PS7_S7_,"axG",@progbits,_Z6kernelI14exclusive_scanILN6hipcub18BlockScanAlgorithmE1EEN15benchmark_utils11custom_typeIddEELj256ELj8ELj100EEvPKT0_PS7_S7_,comdat
	.protected	_Z6kernelI14exclusive_scanILN6hipcub18BlockScanAlgorithmE1EEN15benchmark_utils11custom_typeIddEELj256ELj8ELj100EEvPKT0_PS7_S7_ ; -- Begin function _Z6kernelI14exclusive_scanILN6hipcub18BlockScanAlgorithmE1EEN15benchmark_utils11custom_typeIddEELj256ELj8ELj100EEvPKT0_PS7_S7_
	.globl	_Z6kernelI14exclusive_scanILN6hipcub18BlockScanAlgorithmE1EEN15benchmark_utils11custom_typeIddEELj256ELj8ELj100EEvPKT0_PS7_S7_
	.p2align	8
	.type	_Z6kernelI14exclusive_scanILN6hipcub18BlockScanAlgorithmE1EEN15benchmark_utils11custom_typeIddEELj256ELj8ELj100EEvPKT0_PS7_S7_,@function
_Z6kernelI14exclusive_scanILN6hipcub18BlockScanAlgorithmE1EEN15benchmark_utils11custom_typeIddEELj256ELj8ELj100EEvPKT0_PS7_S7_: ; @_Z6kernelI14exclusive_scanILN6hipcub18BlockScanAlgorithmE1EEN15benchmark_utils11custom_typeIddEELj256ELj8ELj100EEvPKT0_PS7_S7_
; %bb.0:
	s_clause 0x1
	s_load_b32 s2, s[0:1], 0x2c
	s_load_b256 s[4:11], s[0:1], 0x0
	v_mov_b32_e32 v2, 0
	v_lshrrev_b32_e32 v33, 5, v0
	v_add_nc_u32_e32 v34, -1, v0
	v_lshrrev_b32_e32 v35, 2, v0
	v_cmp_ne_u32_e64 s1, 0, v0
	v_mbcnt_lo_u32_b32 v78, -1, 0
	v_add_lshl_u32 v75, v33, v0, 4
	v_lshlrev_b32_e32 v33, 3, v0
	v_lshrrev_b32_e32 v36, 5, v34
	s_movk_i32 s3, 0x64
	s_delay_alu instid0(VALU_DEP_2) | instskip(NEXT) | instid1(VALU_DEP_2)
	v_add_lshl_u32 v76, v35, v33, 4
	v_add_lshl_u32 v77, v36, v34, 4
	s_waitcnt lgkmcnt(0)
	s_and_b32 s0, s2, 0xffff
	s_delay_alu instid0(SALU_CYCLE_1) | instskip(SKIP_2) | instid1(VALU_DEP_1)
	s_mul_i32 s15, s15, s0
	v_cmp_eq_u32_e64 s0, 0, v0
	v_add_lshl_u32 v1, s15, v0, 3
	v_lshlrev_b64 v[61:62], 4, v[1:2]
	s_delay_alu instid0(VALU_DEP_1) | instskip(NEXT) | instid1(VALU_DEP_2)
	v_add_co_u32 v25, vcc_lo, s4, v61
	v_add_co_ci_u32_e32 v26, vcc_lo, s5, v62, vcc_lo
	v_cmp_gt_u32_e32 vcc_lo, 32, v0
	s_clause 0x7
	global_load_b128 v[1:4], v[25:26], off offset:48
	global_load_b128 v[5:8], v[25:26], off offset:32
	;; [unrolled: 1-line block ×3, first 2 shown]
	global_load_b128 v[13:16], v[25:26], off
	global_load_b128 v[29:32], v[25:26], off offset:112
	global_load_b128 v[17:20], v[25:26], off offset:96
	;; [unrolled: 1-line block ×4, first 2 shown]
.LBB161_1:                              ; =>This Inner Loop Header: Depth=1
	s_waitcnt vmcnt(4)
	s_delay_alu instid0(VALU_DEP_1) | instskip(SKIP_1) | instid1(VALU_DEP_2)
	v_add_f64 v[33:34], v[9:10], v[13:14]
	v_add_f64 v[35:36], v[11:12], v[15:16]
	;; [unrolled: 1-line block ×3, first 2 shown]
	s_delay_alu instid0(VALU_DEP_2) | instskip(NEXT) | instid1(VALU_DEP_2)
	v_add_f64 v[35:36], v[7:8], v[35:36]
	v_add_f64 v[33:34], v[1:2], v[33:34]
	s_delay_alu instid0(VALU_DEP_2) | instskip(SKIP_1) | instid1(VALU_DEP_2)
	v_add_f64 v[35:36], v[3:4], v[35:36]
	s_waitcnt vmcnt(0)
	v_add_f64 v[33:34], v[25:26], v[33:34]
	s_delay_alu instid0(VALU_DEP_2) | instskip(NEXT) | instid1(VALU_DEP_2)
	v_add_f64 v[35:36], v[27:28], v[35:36]
	v_add_f64 v[33:34], v[21:22], v[33:34]
	s_delay_alu instid0(VALU_DEP_2) | instskip(NEXT) | instid1(VALU_DEP_2)
	v_add_f64 v[35:36], v[23:24], v[35:36]
	;; [unrolled: 3-line block ×3, first 2 shown]
	v_add_f64 v[63:64], v[29:30], v[33:34]
	s_delay_alu instid0(VALU_DEP_2)
	v_add_f64 v[65:66], v[31:32], v[35:36]
	ds_store_2addr_b64 v75, v[63:64], v[65:66] offset1:1
	s_waitcnt lgkmcnt(0)
	s_barrier
	buffer_gl0_inv
	s_and_saveexec_b32 s4, vcc_lo
	s_cbranch_execz .LBB161_13
; %bb.2:                                ;   in Loop: Header=BB161_1 Depth=1
	ds_load_2addr_b64 v[57:60], v76 offset1:1
	ds_load_2addr_b64 v[29:32], v76 offset0:2 offset1:3
	ds_load_2addr_b64 v[33:36], v76 offset0:4 offset1:5
	;; [unrolled: 1-line block ×3, first 2 shown]
	v_and_b32_e32 v0, 15, v78
	s_mov_b32 s5, exec_lo
	s_waitcnt lgkmcnt(2)
	v_add_f64 v[41:42], v[57:58], v[29:30]
	v_add_f64 v[43:44], v[59:60], v[31:32]
	s_waitcnt lgkmcnt(1)
	s_delay_alu instid0(VALU_DEP_2) | instskip(NEXT) | instid1(VALU_DEP_2)
	v_add_f64 v[41:42], v[41:42], v[33:34]
	v_add_f64 v[43:44], v[43:44], v[35:36]
	s_waitcnt lgkmcnt(0)
	s_delay_alu instid0(VALU_DEP_2) | instskip(NEXT) | instid1(VALU_DEP_2)
	v_add_f64 v[49:50], v[41:42], v[37:38]
	v_add_f64 v[51:52], v[43:44], v[39:40]
	ds_load_2addr_b64 v[41:44], v76 offset0:8 offset1:9
	ds_load_2addr_b64 v[45:48], v76 offset0:10 offset1:11
	s_waitcnt lgkmcnt(1)
	v_add_f64 v[49:50], v[49:50], v[41:42]
	v_add_f64 v[51:52], v[51:52], v[43:44]
	s_waitcnt lgkmcnt(0)
	s_delay_alu instid0(VALU_DEP_2) | instskip(NEXT) | instid1(VALU_DEP_2)
	v_add_f64 v[67:68], v[49:50], v[45:46]
	v_add_f64 v[69:70], v[51:52], v[47:48]
	ds_load_2addr_b64 v[49:52], v76 offset0:12 offset1:13
	ds_load_2addr_b64 v[53:56], v76 offset0:14 offset1:15
	s_waitcnt lgkmcnt(1)
	v_add_f64 v[67:68], v[67:68], v[49:50]
	v_add_f64 v[69:70], v[69:70], v[51:52]
	s_waitcnt lgkmcnt(0)
	s_delay_alu instid0(VALU_DEP_2) | instskip(NEXT) | instid1(VALU_DEP_2)
	v_add_f64 v[67:68], v[67:68], v[53:54]
	v_add_f64 v[69:70], v[69:70], v[55:56]
	s_delay_alu instid0(VALU_DEP_2) | instskip(NEXT) | instid1(VALU_DEP_3)
	v_mov_b32_dpp v71, v67 row_shr:1 row_mask:0xf bank_mask:0xf
	v_mov_b32_dpp v72, v68 row_shr:1 row_mask:0xf bank_mask:0xf
	s_delay_alu instid0(VALU_DEP_3) | instskip(NEXT) | instid1(VALU_DEP_4)
	v_mov_b32_dpp v73, v69 row_shr:1 row_mask:0xf bank_mask:0xf
	v_mov_b32_dpp v74, v70 row_shr:1 row_mask:0xf bank_mask:0xf
	v_cmpx_ne_u32_e32 0, v0
; %bb.3:                                ;   in Loop: Header=BB161_1 Depth=1
	s_delay_alu instid0(VALU_DEP_2)
	v_add_f64 v[69:70], v[69:70], v[73:74]
	v_add_f64 v[67:68], v[67:68], v[71:72]
; %bb.4:                                ;   in Loop: Header=BB161_1 Depth=1
	s_or_b32 exec_lo, exec_lo, s5
	s_delay_alu instid0(VALU_DEP_1) | instskip(NEXT) | instid1(VALU_DEP_2)
	v_mov_b32_dpp v71, v67 row_shr:2 row_mask:0xf bank_mask:0xf
	v_mov_b32_dpp v72, v68 row_shr:2 row_mask:0xf bank_mask:0xf
	s_delay_alu instid0(VALU_DEP_4)
	v_mov_b32_dpp v73, v69 row_shr:2 row_mask:0xf bank_mask:0xf
	v_mov_b32_dpp v74, v70 row_shr:2 row_mask:0xf bank_mask:0xf
	s_mov_b32 s5, exec_lo
	v_cmpx_lt_u32_e32 1, v0
; %bb.5:                                ;   in Loop: Header=BB161_1 Depth=1
	s_delay_alu instid0(VALU_DEP_2)
	v_add_f64 v[69:70], v[69:70], v[73:74]
	v_add_f64 v[67:68], v[67:68], v[71:72]
; %bb.6:                                ;   in Loop: Header=BB161_1 Depth=1
	s_or_b32 exec_lo, exec_lo, s5
	s_delay_alu instid0(VALU_DEP_1) | instskip(NEXT) | instid1(VALU_DEP_2)
	v_mov_b32_dpp v71, v67 row_shr:4 row_mask:0xf bank_mask:0xf
	v_mov_b32_dpp v72, v68 row_shr:4 row_mask:0xf bank_mask:0xf
	s_delay_alu instid0(VALU_DEP_4)
	v_mov_b32_dpp v73, v69 row_shr:4 row_mask:0xf bank_mask:0xf
	v_mov_b32_dpp v74, v70 row_shr:4 row_mask:0xf bank_mask:0xf
	s_mov_b32 s5, exec_lo
	v_cmpx_lt_u32_e32 3, v0
	;; [unrolled: 14-line block ×3, first 2 shown]
; %bb.9:                                ;   in Loop: Header=BB161_1 Depth=1
	s_delay_alu instid0(VALU_DEP_2)
	v_add_f64 v[69:70], v[69:70], v[73:74]
	v_add_f64 v[67:68], v[67:68], v[71:72]
; %bb.10:                               ;   in Loop: Header=BB161_1 Depth=1
	s_or_b32 exec_lo, exec_lo, s5
	ds_swizzle_b32 v71, v67 offset:swizzle(BROADCAST,32,15)
	ds_swizzle_b32 v72, v68 offset:swizzle(BROADCAST,32,15)
	;; [unrolled: 1-line block ×4, first 2 shown]
	v_and_b32_e32 v0, 16, v78
	s_mov_b32 s5, exec_lo
	s_delay_alu instid0(VALU_DEP_1)
	v_cmpx_ne_u32_e32 0, v0
	s_cbranch_execz .LBB161_12
; %bb.11:                               ;   in Loop: Header=BB161_1 Depth=1
	s_waitcnt lgkmcnt(0)
	v_add_f64 v[69:70], v[69:70], v[73:74]
	v_add_f64 v[67:68], v[67:68], v[71:72]
.LBB161_12:                             ;   in Loop: Header=BB161_1 Depth=1
	s_or_b32 exec_lo, exec_lo, s5
	v_add_nc_u32_e32 v0, -1, v78
	s_delay_alu instid0(VALU_DEP_1) | instskip(NEXT) | instid1(VALU_DEP_1)
	v_cmp_gt_i32_e64 s2, 0, v0
	v_cndmask_b32_e64 v0, v0, v78, s2
	s_delay_alu instid0(VALU_DEP_1)
	v_lshlrev_b32_e32 v0, 2, v0
	ds_bpermute_b32 v67, v0, v67
	ds_bpermute_b32 v69, v0, v69
	;; [unrolled: 1-line block ×4, first 2 shown]
	s_waitcnt lgkmcnt(1)
	v_add_f64 v[59:60], v[59:60], v[69:70]
	s_waitcnt lgkmcnt(0)
	v_add_f64 v[57:58], v[57:58], v[67:68]
	s_delay_alu instid0(VALU_DEP_2) | instskip(NEXT) | instid1(VALU_DEP_2)
	v_cndmask_b32_e64 v60, v60, v66, s0
	v_cndmask_b32_e64 v58, v58, v64, s0
	s_delay_alu instid0(VALU_DEP_3) | instskip(SKIP_1) | instid1(VALU_DEP_2)
	v_cndmask_b32_e64 v57, v57, v63, s0
	v_cndmask_b32_e64 v59, v59, v65, s0
	v_add_f64 v[29:30], v[29:30], v[57:58]
	s_delay_alu instid0(VALU_DEP_2) | instskip(NEXT) | instid1(VALU_DEP_2)
	v_add_f64 v[31:32], v[31:32], v[59:60]
	v_add_f64 v[33:34], v[33:34], v[29:30]
	s_delay_alu instid0(VALU_DEP_2) | instskip(NEXT) | instid1(VALU_DEP_2)
	v_add_f64 v[35:36], v[35:36], v[31:32]
	;; [unrolled: 3-line block ×6, first 2 shown]
	v_add_f64 v[53:54], v[53:54], v[49:50]
	s_delay_alu instid0(VALU_DEP_2)
	v_add_f64 v[55:56], v[55:56], v[51:52]
	ds_store_2addr_b64 v76, v[57:58], v[59:60] offset1:1
	ds_store_2addr_b64 v76, v[29:30], v[31:32] offset0:2 offset1:3
	ds_store_2addr_b64 v76, v[33:34], v[35:36] offset0:4 offset1:5
	;; [unrolled: 1-line block ×7, first 2 shown]
.LBB161_13:                             ;   in Loop: Header=BB161_1 Depth=1
	s_or_b32 exec_lo, exec_lo, s4
	v_dual_mov_b32 v34, s9 :: v_dual_mov_b32 v33, s8
	v_dual_mov_b32 v36, s11 :: v_dual_mov_b32 v35, s10
	s_waitcnt lgkmcnt(0)
	s_barrier
	buffer_gl0_inv
	s_and_saveexec_b32 s2, s1
	s_cbranch_execz .LBB161_15
; %bb.14:                               ;   in Loop: Header=BB161_1 Depth=1
	ds_load_2addr_b64 v[29:32], v77 offset1:1
	s_waitcnt lgkmcnt(0)
	v_add_f64 v[33:34], s[8:9], v[29:30]
	v_add_f64 v[35:36], s[10:11], v[31:32]
.LBB161_15:                             ;   in Loop: Header=BB161_1 Depth=1
	s_or_b32 exec_lo, exec_lo, s2
	s_delay_alu instid0(VALU_DEP_2) | instskip(NEXT) | instid1(VALU_DEP_2)
	v_add_f64 v[41:42], v[13:14], v[33:34]
	v_add_f64 v[43:44], v[15:16], v[35:36]
	s_add_i32 s3, s3, -1
	s_delay_alu instid0(SALU_CYCLE_1) | instskip(NEXT) | instid1(VALU_DEP_2)
	s_cmp_lg_u32 s3, 0
	v_add_f64 v[37:38], v[9:10], v[41:42]
	s_delay_alu instid0(VALU_DEP_2) | instskip(NEXT) | instid1(VALU_DEP_2)
	v_add_f64 v[39:40], v[11:12], v[43:44]
	v_add_f64 v[12:13], v[5:6], v[37:38]
	s_delay_alu instid0(VALU_DEP_2) | instskip(NEXT) | instid1(VALU_DEP_2)
	v_add_f64 v[14:15], v[7:8], v[39:40]
	v_add_f64 v[8:9], v[1:2], v[12:13]
	s_delay_alu instid0(VALU_DEP_2) | instskip(NEXT) | instid1(VALU_DEP_2)
	v_add_f64 v[10:11], v[3:4], v[14:15]
	v_add_f64 v[4:5], v[25:26], v[8:9]
	s_delay_alu instid0(VALU_DEP_2) | instskip(NEXT) | instid1(VALU_DEP_2)
	v_add_f64 v[6:7], v[27:28], v[10:11]
	v_add_f64 v[0:1], v[21:22], v[4:5]
	s_delay_alu instid0(VALU_DEP_2) | instskip(NEXT) | instid1(VALU_DEP_2)
	v_add_f64 v[2:3], v[23:24], v[6:7]
	v_add_f64 v[29:30], v[17:18], v[0:1]
	s_delay_alu instid0(VALU_DEP_2)
	v_add_f64 v[31:32], v[19:20], v[2:3]
	s_cbranch_scc0 .LBB161_17
; %bb.16:                               ;   in Loop: Header=BB161_1 Depth=1
	v_dual_mov_b32 v20, v3 :: v_dual_mov_b32 v19, v2
	v_dual_mov_b32 v18, v1 :: v_dual_mov_b32 v17, v0
	;; [unrolled: 1-line block ×14, first 2 shown]
	s_branch .LBB161_1
.LBB161_17:
	v_add_co_u32 v16, vcc_lo, s6, v61
	v_add_co_ci_u32_e32 v17, vcc_lo, s7, v62, vcc_lo
	s_clause 0x7
	global_store_b128 v[16:17], v[33:36], off
	global_store_b128 v[16:17], v[41:44], off offset:16
	global_store_b128 v[16:17], v[37:40], off offset:32
	;; [unrolled: 1-line block ×7, first 2 shown]
	s_nop 0
	s_sendmsg sendmsg(MSG_DEALLOC_VGPRS)
	s_endpgm
	.section	.rodata,"a",@progbits
	.p2align	6, 0x0
	.amdhsa_kernel _Z6kernelI14exclusive_scanILN6hipcub18BlockScanAlgorithmE1EEN15benchmark_utils11custom_typeIddEELj256ELj8ELj100EEvPKT0_PS7_S7_
		.amdhsa_group_segment_fixed_size 4224
		.amdhsa_private_segment_fixed_size 0
		.amdhsa_kernarg_size 288
		.amdhsa_user_sgpr_count 15
		.amdhsa_user_sgpr_dispatch_ptr 0
		.amdhsa_user_sgpr_queue_ptr 0
		.amdhsa_user_sgpr_kernarg_segment_ptr 1
		.amdhsa_user_sgpr_dispatch_id 0
		.amdhsa_user_sgpr_private_segment_size 0
		.amdhsa_wavefront_size32 1
		.amdhsa_uses_dynamic_stack 0
		.amdhsa_enable_private_segment 0
		.amdhsa_system_sgpr_workgroup_id_x 1
		.amdhsa_system_sgpr_workgroup_id_y 0
		.amdhsa_system_sgpr_workgroup_id_z 0
		.amdhsa_system_sgpr_workgroup_info 0
		.amdhsa_system_vgpr_workitem_id 0
		.amdhsa_next_free_vgpr 79
		.amdhsa_next_free_sgpr 16
		.amdhsa_reserve_vcc 1
		.amdhsa_float_round_mode_32 0
		.amdhsa_float_round_mode_16_64 0
		.amdhsa_float_denorm_mode_32 3
		.amdhsa_float_denorm_mode_16_64 3
		.amdhsa_dx10_clamp 1
		.amdhsa_ieee_mode 1
		.amdhsa_fp16_overflow 0
		.amdhsa_workgroup_processor_mode 1
		.amdhsa_memory_ordered 1
		.amdhsa_forward_progress 0
		.amdhsa_shared_vgpr_count 0
		.amdhsa_exception_fp_ieee_invalid_op 0
		.amdhsa_exception_fp_denorm_src 0
		.amdhsa_exception_fp_ieee_div_zero 0
		.amdhsa_exception_fp_ieee_overflow 0
		.amdhsa_exception_fp_ieee_underflow 0
		.amdhsa_exception_fp_ieee_inexact 0
		.amdhsa_exception_int_div_zero 0
	.end_amdhsa_kernel
	.section	.text._Z6kernelI14exclusive_scanILN6hipcub18BlockScanAlgorithmE1EEN15benchmark_utils11custom_typeIddEELj256ELj8ELj100EEvPKT0_PS7_S7_,"axG",@progbits,_Z6kernelI14exclusive_scanILN6hipcub18BlockScanAlgorithmE1EEN15benchmark_utils11custom_typeIddEELj256ELj8ELj100EEvPKT0_PS7_S7_,comdat
.Lfunc_end161:
	.size	_Z6kernelI14exclusive_scanILN6hipcub18BlockScanAlgorithmE1EEN15benchmark_utils11custom_typeIddEELj256ELj8ELj100EEvPKT0_PS7_S7_, .Lfunc_end161-_Z6kernelI14exclusive_scanILN6hipcub18BlockScanAlgorithmE1EEN15benchmark_utils11custom_typeIddEELj256ELj8ELj100EEvPKT0_PS7_S7_
                                        ; -- End function
	.section	.AMDGPU.csdata,"",@progbits
; Kernel info:
; codeLenInByte = 1764
; NumSgprs: 18
; NumVgprs: 79
; ScratchSize: 0
; MemoryBound: 1
; FloatMode: 240
; IeeeMode: 1
; LDSByteSize: 4224 bytes/workgroup (compile time only)
; SGPRBlocks: 2
; VGPRBlocks: 9
; NumSGPRsForWavesPerEU: 18
; NumVGPRsForWavesPerEU: 79
; Occupancy: 16
; WaveLimiterHint : 0
; COMPUTE_PGM_RSRC2:SCRATCH_EN: 0
; COMPUTE_PGM_RSRC2:USER_SGPR: 15
; COMPUTE_PGM_RSRC2:TRAP_HANDLER: 0
; COMPUTE_PGM_RSRC2:TGID_X_EN: 1
; COMPUTE_PGM_RSRC2:TGID_Y_EN: 0
; COMPUTE_PGM_RSRC2:TGID_Z_EN: 0
; COMPUTE_PGM_RSRC2:TIDIG_COMP_CNT: 0
	.section	.text._Z6kernelI14exclusive_scanILN6hipcub18BlockScanAlgorithmE0EEiLj64ELj1ELj100EEvPKT0_PS4_S4_,"axG",@progbits,_Z6kernelI14exclusive_scanILN6hipcub18BlockScanAlgorithmE0EEiLj64ELj1ELj100EEvPKT0_PS4_S4_,comdat
	.protected	_Z6kernelI14exclusive_scanILN6hipcub18BlockScanAlgorithmE0EEiLj64ELj1ELj100EEvPKT0_PS4_S4_ ; -- Begin function _Z6kernelI14exclusive_scanILN6hipcub18BlockScanAlgorithmE0EEiLj64ELj1ELj100EEvPKT0_PS4_S4_
	.globl	_Z6kernelI14exclusive_scanILN6hipcub18BlockScanAlgorithmE0EEiLj64ELj1ELj100EEvPKT0_PS4_S4_
	.p2align	8
	.type	_Z6kernelI14exclusive_scanILN6hipcub18BlockScanAlgorithmE0EEiLj64ELj1ELj100EEvPKT0_PS4_S4_,@function
_Z6kernelI14exclusive_scanILN6hipcub18BlockScanAlgorithmE0EEiLj64ELj1ELj100EEvPKT0_PS4_S4_: ; @_Z6kernelI14exclusive_scanILN6hipcub18BlockScanAlgorithmE0EEiLj64ELj1ELj100EEvPKT0_PS4_S4_
; %bb.0:
	s_clause 0x1
	s_load_b32 s2, s[0:1], 0x24
	s_load_b128 s[8:11], s[0:1], 0x0
	v_mbcnt_lo_u32_b32 v5, -1, 0
	s_load_b32 s12, s[0:1], 0x10
	v_or_b32_e32 v7, 31, v0
	v_cmp_lt_u32_e64 s6, 31, v0
	s_delay_alu instid0(VALU_DEP_3) | instskip(SKIP_1) | instid1(VALU_DEP_4)
	v_add_nc_u32_e32 v8, -1, v5
	v_cmp_eq_u32_e64 s7, 0, v5
	v_cmp_eq_u32_e64 s4, v7, v0
	v_and_b32_e32 v7, 1, v5
	s_delay_alu instid0(VALU_DEP_4) | instskip(SKIP_2) | instid1(SALU_CYCLE_1)
	v_cmp_gt_i32_e64 s5, 0, v8
	s_waitcnt lgkmcnt(0)
	s_and_b32 s2, s2, 0xffff
	v_mad_u64_u32 v[1:2], null, s15, s2, v[0:1]
	v_mov_b32_e32 v2, 0
	s_delay_alu instid0(VALU_DEP_1) | instskip(NEXT) | instid1(VALU_DEP_1)
	v_lshlrev_b64 v[1:2], 2, v[1:2]
	v_add_co_u32 v3, vcc_lo, s8, v1
	s_delay_alu instid0(VALU_DEP_2)
	v_add_co_ci_u32_e32 v4, vcc_lo, s9, v2, vcc_lo
	v_cmp_eq_u32_e64 s8, 0, v7
	s_movk_i32 s9, 0x64
	global_load_b32 v6, v[3:4], off
	v_and_b32_e32 v3, 15, v5
	v_and_b32_e32 v4, 16, v5
	s_delay_alu instid0(VALU_DEP_2)
	v_cmp_eq_u32_e32 vcc_lo, 0, v3
	v_cmp_lt_u32_e64 s0, 1, v3
	v_cmp_lt_u32_e64 s1, 3, v3
	;; [unrolled: 1-line block ×3, first 2 shown]
	v_lshrrev_b32_e32 v3, 3, v0
	v_cmp_eq_u32_e64 s3, 0, v4
	v_cndmask_b32_e64 v4, v8, v5, s5
	v_cmp_gt_u32_e64 s5, 2, v0
	v_lshlrev_b32_e32 v0, 2, v0
	v_and_b32_e32 v3, 4, v3
	s_delay_alu instid0(VALU_DEP_4) | instskip(NEXT) | instid1(VALU_DEP_2)
	v_lshlrev_b32_e32 v4, 2, v4
	v_add_nc_u32_e32 v5, -4, v3
	s_branch .LBB162_2
.LBB162_1:                              ;   in Loop: Header=BB162_2 Depth=1
	s_or_b32 exec_lo, exec_lo, s13
	s_delay_alu instid0(VALU_DEP_1) | instskip(SKIP_1) | instid1(SALU_CYCLE_1)
	v_add_nc_u32_e32 v6, v7, v6
	s_add_i32 s9, s9, -1
	s_cmp_lg_u32 s9, 0
	ds_bpermute_b32 v6, v4, v6
	s_waitcnt lgkmcnt(0)
	v_cndmask_b32_e64 v6, v6, v7, s7
	s_cbranch_scc0 .LBB162_8
.LBB162_2:                              ; =>This Inner Loop Header: Depth=1
	s_waitcnt vmcnt(0)
	s_delay_alu instid0(VALU_DEP_1) | instskip(NEXT) | instid1(VALU_DEP_1)
	v_mov_b32_dpp v7, v6 row_shr:1 row_mask:0xf bank_mask:0xf
	v_cndmask_b32_e64 v7, v7, 0, vcc_lo
	s_delay_alu instid0(VALU_DEP_1) | instskip(NEXT) | instid1(VALU_DEP_1)
	v_add_nc_u32_e32 v6, v7, v6
	v_mov_b32_dpp v7, v6 row_shr:2 row_mask:0xf bank_mask:0xf
	s_delay_alu instid0(VALU_DEP_1) | instskip(NEXT) | instid1(VALU_DEP_1)
	v_cndmask_b32_e64 v7, 0, v7, s0
	v_add_nc_u32_e32 v6, v6, v7
	s_delay_alu instid0(VALU_DEP_1) | instskip(NEXT) | instid1(VALU_DEP_1)
	v_mov_b32_dpp v7, v6 row_shr:4 row_mask:0xf bank_mask:0xf
	v_cndmask_b32_e64 v7, 0, v7, s1
	s_delay_alu instid0(VALU_DEP_1) | instskip(NEXT) | instid1(VALU_DEP_1)
	v_add_nc_u32_e32 v6, v6, v7
	v_mov_b32_dpp v7, v6 row_shr:8 row_mask:0xf bank_mask:0xf
	s_delay_alu instid0(VALU_DEP_1) | instskip(NEXT) | instid1(VALU_DEP_1)
	v_cndmask_b32_e64 v7, 0, v7, s2
	v_add_nc_u32_e32 v6, v6, v7
	ds_swizzle_b32 v7, v6 offset:swizzle(BROADCAST,32,15)
	s_waitcnt lgkmcnt(0)
	v_cndmask_b32_e64 v7, v7, 0, s3
	s_delay_alu instid0(VALU_DEP_1)
	v_add_nc_u32_e32 v6, v6, v7
	s_and_saveexec_b32 s13, s4
	s_cbranch_execz .LBB162_4
; %bb.3:                                ;   in Loop: Header=BB162_2 Depth=1
	ds_store_b32 v3, v6
.LBB162_4:                              ;   in Loop: Header=BB162_2 Depth=1
	s_or_b32 exec_lo, exec_lo, s13
	s_waitcnt lgkmcnt(0)
	s_barrier
	buffer_gl0_inv
	s_and_saveexec_b32 s13, s5
	s_cbranch_execz .LBB162_6
; %bb.5:                                ;   in Loop: Header=BB162_2 Depth=1
	ds_load_b32 v7, v0
	s_waitcnt lgkmcnt(0)
	v_mov_b32_dpp v8, v7 row_shr:1 row_mask:0xf bank_mask:0xf
	s_delay_alu instid0(VALU_DEP_1) | instskip(NEXT) | instid1(VALU_DEP_1)
	v_cndmask_b32_e64 v8, v8, 0, s8
	v_add_nc_u32_e32 v7, v8, v7
	ds_store_b32 v0, v7
.LBB162_6:                              ;   in Loop: Header=BB162_2 Depth=1
	s_or_b32 exec_lo, exec_lo, s13
	v_mov_b32_e32 v7, s12
	s_waitcnt lgkmcnt(0)
	s_barrier
	buffer_gl0_inv
	s_and_saveexec_b32 s13, s6
	s_cbranch_execz .LBB162_1
; %bb.7:                                ;   in Loop: Header=BB162_2 Depth=1
	ds_load_b32 v7, v5
	s_waitcnt lgkmcnt(0)
	v_add_nc_u32_e32 v7, s12, v7
	s_branch .LBB162_1
.LBB162_8:
	v_add_co_u32 v0, vcc_lo, s10, v1
	v_add_co_ci_u32_e32 v1, vcc_lo, s11, v2, vcc_lo
	global_store_b32 v[0:1], v6, off
	s_nop 0
	s_sendmsg sendmsg(MSG_DEALLOC_VGPRS)
	s_endpgm
	.section	.rodata,"a",@progbits
	.p2align	6, 0x0
	.amdhsa_kernel _Z6kernelI14exclusive_scanILN6hipcub18BlockScanAlgorithmE0EEiLj64ELj1ELj100EEvPKT0_PS4_S4_
		.amdhsa_group_segment_fixed_size 8
		.amdhsa_private_segment_fixed_size 0
		.amdhsa_kernarg_size 280
		.amdhsa_user_sgpr_count 15
		.amdhsa_user_sgpr_dispatch_ptr 0
		.amdhsa_user_sgpr_queue_ptr 0
		.amdhsa_user_sgpr_kernarg_segment_ptr 1
		.amdhsa_user_sgpr_dispatch_id 0
		.amdhsa_user_sgpr_private_segment_size 0
		.amdhsa_wavefront_size32 1
		.amdhsa_uses_dynamic_stack 0
		.amdhsa_enable_private_segment 0
		.amdhsa_system_sgpr_workgroup_id_x 1
		.amdhsa_system_sgpr_workgroup_id_y 0
		.amdhsa_system_sgpr_workgroup_id_z 0
		.amdhsa_system_sgpr_workgroup_info 0
		.amdhsa_system_vgpr_workitem_id 0
		.amdhsa_next_free_vgpr 9
		.amdhsa_next_free_sgpr 16
		.amdhsa_reserve_vcc 1
		.amdhsa_float_round_mode_32 0
		.amdhsa_float_round_mode_16_64 0
		.amdhsa_float_denorm_mode_32 3
		.amdhsa_float_denorm_mode_16_64 3
		.amdhsa_dx10_clamp 1
		.amdhsa_ieee_mode 1
		.amdhsa_fp16_overflow 0
		.amdhsa_workgroup_processor_mode 1
		.amdhsa_memory_ordered 1
		.amdhsa_forward_progress 0
		.amdhsa_shared_vgpr_count 0
		.amdhsa_exception_fp_ieee_invalid_op 0
		.amdhsa_exception_fp_denorm_src 0
		.amdhsa_exception_fp_ieee_div_zero 0
		.amdhsa_exception_fp_ieee_overflow 0
		.amdhsa_exception_fp_ieee_underflow 0
		.amdhsa_exception_fp_ieee_inexact 0
		.amdhsa_exception_int_div_zero 0
	.end_amdhsa_kernel
	.section	.text._Z6kernelI14exclusive_scanILN6hipcub18BlockScanAlgorithmE0EEiLj64ELj1ELj100EEvPKT0_PS4_S4_,"axG",@progbits,_Z6kernelI14exclusive_scanILN6hipcub18BlockScanAlgorithmE0EEiLj64ELj1ELj100EEvPKT0_PS4_S4_,comdat
.Lfunc_end162:
	.size	_Z6kernelI14exclusive_scanILN6hipcub18BlockScanAlgorithmE0EEiLj64ELj1ELj100EEvPKT0_PS4_S4_, .Lfunc_end162-_Z6kernelI14exclusive_scanILN6hipcub18BlockScanAlgorithmE0EEiLj64ELj1ELj100EEvPKT0_PS4_S4_
                                        ; -- End function
	.section	.AMDGPU.csdata,"",@progbits
; Kernel info:
; codeLenInByte = 604
; NumSgprs: 18
; NumVgprs: 9
; ScratchSize: 0
; MemoryBound: 0
; FloatMode: 240
; IeeeMode: 1
; LDSByteSize: 8 bytes/workgroup (compile time only)
; SGPRBlocks: 2
; VGPRBlocks: 1
; NumSGPRsForWavesPerEU: 18
; NumVGPRsForWavesPerEU: 9
; Occupancy: 16
; WaveLimiterHint : 0
; COMPUTE_PGM_RSRC2:SCRATCH_EN: 0
; COMPUTE_PGM_RSRC2:USER_SGPR: 15
; COMPUTE_PGM_RSRC2:TRAP_HANDLER: 0
; COMPUTE_PGM_RSRC2:TGID_X_EN: 1
; COMPUTE_PGM_RSRC2:TGID_Y_EN: 0
; COMPUTE_PGM_RSRC2:TGID_Z_EN: 0
; COMPUTE_PGM_RSRC2:TIDIG_COMP_CNT: 0
	.section	.text._Z6kernelI14exclusive_scanILN6hipcub18BlockScanAlgorithmE0EEiLj64ELj3ELj100EEvPKT0_PS4_S4_,"axG",@progbits,_Z6kernelI14exclusive_scanILN6hipcub18BlockScanAlgorithmE0EEiLj64ELj3ELj100EEvPKT0_PS4_S4_,comdat
	.protected	_Z6kernelI14exclusive_scanILN6hipcub18BlockScanAlgorithmE0EEiLj64ELj3ELj100EEvPKT0_PS4_S4_ ; -- Begin function _Z6kernelI14exclusive_scanILN6hipcub18BlockScanAlgorithmE0EEiLj64ELj3ELj100EEvPKT0_PS4_S4_
	.globl	_Z6kernelI14exclusive_scanILN6hipcub18BlockScanAlgorithmE0EEiLj64ELj3ELj100EEvPKT0_PS4_S4_
	.p2align	8
	.type	_Z6kernelI14exclusive_scanILN6hipcub18BlockScanAlgorithmE0EEiLj64ELj3ELj100EEvPKT0_PS4_S4_,@function
_Z6kernelI14exclusive_scanILN6hipcub18BlockScanAlgorithmE0EEiLj64ELj3ELj100EEvPKT0_PS4_S4_: ; @_Z6kernelI14exclusive_scanILN6hipcub18BlockScanAlgorithmE0EEiLj64ELj3ELj100EEvPKT0_PS4_S4_
; %bb.0:
	s_clause 0x2
	s_load_b32 s2, s[0:1], 0x24
	s_load_b32 s12, s[0:1], 0x10
	s_load_b128 s[8:11], s[0:1], 0x0
	v_or_b32_e32 v14, 31, v0
	v_cmp_gt_u32_e64 s5, 2, v0
	v_cmp_lt_u32_e64 s6, 31, v0
	s_movk_i32 s13, 0x64
	s_waitcnt lgkmcnt(0)
	s_and_b32 s2, s2, 0xffff
	s_delay_alu instid0(SALU_CYCLE_1) | instskip(NEXT) | instid1(VALU_DEP_1)
	v_mad_u64_u32 v[1:2], null, s15, s2, v[0:1]
	v_lshl_add_u32 v3, v1, 1, v1
	s_delay_alu instid0(VALU_DEP_1) | instskip(NEXT) | instid1(VALU_DEP_1)
	v_dual_mov_b32 v4, 0 :: v_dual_add_nc_u32 v5, 1, v3
	v_mov_b32_e32 v6, v4
	v_lshlrev_b64 v[1:2], 2, v[3:4]
	v_add_nc_u32_e32 v3, 2, v3
	s_delay_alu instid0(VALU_DEP_3) | instskip(NEXT) | instid1(VALU_DEP_2)
	v_lshlrev_b64 v[5:6], 2, v[5:6]
	v_lshlrev_b64 v[3:4], 2, v[3:4]
	s_delay_alu instid0(VALU_DEP_4) | instskip(SKIP_1) | instid1(VALU_DEP_4)
	v_add_co_u32 v7, vcc_lo, s8, v1
	v_add_co_ci_u32_e32 v8, vcc_lo, s9, v2, vcc_lo
	v_add_co_u32 v9, vcc_lo, s8, v5
	v_add_co_ci_u32_e32 v10, vcc_lo, s9, v6, vcc_lo
	;; [unrolled: 2-line block ×3, first 2 shown]
	s_clause 0x2
	global_load_b32 v7, v[7:8], off
	global_load_b32 v8, v[9:10], off
	;; [unrolled: 1-line block ×3, first 2 shown]
	v_mbcnt_lo_u32_b32 v11, -1, 0
	v_cmp_eq_u32_e64 s8, 0, v0
	s_delay_alu instid0(VALU_DEP_2) | instskip(SKIP_3) | instid1(VALU_DEP_4)
	v_and_b32_e32 v10, 16, v11
	v_add_nc_u32_e32 v13, -1, v11
	v_and_b32_e32 v9, 15, v11
	v_cmp_eq_u32_e64 s7, 0, v11
	v_cmp_eq_u32_e64 s3, 0, v10
	s_delay_alu instid0(VALU_DEP_4)
	v_cmp_gt_i32_e64 s4, 0, v13
	v_lshrrev_b32_e32 v10, 3, v0
	v_cmp_eq_u32_e32 vcc_lo, 0, v9
	v_cmp_lt_u32_e64 s0, 1, v9
	v_cmp_lt_u32_e64 s1, 3, v9
	;; [unrolled: 1-line block ×3, first 2 shown]
	v_cndmask_b32_e64 v9, v13, v11, s4
	v_and_b32_e32 v13, 1, v11
	v_and_b32_e32 v10, 4, v10
	v_cmp_eq_u32_e64 s4, v14, v0
	v_lshlrev_b32_e32 v0, 2, v0
	v_lshlrev_b32_e32 v9, 2, v9
	v_cmp_eq_u32_e64 s9, 0, v13
	v_add_nc_u32_e32 v11, -4, v10
.LBB163_1:                              ; =>This Inner Loop Header: Depth=1
	s_waitcnt vmcnt(0)
	s_delay_alu instid0(VALU_DEP_1) | instskip(NEXT) | instid1(VALU_DEP_1)
	v_add3_u32 v12, v8, v7, v12
	v_mov_b32_dpp v13, v12 row_shr:1 row_mask:0xf bank_mask:0xf
	s_delay_alu instid0(VALU_DEP_1) | instskip(NEXT) | instid1(VALU_DEP_1)
	v_cndmask_b32_e64 v13, v13, 0, vcc_lo
	v_add_nc_u32_e32 v12, v12, v13
	s_delay_alu instid0(VALU_DEP_1) | instskip(NEXT) | instid1(VALU_DEP_1)
	v_mov_b32_dpp v13, v12 row_shr:2 row_mask:0xf bank_mask:0xf
	v_cndmask_b32_e64 v13, 0, v13, s0
	s_delay_alu instid0(VALU_DEP_1) | instskip(NEXT) | instid1(VALU_DEP_1)
	v_add_nc_u32_e32 v12, v12, v13
	v_mov_b32_dpp v13, v12 row_shr:4 row_mask:0xf bank_mask:0xf
	s_delay_alu instid0(VALU_DEP_1) | instskip(NEXT) | instid1(VALU_DEP_1)
	v_cndmask_b32_e64 v13, 0, v13, s1
	v_add_nc_u32_e32 v12, v12, v13
	s_delay_alu instid0(VALU_DEP_1) | instskip(NEXT) | instid1(VALU_DEP_1)
	v_mov_b32_dpp v13, v12 row_shr:8 row_mask:0xf bank_mask:0xf
	v_cndmask_b32_e64 v13, 0, v13, s2
	s_delay_alu instid0(VALU_DEP_1) | instskip(SKIP_3) | instid1(VALU_DEP_1)
	v_add_nc_u32_e32 v12, v12, v13
	ds_swizzle_b32 v13, v12 offset:swizzle(BROADCAST,32,15)
	s_waitcnt lgkmcnt(0)
	v_cndmask_b32_e64 v13, v13, 0, s3
	v_add_nc_u32_e32 v12, v12, v13
	s_and_saveexec_b32 s14, s4
	s_cbranch_execz .LBB163_3
; %bb.2:                                ;   in Loop: Header=BB163_1 Depth=1
	ds_store_b32 v10, v12
.LBB163_3:                              ;   in Loop: Header=BB163_1 Depth=1
	s_or_b32 exec_lo, exec_lo, s14
	s_waitcnt lgkmcnt(0)
	s_barrier
	buffer_gl0_inv
	s_and_saveexec_b32 s14, s5
	s_cbranch_execz .LBB163_5
; %bb.4:                                ;   in Loop: Header=BB163_1 Depth=1
	ds_load_b32 v13, v0
	s_waitcnt lgkmcnt(0)
	v_mov_b32_dpp v14, v13 row_shr:1 row_mask:0xf bank_mask:0xf
	s_delay_alu instid0(VALU_DEP_1) | instskip(NEXT) | instid1(VALU_DEP_1)
	v_cndmask_b32_e64 v14, v14, 0, s9
	v_add_nc_u32_e32 v13, v14, v13
	ds_store_b32 v0, v13
.LBB163_5:                              ;   in Loop: Header=BB163_1 Depth=1
	s_or_b32 exec_lo, exec_lo, s14
	v_mov_b32_e32 v13, s12
	s_waitcnt lgkmcnt(0)
	s_barrier
	buffer_gl0_inv
	s_and_saveexec_b32 s14, s6
	s_cbranch_execz .LBB163_7
; %bb.6:                                ;   in Loop: Header=BB163_1 Depth=1
	ds_load_b32 v13, v11
	s_waitcnt lgkmcnt(0)
	v_add_nc_u32_e32 v13, s12, v13
.LBB163_7:                              ;   in Loop: Header=BB163_1 Depth=1
	s_or_b32 exec_lo, exec_lo, s14
	s_delay_alu instid0(VALU_DEP_1) | instskip(SKIP_1) | instid1(SALU_CYCLE_1)
	v_add_nc_u32_e32 v12, v13, v12
	s_add_i32 s13, s13, -1
	s_cmp_lg_u32 s13, 0
	ds_bpermute_b32 v12, v9, v12
	s_waitcnt lgkmcnt(0)
	v_cndmask_b32_e64 v12, v12, v13, s7
	s_delay_alu instid0(VALU_DEP_1) | instskip(NEXT) | instid1(VALU_DEP_1)
	v_cndmask_b32_e64 v14, v12, s12, s8
	v_add_nc_u32_e32 v13, v14, v7
	s_delay_alu instid0(VALU_DEP_1)
	v_add_nc_u32_e32 v12, v13, v8
	s_cbranch_scc0 .LBB163_9
; %bb.8:                                ;   in Loop: Header=BB163_1 Depth=1
	v_dual_mov_b32 v7, v14 :: v_dual_mov_b32 v8, v13
	s_branch .LBB163_1
.LBB163_9:
	v_add_co_u32 v0, vcc_lo, s10, v1
	v_add_co_ci_u32_e32 v1, vcc_lo, s11, v2, vcc_lo
	v_add_co_u32 v5, vcc_lo, s10, v5
	v_add_co_ci_u32_e32 v6, vcc_lo, s11, v6, vcc_lo
	;; [unrolled: 2-line block ×3, first 2 shown]
	s_clause 0x2
	global_store_b32 v[0:1], v14, off
	global_store_b32 v[5:6], v13, off
	;; [unrolled: 1-line block ×3, first 2 shown]
	s_nop 0
	s_sendmsg sendmsg(MSG_DEALLOC_VGPRS)
	s_endpgm
	.section	.rodata,"a",@progbits
	.p2align	6, 0x0
	.amdhsa_kernel _Z6kernelI14exclusive_scanILN6hipcub18BlockScanAlgorithmE0EEiLj64ELj3ELj100EEvPKT0_PS4_S4_
		.amdhsa_group_segment_fixed_size 8
		.amdhsa_private_segment_fixed_size 0
		.amdhsa_kernarg_size 280
		.amdhsa_user_sgpr_count 15
		.amdhsa_user_sgpr_dispatch_ptr 0
		.amdhsa_user_sgpr_queue_ptr 0
		.amdhsa_user_sgpr_kernarg_segment_ptr 1
		.amdhsa_user_sgpr_dispatch_id 0
		.amdhsa_user_sgpr_private_segment_size 0
		.amdhsa_wavefront_size32 1
		.amdhsa_uses_dynamic_stack 0
		.amdhsa_enable_private_segment 0
		.amdhsa_system_sgpr_workgroup_id_x 1
		.amdhsa_system_sgpr_workgroup_id_y 0
		.amdhsa_system_sgpr_workgroup_id_z 0
		.amdhsa_system_sgpr_workgroup_info 0
		.amdhsa_system_vgpr_workitem_id 0
		.amdhsa_next_free_vgpr 15
		.amdhsa_next_free_sgpr 16
		.amdhsa_reserve_vcc 1
		.amdhsa_float_round_mode_32 0
		.amdhsa_float_round_mode_16_64 0
		.amdhsa_float_denorm_mode_32 3
		.amdhsa_float_denorm_mode_16_64 3
		.amdhsa_dx10_clamp 1
		.amdhsa_ieee_mode 1
		.amdhsa_fp16_overflow 0
		.amdhsa_workgroup_processor_mode 1
		.amdhsa_memory_ordered 1
		.amdhsa_forward_progress 0
		.amdhsa_shared_vgpr_count 0
		.amdhsa_exception_fp_ieee_invalid_op 0
		.amdhsa_exception_fp_denorm_src 0
		.amdhsa_exception_fp_ieee_div_zero 0
		.amdhsa_exception_fp_ieee_overflow 0
		.amdhsa_exception_fp_ieee_underflow 0
		.amdhsa_exception_fp_ieee_inexact 0
		.amdhsa_exception_int_div_zero 0
	.end_amdhsa_kernel
	.section	.text._Z6kernelI14exclusive_scanILN6hipcub18BlockScanAlgorithmE0EEiLj64ELj3ELj100EEvPKT0_PS4_S4_,"axG",@progbits,_Z6kernelI14exclusive_scanILN6hipcub18BlockScanAlgorithmE0EEiLj64ELj3ELj100EEvPKT0_PS4_S4_,comdat
.Lfunc_end163:
	.size	_Z6kernelI14exclusive_scanILN6hipcub18BlockScanAlgorithmE0EEiLj64ELj3ELj100EEvPKT0_PS4_S4_, .Lfunc_end163-_Z6kernelI14exclusive_scanILN6hipcub18BlockScanAlgorithmE0EEiLj64ELj3ELj100EEvPKT0_PS4_S4_
                                        ; -- End function
	.section	.AMDGPU.csdata,"",@progbits
; Kernel info:
; codeLenInByte = 772
; NumSgprs: 18
; NumVgprs: 15
; ScratchSize: 0
; MemoryBound: 0
; FloatMode: 240
; IeeeMode: 1
; LDSByteSize: 8 bytes/workgroup (compile time only)
; SGPRBlocks: 2
; VGPRBlocks: 1
; NumSGPRsForWavesPerEU: 18
; NumVGPRsForWavesPerEU: 15
; Occupancy: 16
; WaveLimiterHint : 0
; COMPUTE_PGM_RSRC2:SCRATCH_EN: 0
; COMPUTE_PGM_RSRC2:USER_SGPR: 15
; COMPUTE_PGM_RSRC2:TRAP_HANDLER: 0
; COMPUTE_PGM_RSRC2:TGID_X_EN: 1
; COMPUTE_PGM_RSRC2:TGID_Y_EN: 0
; COMPUTE_PGM_RSRC2:TGID_Z_EN: 0
; COMPUTE_PGM_RSRC2:TIDIG_COMP_CNT: 0
	.section	.text._Z6kernelI14exclusive_scanILN6hipcub18BlockScanAlgorithmE0EEiLj64ELj4ELj100EEvPKT0_PS4_S4_,"axG",@progbits,_Z6kernelI14exclusive_scanILN6hipcub18BlockScanAlgorithmE0EEiLj64ELj4ELj100EEvPKT0_PS4_S4_,comdat
	.protected	_Z6kernelI14exclusive_scanILN6hipcub18BlockScanAlgorithmE0EEiLj64ELj4ELj100EEvPKT0_PS4_S4_ ; -- Begin function _Z6kernelI14exclusive_scanILN6hipcub18BlockScanAlgorithmE0EEiLj64ELj4ELj100EEvPKT0_PS4_S4_
	.globl	_Z6kernelI14exclusive_scanILN6hipcub18BlockScanAlgorithmE0EEiLj64ELj4ELj100EEvPKT0_PS4_S4_
	.p2align	8
	.type	_Z6kernelI14exclusive_scanILN6hipcub18BlockScanAlgorithmE0EEiLj64ELj4ELj100EEvPKT0_PS4_S4_,@function
_Z6kernelI14exclusive_scanILN6hipcub18BlockScanAlgorithmE0EEiLj64ELj4ELj100EEvPKT0_PS4_S4_: ; @_Z6kernelI14exclusive_scanILN6hipcub18BlockScanAlgorithmE0EEiLj64ELj4ELj100EEvPKT0_PS4_S4_
; %bb.0:
	s_clause 0x1
	s_load_b32 s2, s[0:1], 0x24
	s_load_b128 s[8:11], s[0:1], 0x0
	v_mbcnt_lo_u32_b32 v5, -1, 0
	v_mov_b32_e32 v2, 0
	s_load_b32 s12, s[0:1], 0x10
	v_or_b32_e32 v11, 31, v0
	v_cmp_gt_u32_e64 s5, 2, v0
	v_and_b32_e32 v7, 16, v5
	v_add_nc_u32_e32 v10, -1, v5
	v_and_b32_e32 v6, 15, v5
	v_cmp_lt_u32_e64 s6, 31, v0
	v_cmp_eq_u32_e64 s7, 0, v5
	v_cmp_eq_u32_e64 s3, 0, v7
	v_cmp_gt_i32_e64 s4, 0, v10
	v_cmp_lt_u32_e64 s0, 1, v6
	v_cmp_lt_u32_e64 s1, 3, v6
	v_lshrrev_b32_e32 v7, 3, v0
	s_movk_i32 s13, 0x64
	s_waitcnt lgkmcnt(0)
	s_and_b32 s2, s2, 0xffff
	s_delay_alu instid0(SALU_CYCLE_1) | instskip(SKIP_2) | instid1(VALU_DEP_1)
	s_mul_i32 s15, s15, s2
	v_cmp_lt_u32_e64 s2, 7, v6
	v_add_lshl_u32 v1, s15, v0, 2
	v_lshlrev_b64 v[8:9], 2, v[1:2]
	s_delay_alu instid0(VALU_DEP_1) | instskip(NEXT) | instid1(VALU_DEP_2)
	v_add_co_u32 v1, vcc_lo, s8, v8
	v_add_co_ci_u32_e32 v2, vcc_lo, s9, v9, vcc_lo
	v_cmp_eq_u32_e32 vcc_lo, 0, v6
	v_cndmask_b32_e64 v6, v10, v5, s4
	v_cmp_eq_u32_e64 s4, v11, v0
	global_load_b128 v[1:4], v[1:2], off
	v_and_b32_e32 v11, 4, v7
	v_cmp_eq_u32_e64 s8, 0, v0
	v_lshlrev_b32_e32 v10, 2, v6
	v_and_b32_e32 v6, 1, v5
	v_lshlrev_b32_e32 v0, 2, v0
	v_add_nc_u32_e32 v12, -4, v11
	s_delay_alu instid0(VALU_DEP_3)
	v_cmp_eq_u32_e64 s9, 0, v6
.LBB164_1:                              ; =>This Inner Loop Header: Depth=1
	s_waitcnt vmcnt(0)
	s_delay_alu instid0(VALU_DEP_2) | instskip(NEXT) | instid1(VALU_DEP_1)
	v_add_nc_u32_e32 v5, v2, v1
	v_add3_u32 v4, v5, v3, v4
	s_delay_alu instid0(VALU_DEP_1) | instskip(NEXT) | instid1(VALU_DEP_1)
	v_mov_b32_dpp v5, v4 row_shr:1 row_mask:0xf bank_mask:0xf
	v_cndmask_b32_e64 v5, v5, 0, vcc_lo
	s_delay_alu instid0(VALU_DEP_1) | instskip(NEXT) | instid1(VALU_DEP_1)
	v_add_nc_u32_e32 v4, v4, v5
	v_mov_b32_dpp v5, v4 row_shr:2 row_mask:0xf bank_mask:0xf
	s_delay_alu instid0(VALU_DEP_1) | instskip(NEXT) | instid1(VALU_DEP_1)
	v_cndmask_b32_e64 v5, 0, v5, s0
	v_add_nc_u32_e32 v4, v4, v5
	s_delay_alu instid0(VALU_DEP_1) | instskip(NEXT) | instid1(VALU_DEP_1)
	v_mov_b32_dpp v5, v4 row_shr:4 row_mask:0xf bank_mask:0xf
	v_cndmask_b32_e64 v5, 0, v5, s1
	s_delay_alu instid0(VALU_DEP_1) | instskip(NEXT) | instid1(VALU_DEP_1)
	v_add_nc_u32_e32 v4, v4, v5
	v_mov_b32_dpp v5, v4 row_shr:8 row_mask:0xf bank_mask:0xf
	s_delay_alu instid0(VALU_DEP_1) | instskip(NEXT) | instid1(VALU_DEP_1)
	v_cndmask_b32_e64 v5, 0, v5, s2
	v_add_nc_u32_e32 v4, v4, v5
	ds_swizzle_b32 v5, v4 offset:swizzle(BROADCAST,32,15)
	s_waitcnt lgkmcnt(0)
	v_cndmask_b32_e64 v5, v5, 0, s3
	s_delay_alu instid0(VALU_DEP_1)
	v_add_nc_u32_e32 v4, v4, v5
	s_and_saveexec_b32 s14, s4
	s_cbranch_execz .LBB164_3
; %bb.2:                                ;   in Loop: Header=BB164_1 Depth=1
	ds_store_b32 v11, v4
.LBB164_3:                              ;   in Loop: Header=BB164_1 Depth=1
	s_or_b32 exec_lo, exec_lo, s14
	s_waitcnt lgkmcnt(0)
	s_barrier
	buffer_gl0_inv
	s_and_saveexec_b32 s14, s5
	s_cbranch_execz .LBB164_5
; %bb.4:                                ;   in Loop: Header=BB164_1 Depth=1
	ds_load_b32 v5, v0
	s_waitcnt lgkmcnt(0)
	v_mov_b32_dpp v6, v5 row_shr:1 row_mask:0xf bank_mask:0xf
	s_delay_alu instid0(VALU_DEP_1) | instskip(NEXT) | instid1(VALU_DEP_1)
	v_cndmask_b32_e64 v6, v6, 0, s9
	v_add_nc_u32_e32 v5, v6, v5
	ds_store_b32 v0, v5
.LBB164_5:                              ;   in Loop: Header=BB164_1 Depth=1
	s_or_b32 exec_lo, exec_lo, s14
	v_mov_b32_e32 v5, s12
	s_waitcnt lgkmcnt(0)
	s_barrier
	buffer_gl0_inv
	s_and_saveexec_b32 s14, s6
	s_cbranch_execz .LBB164_7
; %bb.6:                                ;   in Loop: Header=BB164_1 Depth=1
	ds_load_b32 v5, v12
	s_waitcnt lgkmcnt(0)
	v_add_nc_u32_e32 v5, s12, v5
.LBB164_7:                              ;   in Loop: Header=BB164_1 Depth=1
	s_or_b32 exec_lo, exec_lo, s14
	s_delay_alu instid0(VALU_DEP_1) | instskip(SKIP_1) | instid1(SALU_CYCLE_1)
	v_add_nc_u32_e32 v4, v5, v4
	s_add_i32 s13, s13, -1
	s_cmp_lg_u32 s13, 0
	ds_bpermute_b32 v4, v10, v4
	s_waitcnt lgkmcnt(0)
	v_cndmask_b32_e64 v4, v4, v5, s7
	s_delay_alu instid0(VALU_DEP_1) | instskip(NEXT) | instid1(VALU_DEP_1)
	v_cndmask_b32_e64 v5, v4, s12, s8
	v_add_nc_u32_e32 v6, v5, v1
	s_delay_alu instid0(VALU_DEP_1) | instskip(NEXT) | instid1(VALU_DEP_1)
	v_add_nc_u32_e32 v7, v6, v2
	v_add_nc_u32_e32 v4, v7, v3
	s_cbranch_scc0 .LBB164_9
; %bb.8:                                ;   in Loop: Header=BB164_1 Depth=1
	v_dual_mov_b32 v1, v5 :: v_dual_mov_b32 v2, v6
	v_mov_b32_e32 v3, v7
	s_branch .LBB164_1
.LBB164_9:
	v_add_co_u32 v0, vcc_lo, s10, v8
	v_add_co_ci_u32_e32 v1, vcc_lo, s11, v9, vcc_lo
	s_delay_alu instid0(VALU_DEP_3)
	v_mov_b32_e32 v8, v4
	global_store_b128 v[0:1], v[5:8], off
	s_nop 0
	s_sendmsg sendmsg(MSG_DEALLOC_VGPRS)
	s_endpgm
	.section	.rodata,"a",@progbits
	.p2align	6, 0x0
	.amdhsa_kernel _Z6kernelI14exclusive_scanILN6hipcub18BlockScanAlgorithmE0EEiLj64ELj4ELj100EEvPKT0_PS4_S4_
		.amdhsa_group_segment_fixed_size 8
		.amdhsa_private_segment_fixed_size 0
		.amdhsa_kernarg_size 280
		.amdhsa_user_sgpr_count 15
		.amdhsa_user_sgpr_dispatch_ptr 0
		.amdhsa_user_sgpr_queue_ptr 0
		.amdhsa_user_sgpr_kernarg_segment_ptr 1
		.amdhsa_user_sgpr_dispatch_id 0
		.amdhsa_user_sgpr_private_segment_size 0
		.amdhsa_wavefront_size32 1
		.amdhsa_uses_dynamic_stack 0
		.amdhsa_enable_private_segment 0
		.amdhsa_system_sgpr_workgroup_id_x 1
		.amdhsa_system_sgpr_workgroup_id_y 0
		.amdhsa_system_sgpr_workgroup_id_z 0
		.amdhsa_system_sgpr_workgroup_info 0
		.amdhsa_system_vgpr_workitem_id 0
		.amdhsa_next_free_vgpr 13
		.amdhsa_next_free_sgpr 16
		.amdhsa_reserve_vcc 1
		.amdhsa_float_round_mode_32 0
		.amdhsa_float_round_mode_16_64 0
		.amdhsa_float_denorm_mode_32 3
		.amdhsa_float_denorm_mode_16_64 3
		.amdhsa_dx10_clamp 1
		.amdhsa_ieee_mode 1
		.amdhsa_fp16_overflow 0
		.amdhsa_workgroup_processor_mode 1
		.amdhsa_memory_ordered 1
		.amdhsa_forward_progress 0
		.amdhsa_shared_vgpr_count 0
		.amdhsa_exception_fp_ieee_invalid_op 0
		.amdhsa_exception_fp_denorm_src 0
		.amdhsa_exception_fp_ieee_div_zero 0
		.amdhsa_exception_fp_ieee_overflow 0
		.amdhsa_exception_fp_ieee_underflow 0
		.amdhsa_exception_fp_ieee_inexact 0
		.amdhsa_exception_int_div_zero 0
	.end_amdhsa_kernel
	.section	.text._Z6kernelI14exclusive_scanILN6hipcub18BlockScanAlgorithmE0EEiLj64ELj4ELj100EEvPKT0_PS4_S4_,"axG",@progbits,_Z6kernelI14exclusive_scanILN6hipcub18BlockScanAlgorithmE0EEiLj64ELj4ELj100EEvPKT0_PS4_S4_,comdat
.Lfunc_end164:
	.size	_Z6kernelI14exclusive_scanILN6hipcub18BlockScanAlgorithmE0EEiLj64ELj4ELj100EEvPKT0_PS4_S4_, .Lfunc_end164-_Z6kernelI14exclusive_scanILN6hipcub18BlockScanAlgorithmE0EEiLj64ELj4ELj100EEvPKT0_PS4_S4_
                                        ; -- End function
	.section	.AMDGPU.csdata,"",@progbits
; Kernel info:
; codeLenInByte = 664
; NumSgprs: 18
; NumVgprs: 13
; ScratchSize: 0
; MemoryBound: 0
; FloatMode: 240
; IeeeMode: 1
; LDSByteSize: 8 bytes/workgroup (compile time only)
; SGPRBlocks: 2
; VGPRBlocks: 1
; NumSGPRsForWavesPerEU: 18
; NumVGPRsForWavesPerEU: 13
; Occupancy: 16
; WaveLimiterHint : 0
; COMPUTE_PGM_RSRC2:SCRATCH_EN: 0
; COMPUTE_PGM_RSRC2:USER_SGPR: 15
; COMPUTE_PGM_RSRC2:TRAP_HANDLER: 0
; COMPUTE_PGM_RSRC2:TGID_X_EN: 1
; COMPUTE_PGM_RSRC2:TGID_Y_EN: 0
; COMPUTE_PGM_RSRC2:TGID_Z_EN: 0
; COMPUTE_PGM_RSRC2:TIDIG_COMP_CNT: 0
	.section	.text._Z6kernelI14exclusive_scanILN6hipcub18BlockScanAlgorithmE0EEiLj64ELj8ELj100EEvPKT0_PS4_S4_,"axG",@progbits,_Z6kernelI14exclusive_scanILN6hipcub18BlockScanAlgorithmE0EEiLj64ELj8ELj100EEvPKT0_PS4_S4_,comdat
	.protected	_Z6kernelI14exclusive_scanILN6hipcub18BlockScanAlgorithmE0EEiLj64ELj8ELj100EEvPKT0_PS4_S4_ ; -- Begin function _Z6kernelI14exclusive_scanILN6hipcub18BlockScanAlgorithmE0EEiLj64ELj8ELj100EEvPKT0_PS4_S4_
	.globl	_Z6kernelI14exclusive_scanILN6hipcub18BlockScanAlgorithmE0EEiLj64ELj8ELj100EEvPKT0_PS4_S4_
	.p2align	8
	.type	_Z6kernelI14exclusive_scanILN6hipcub18BlockScanAlgorithmE0EEiLj64ELj8ELj100EEvPKT0_PS4_S4_,@function
_Z6kernelI14exclusive_scanILN6hipcub18BlockScanAlgorithmE0EEiLj64ELj8ELj100EEvPKT0_PS4_S4_: ; @_Z6kernelI14exclusive_scanILN6hipcub18BlockScanAlgorithmE0EEiLj64ELj8ELj100EEvPKT0_PS4_S4_
; %bb.0:
	s_clause 0x1
	s_load_b32 s2, s[0:1], 0x24
	s_load_b128 s[8:11], s[0:1], 0x0
	v_mbcnt_lo_u32_b32 v9, -1, 0
	v_mov_b32_e32 v2, 0
	s_load_b32 s12, s[0:1], 0x10
	v_or_b32_e32 v13, 31, v0
	v_cmp_gt_u32_e64 s5, 2, v0
	v_and_b32_e32 v11, 16, v9
	v_add_nc_u32_e32 v12, -1, v9
	v_and_b32_e32 v10, 15, v9
	v_cmp_lt_u32_e64 s6, 31, v0
	v_cmp_eq_u32_e64 s7, 0, v9
	v_cmp_eq_u32_e64 s3, 0, v11
	v_cmp_gt_i32_e64 s4, 0, v12
	v_cmp_lt_u32_e64 s0, 1, v10
	v_cmp_lt_u32_e64 s1, 3, v10
	v_lshrrev_b32_e32 v11, 3, v0
	s_movk_i32 s13, 0x64
	s_waitcnt lgkmcnt(0)
	s_and_b32 s2, s2, 0xffff
	s_delay_alu instid0(VALU_DEP_1) | instskip(SKIP_3) | instid1(VALU_DEP_3)
	v_and_b32_e32 v19, 4, v11
	s_mul_i32 s15, s15, s2
	v_cmp_lt_u32_e64 s2, 7, v10
	v_add_lshl_u32 v1, s15, v0, 3
	v_add_nc_u32_e32 v20, -4, v19
	s_delay_alu instid0(VALU_DEP_2) | instskip(NEXT) | instid1(VALU_DEP_1)
	v_lshlrev_b64 v[17:18], 2, v[1:2]
	v_add_co_u32 v1, vcc_lo, s8, v17
	s_delay_alu instid0(VALU_DEP_2)
	v_add_co_ci_u32_e32 v2, vcc_lo, s9, v18, vcc_lo
	v_cmp_eq_u32_e32 vcc_lo, 0, v10
	v_cndmask_b32_e64 v10, v12, v9, s4
	v_cmp_eq_u32_e64 s4, v13, v0
	s_clause 0x1
	global_load_b128 v[5:8], v[1:2], off
	global_load_b128 v[1:4], v[1:2], off offset:16
	v_cmp_eq_u32_e64 s8, 0, v0
	v_lshlrev_b32_e32 v0, 2, v0
	v_lshlrev_b32_e32 v12, 2, v10
	v_and_b32_e32 v10, 1, v9
	s_delay_alu instid0(VALU_DEP_1)
	v_cmp_eq_u32_e64 s9, 0, v10
.LBB165_1:                              ; =>This Inner Loop Header: Depth=1
	s_waitcnt vmcnt(1)
	v_add_nc_u32_e32 v9, v6, v5
	s_delay_alu instid0(VALU_DEP_1) | instskip(SKIP_1) | instid1(VALU_DEP_1)
	v_add3_u32 v9, v9, v7, v8
	s_waitcnt vmcnt(0)
	v_add3_u32 v9, v9, v1, v2
	s_delay_alu instid0(VALU_DEP_1) | instskip(NEXT) | instid1(VALU_DEP_1)
	v_add3_u32 v4, v9, v3, v4
	v_mov_b32_dpp v9, v4 row_shr:1 row_mask:0xf bank_mask:0xf
	s_delay_alu instid0(VALU_DEP_1) | instskip(NEXT) | instid1(VALU_DEP_1)
	v_cndmask_b32_e64 v9, v9, 0, vcc_lo
	v_add_nc_u32_e32 v4, v4, v9
	s_delay_alu instid0(VALU_DEP_1) | instskip(NEXT) | instid1(VALU_DEP_1)
	v_mov_b32_dpp v9, v4 row_shr:2 row_mask:0xf bank_mask:0xf
	v_cndmask_b32_e64 v9, 0, v9, s0
	s_delay_alu instid0(VALU_DEP_1) | instskip(NEXT) | instid1(VALU_DEP_1)
	v_add_nc_u32_e32 v4, v4, v9
	v_mov_b32_dpp v9, v4 row_shr:4 row_mask:0xf bank_mask:0xf
	s_delay_alu instid0(VALU_DEP_1) | instskip(NEXT) | instid1(VALU_DEP_1)
	v_cndmask_b32_e64 v9, 0, v9, s1
	v_add_nc_u32_e32 v4, v4, v9
	s_delay_alu instid0(VALU_DEP_1) | instskip(NEXT) | instid1(VALU_DEP_1)
	v_mov_b32_dpp v9, v4 row_shr:8 row_mask:0xf bank_mask:0xf
	v_cndmask_b32_e64 v9, 0, v9, s2
	s_delay_alu instid0(VALU_DEP_1) | instskip(SKIP_3) | instid1(VALU_DEP_1)
	v_add_nc_u32_e32 v4, v4, v9
	ds_swizzle_b32 v9, v4 offset:swizzle(BROADCAST,32,15)
	s_waitcnt lgkmcnt(0)
	v_cndmask_b32_e64 v9, v9, 0, s3
	v_add_nc_u32_e32 v4, v4, v9
	s_and_saveexec_b32 s14, s4
	s_cbranch_execz .LBB165_3
; %bb.2:                                ;   in Loop: Header=BB165_1 Depth=1
	ds_store_b32 v19, v4
.LBB165_3:                              ;   in Loop: Header=BB165_1 Depth=1
	s_or_b32 exec_lo, exec_lo, s14
	s_waitcnt lgkmcnt(0)
	s_barrier
	buffer_gl0_inv
	s_and_saveexec_b32 s14, s5
	s_cbranch_execz .LBB165_5
; %bb.4:                                ;   in Loop: Header=BB165_1 Depth=1
	ds_load_b32 v9, v0
	s_waitcnt lgkmcnt(0)
	v_mov_b32_dpp v10, v9 row_shr:1 row_mask:0xf bank_mask:0xf
	s_delay_alu instid0(VALU_DEP_1) | instskip(NEXT) | instid1(VALU_DEP_1)
	v_cndmask_b32_e64 v10, v10, 0, s9
	v_add_nc_u32_e32 v9, v10, v9
	ds_store_b32 v0, v9
.LBB165_5:                              ;   in Loop: Header=BB165_1 Depth=1
	s_or_b32 exec_lo, exec_lo, s14
	v_mov_b32_e32 v9, s12
	s_waitcnt lgkmcnt(0)
	s_barrier
	buffer_gl0_inv
	s_and_saveexec_b32 s14, s6
	s_cbranch_execz .LBB165_7
; %bb.6:                                ;   in Loop: Header=BB165_1 Depth=1
	ds_load_b32 v9, v20
	s_waitcnt lgkmcnt(0)
	v_add_nc_u32_e32 v9, s12, v9
.LBB165_7:                              ;   in Loop: Header=BB165_1 Depth=1
	s_or_b32 exec_lo, exec_lo, s14
	s_delay_alu instid0(VALU_DEP_1) | instskip(SKIP_1) | instid1(SALU_CYCLE_1)
	v_add_nc_u32_e32 v4, v9, v4
	s_add_i32 s13, s13, -1
	s_cmp_lg_u32 s13, 0
	ds_bpermute_b32 v4, v12, v4
	s_waitcnt lgkmcnt(0)
	v_cndmask_b32_e64 v4, v4, v9, s7
	s_delay_alu instid0(VALU_DEP_1) | instskip(NEXT) | instid1(VALU_DEP_1)
	v_cndmask_b32_e64 v13, v4, s12, s8
	v_add_nc_u32_e32 v14, v13, v5
	s_delay_alu instid0(VALU_DEP_1) | instskip(NEXT) | instid1(VALU_DEP_1)
	v_add_nc_u32_e32 v15, v14, v6
	v_add_nc_u32_e32 v16, v15, v7
	s_delay_alu instid0(VALU_DEP_1) | instskip(NEXT) | instid1(VALU_DEP_1)
	v_add_nc_u32_e32 v9, v16, v8
	;; [unrolled: 3-line block ×3, first 2 shown]
	v_add_nc_u32_e32 v4, v11, v3
	s_cbranch_scc0 .LBB165_9
; %bb.8:                                ;   in Loop: Header=BB165_1 Depth=1
	v_dual_mov_b32 v5, v13 :: v_dual_mov_b32 v6, v14
	v_dual_mov_b32 v7, v15 :: v_dual_mov_b32 v8, v16
	;; [unrolled: 1-line block ×3, first 2 shown]
	v_mov_b32_e32 v3, v11
	s_branch .LBB165_1
.LBB165_9:
	v_add_co_u32 v0, vcc_lo, s10, v17
	v_add_co_ci_u32_e32 v1, vcc_lo, s11, v18, vcc_lo
	s_delay_alu instid0(VALU_DEP_3)
	v_mov_b32_e32 v12, v4
	s_clause 0x1
	global_store_b128 v[0:1], v[13:16], off
	global_store_b128 v[0:1], v[9:12], off offset:16
	s_nop 0
	s_sendmsg sendmsg(MSG_DEALLOC_VGPRS)
	s_endpgm
	.section	.rodata,"a",@progbits
	.p2align	6, 0x0
	.amdhsa_kernel _Z6kernelI14exclusive_scanILN6hipcub18BlockScanAlgorithmE0EEiLj64ELj8ELj100EEvPKT0_PS4_S4_
		.amdhsa_group_segment_fixed_size 8
		.amdhsa_private_segment_fixed_size 0
		.amdhsa_kernarg_size 280
		.amdhsa_user_sgpr_count 15
		.amdhsa_user_sgpr_dispatch_ptr 0
		.amdhsa_user_sgpr_queue_ptr 0
		.amdhsa_user_sgpr_kernarg_segment_ptr 1
		.amdhsa_user_sgpr_dispatch_id 0
		.amdhsa_user_sgpr_private_segment_size 0
		.amdhsa_wavefront_size32 1
		.amdhsa_uses_dynamic_stack 0
		.amdhsa_enable_private_segment 0
		.amdhsa_system_sgpr_workgroup_id_x 1
		.amdhsa_system_sgpr_workgroup_id_y 0
		.amdhsa_system_sgpr_workgroup_id_z 0
		.amdhsa_system_sgpr_workgroup_info 0
		.amdhsa_system_vgpr_workitem_id 0
		.amdhsa_next_free_vgpr 21
		.amdhsa_next_free_sgpr 16
		.amdhsa_reserve_vcc 1
		.amdhsa_float_round_mode_32 0
		.amdhsa_float_round_mode_16_64 0
		.amdhsa_float_denorm_mode_32 3
		.amdhsa_float_denorm_mode_16_64 3
		.amdhsa_dx10_clamp 1
		.amdhsa_ieee_mode 1
		.amdhsa_fp16_overflow 0
		.amdhsa_workgroup_processor_mode 1
		.amdhsa_memory_ordered 1
		.amdhsa_forward_progress 0
		.amdhsa_shared_vgpr_count 0
		.amdhsa_exception_fp_ieee_invalid_op 0
		.amdhsa_exception_fp_denorm_src 0
		.amdhsa_exception_fp_ieee_div_zero 0
		.amdhsa_exception_fp_ieee_overflow 0
		.amdhsa_exception_fp_ieee_underflow 0
		.amdhsa_exception_fp_ieee_inexact 0
		.amdhsa_exception_int_div_zero 0
	.end_amdhsa_kernel
	.section	.text._Z6kernelI14exclusive_scanILN6hipcub18BlockScanAlgorithmE0EEiLj64ELj8ELj100EEvPKT0_PS4_S4_,"axG",@progbits,_Z6kernelI14exclusive_scanILN6hipcub18BlockScanAlgorithmE0EEiLj64ELj8ELj100EEvPKT0_PS4_S4_,comdat
.Lfunc_end165:
	.size	_Z6kernelI14exclusive_scanILN6hipcub18BlockScanAlgorithmE0EEiLj64ELj8ELj100EEvPKT0_PS4_S4_, .Lfunc_end165-_Z6kernelI14exclusive_scanILN6hipcub18BlockScanAlgorithmE0EEiLj64ELj8ELj100EEvPKT0_PS4_S4_
                                        ; -- End function
	.section	.AMDGPU.csdata,"",@progbits
; Kernel info:
; codeLenInByte = 752
; NumSgprs: 18
; NumVgprs: 21
; ScratchSize: 0
; MemoryBound: 0
; FloatMode: 240
; IeeeMode: 1
; LDSByteSize: 8 bytes/workgroup (compile time only)
; SGPRBlocks: 2
; VGPRBlocks: 2
; NumSGPRsForWavesPerEU: 18
; NumVGPRsForWavesPerEU: 21
; Occupancy: 16
; WaveLimiterHint : 0
; COMPUTE_PGM_RSRC2:SCRATCH_EN: 0
; COMPUTE_PGM_RSRC2:USER_SGPR: 15
; COMPUTE_PGM_RSRC2:TRAP_HANDLER: 0
; COMPUTE_PGM_RSRC2:TGID_X_EN: 1
; COMPUTE_PGM_RSRC2:TGID_Y_EN: 0
; COMPUTE_PGM_RSRC2:TGID_Z_EN: 0
; COMPUTE_PGM_RSRC2:TIDIG_COMP_CNT: 0
	.section	.text._Z6kernelI14exclusive_scanILN6hipcub18BlockScanAlgorithmE0EEiLj64ELj11ELj100EEvPKT0_PS4_S4_,"axG",@progbits,_Z6kernelI14exclusive_scanILN6hipcub18BlockScanAlgorithmE0EEiLj64ELj11ELj100EEvPKT0_PS4_S4_,comdat
	.protected	_Z6kernelI14exclusive_scanILN6hipcub18BlockScanAlgorithmE0EEiLj64ELj11ELj100EEvPKT0_PS4_S4_ ; -- Begin function _Z6kernelI14exclusive_scanILN6hipcub18BlockScanAlgorithmE0EEiLj64ELj11ELj100EEvPKT0_PS4_S4_
	.globl	_Z6kernelI14exclusive_scanILN6hipcub18BlockScanAlgorithmE0EEiLj64ELj11ELj100EEvPKT0_PS4_S4_
	.p2align	8
	.type	_Z6kernelI14exclusive_scanILN6hipcub18BlockScanAlgorithmE0EEiLj64ELj11ELj100EEvPKT0_PS4_S4_,@function
_Z6kernelI14exclusive_scanILN6hipcub18BlockScanAlgorithmE0EEiLj64ELj11ELj100EEvPKT0_PS4_S4_: ; @_Z6kernelI14exclusive_scanILN6hipcub18BlockScanAlgorithmE0EEiLj64ELj11ELj100EEvPKT0_PS4_S4_
; %bb.0:
	s_clause 0x2
	s_load_b32 s2, s[0:1], 0x24
	s_load_b128 s[8:11], s[0:1], 0x0
	s_load_b32 s12, s[0:1], 0x10
	v_cmp_gt_u32_e64 s5, 2, v0
	v_cmp_lt_u32_e64 s6, 31, v0
	s_movk_i32 s13, 0x64
	s_waitcnt lgkmcnt(0)
	s_and_b32 s2, s2, 0xffff
	s_delay_alu instid0(SALU_CYCLE_1) | instskip(NEXT) | instid1(VALU_DEP_1)
	v_mad_u64_u32 v[1:2], null, s15, s2, v[0:1]
	v_mul_lo_u32 v21, v1, 11
	s_delay_alu instid0(VALU_DEP_1) | instskip(NEXT) | instid1(VALU_DEP_1)
	v_dual_mov_b32 v22, 0 :: v_dual_add_nc_u32 v1, 1, v21
	v_dual_mov_b32 v2, v22 :: v_dual_add_nc_u32 v3, 2, v21
	v_lshlrev_b64 v[15:16], 2, v[21:22]
	v_dual_mov_b32 v4, v22 :: v_dual_add_nc_u32 v5, 3, v21
	s_delay_alu instid0(VALU_DEP_3) | instskip(SKIP_1) | instid1(VALU_DEP_3)
	v_lshlrev_b64 v[17:18], 2, v[1:2]
	v_dual_mov_b32 v6, v22 :: v_dual_add_nc_u32 v7, 4, v21
	v_lshlrev_b64 v[13:14], 2, v[3:4]
	v_add_co_u32 v25, vcc_lo, s8, v15
	v_dual_mov_b32 v8, v22 :: v_dual_add_nc_u32 v11, 5, v21
	v_add_co_ci_u32_e32 v26, vcc_lo, s9, v16, vcc_lo
	v_lshlrev_b64 v[9:10], 2, v[5:6]
	v_add_co_u32 v27, vcc_lo, s8, v17
	v_dual_mov_b32 v12, v22 :: v_dual_add_nc_u32 v19, 6, v21
	v_add_co_ci_u32_e32 v28, vcc_lo, s9, v18, vcc_lo
	;; [unrolled: 4-line block ×4, first 2 shown]
	v_lshlrev_b64 v[1:2], 2, v[19:20]
	v_add_co_u32 v35, vcc_lo, s8, v5
	v_add_co_ci_u32_e32 v36, vcc_lo, s9, v6, vcc_lo
	v_add_co_u32 v37, vcc_lo, s8, v3
	v_lshlrev_b64 v[7:8], 2, v[23:24]
	v_add_nc_u32_e32 v19, 9, v21
	v_add_co_ci_u32_e32 v38, vcc_lo, s9, v4, vcc_lo
	v_add_co_u32 v23, vcc_lo, s8, v1
	v_lshlrev_b64 v[11:12], 2, v[11:12]
	v_add_nc_u32_e32 v21, 10, v21
	v_add_co_ci_u32_e32 v24, vcc_lo, s9, v2, vcc_lo
	v_add_co_u32 v39, vcc_lo, s8, v7
	v_lshlrev_b64 v[19:20], 2, v[19:20]
	v_add_co_ci_u32_e32 v40, vcc_lo, s9, v8, vcc_lo
	v_add_co_u32 v41, vcc_lo, s8, v11
	v_lshlrev_b64 v[21:22], 2, v[21:22]
	v_add_co_ci_u32_e32 v42, vcc_lo, s9, v12, vcc_lo
	v_add_co_u32 v43, vcc_lo, s8, v19
	v_add_co_ci_u32_e32 v44, vcc_lo, s9, v20, vcc_lo
	s_delay_alu instid0(VALU_DEP_4)
	v_add_co_u32 v45, vcc_lo, s8, v21
	v_add_co_ci_u32_e32 v46, vcc_lo, s9, v22, vcc_lo
	s_clause 0xa
	global_load_b32 v32, v[25:26], off
	global_load_b32 v31, v[27:28], off
	;; [unrolled: 1-line block ×11, first 2 shown]
	v_mbcnt_lo_u32_b32 v36, -1, 0
	v_or_b32_e32 v38, 31, v0
	v_cmp_eq_u32_e64 s8, 0, v0
	s_delay_alu instid0(VALU_DEP_3) | instskip(SKIP_3) | instid1(VALU_DEP_4)
	v_and_b32_e32 v35, 16, v36
	v_add_nc_u32_e32 v37, -1, v36
	v_and_b32_e32 v34, 15, v36
	v_cmp_eq_u32_e64 s7, 0, v36
	v_cmp_eq_u32_e64 s3, 0, v35
	s_delay_alu instid0(VALU_DEP_4)
	v_cmp_gt_i32_e64 s4, 0, v37
	v_lshrrev_b32_e32 v35, 3, v0
	v_cmp_eq_u32_e32 vcc_lo, 0, v34
	v_cmp_lt_u32_e64 s0, 1, v34
	v_cmp_lt_u32_e64 s1, 3, v34
	;; [unrolled: 1-line block ×3, first 2 shown]
	v_cndmask_b32_e64 v34, v37, v36, s4
	v_and_b32_e32 v37, 1, v36
	v_and_b32_e32 v35, 4, v35
	v_cmp_eq_u32_e64 s4, v38, v0
	v_lshlrev_b32_e32 v0, 2, v0
	v_lshlrev_b32_e32 v34, 2, v34
	v_cmp_eq_u32_e64 s9, 0, v37
	v_add_nc_u32_e32 v36, -4, v35
.LBB166_1:                              ; =>This Inner Loop Header: Depth=1
	s_waitcnt vmcnt(0)
	v_add3_u32 v33, v23, v33, v24
	s_delay_alu instid0(VALU_DEP_1) | instskip(NEXT) | instid1(VALU_DEP_1)
	v_add3_u32 v33, v33, v25, v26
	v_add3_u32 v33, v33, v27, v28
	s_delay_alu instid0(VALU_DEP_1) | instskip(NEXT) | instid1(VALU_DEP_1)
	v_add3_u32 v33, v33, v29, v30
	v_add3_u32 v33, v33, v31, v32
	s_delay_alu instid0(VALU_DEP_1) | instskip(NEXT) | instid1(VALU_DEP_1)
	v_mov_b32_dpp v37, v33 row_shr:1 row_mask:0xf bank_mask:0xf
	v_cndmask_b32_e64 v37, v37, 0, vcc_lo
	s_delay_alu instid0(VALU_DEP_1) | instskip(NEXT) | instid1(VALU_DEP_1)
	v_add_nc_u32_e32 v33, v33, v37
	v_mov_b32_dpp v37, v33 row_shr:2 row_mask:0xf bank_mask:0xf
	s_delay_alu instid0(VALU_DEP_1) | instskip(NEXT) | instid1(VALU_DEP_1)
	v_cndmask_b32_e64 v37, 0, v37, s0
	v_add_nc_u32_e32 v33, v33, v37
	s_delay_alu instid0(VALU_DEP_1) | instskip(NEXT) | instid1(VALU_DEP_1)
	v_mov_b32_dpp v37, v33 row_shr:4 row_mask:0xf bank_mask:0xf
	v_cndmask_b32_e64 v37, 0, v37, s1
	s_delay_alu instid0(VALU_DEP_1) | instskip(NEXT) | instid1(VALU_DEP_1)
	v_add_nc_u32_e32 v33, v33, v37
	v_mov_b32_dpp v37, v33 row_shr:8 row_mask:0xf bank_mask:0xf
	s_delay_alu instid0(VALU_DEP_1) | instskip(NEXT) | instid1(VALU_DEP_1)
	v_cndmask_b32_e64 v37, 0, v37, s2
	v_add_nc_u32_e32 v33, v33, v37
	ds_swizzle_b32 v37, v33 offset:swizzle(BROADCAST,32,15)
	s_waitcnt lgkmcnt(0)
	v_cndmask_b32_e64 v37, v37, 0, s3
	s_delay_alu instid0(VALU_DEP_1)
	v_add_nc_u32_e32 v33, v33, v37
	s_and_saveexec_b32 s14, s4
	s_cbranch_execz .LBB166_3
; %bb.2:                                ;   in Loop: Header=BB166_1 Depth=1
	ds_store_b32 v35, v33
.LBB166_3:                              ;   in Loop: Header=BB166_1 Depth=1
	s_or_b32 exec_lo, exec_lo, s14
	s_waitcnt lgkmcnt(0)
	s_barrier
	buffer_gl0_inv
	s_and_saveexec_b32 s14, s5
	s_cbranch_execz .LBB166_5
; %bb.4:                                ;   in Loop: Header=BB166_1 Depth=1
	ds_load_b32 v37, v0
	s_waitcnt lgkmcnt(0)
	v_mov_b32_dpp v38, v37 row_shr:1 row_mask:0xf bank_mask:0xf
	s_delay_alu instid0(VALU_DEP_1) | instskip(NEXT) | instid1(VALU_DEP_1)
	v_cndmask_b32_e64 v38, v38, 0, s9
	v_add_nc_u32_e32 v37, v38, v37
	ds_store_b32 v0, v37
.LBB166_5:                              ;   in Loop: Header=BB166_1 Depth=1
	s_or_b32 exec_lo, exec_lo, s14
	v_mov_b32_e32 v37, s12
	s_waitcnt lgkmcnt(0)
	s_barrier
	buffer_gl0_inv
	s_and_saveexec_b32 s14, s6
	s_cbranch_execz .LBB166_7
; %bb.6:                                ;   in Loop: Header=BB166_1 Depth=1
	ds_load_b32 v37, v36
	s_waitcnt lgkmcnt(0)
	v_add_nc_u32_e32 v37, s12, v37
.LBB166_7:                              ;   in Loop: Header=BB166_1 Depth=1
	s_or_b32 exec_lo, exec_lo, s14
	s_delay_alu instid0(VALU_DEP_1) | instskip(SKIP_1) | instid1(SALU_CYCLE_1)
	v_add_nc_u32_e32 v33, v37, v33
	s_add_i32 s13, s13, -1
	s_cmp_lg_u32 s13, 0
	ds_bpermute_b32 v33, v34, v33
	s_waitcnt lgkmcnt(0)
	v_cndmask_b32_e64 v33, v33, v37, s7
	s_delay_alu instid0(VALU_DEP_1) | instskip(NEXT) | instid1(VALU_DEP_1)
	v_cndmask_b32_e64 v37, v33, s12, s8
	v_add_nc_u32_e32 v32, v37, v32
	s_delay_alu instid0(VALU_DEP_1) | instskip(NEXT) | instid1(VALU_DEP_1)
	v_add_nc_u32_e32 v31, v32, v31
	v_add_nc_u32_e32 v30, v31, v30
	s_delay_alu instid0(VALU_DEP_1) | instskip(NEXT) | instid1(VALU_DEP_1)
	v_add_nc_u32_e32 v29, v30, v29
	v_add_nc_u32_e32 v28, v29, v28
	s_delay_alu instid0(VALU_DEP_1) | instskip(NEXT) | instid1(VALU_DEP_1)
	v_add_nc_u32_e32 v27, v28, v27
	v_add_nc_u32_e32 v26, v27, v26
	s_delay_alu instid0(VALU_DEP_1) | instskip(NEXT) | instid1(VALU_DEP_1)
	v_add_nc_u32_e32 v25, v26, v25
	v_add_nc_u32_e32 v24, v25, v24
	s_delay_alu instid0(VALU_DEP_1)
	v_add_nc_u32_e32 v33, v24, v23
	s_cbranch_scc0 .LBB166_9
; %bb.8:                                ;   in Loop: Header=BB166_1 Depth=1
	v_dual_mov_b32 v23, v24 :: v_dual_mov_b32 v24, v25
	v_dual_mov_b32 v25, v26 :: v_dual_mov_b32 v26, v27
	;; [unrolled: 1-line block ×5, first 2 shown]
	s_branch .LBB166_1
.LBB166_9:
	v_add_co_u32 v15, vcc_lo, s10, v15
	v_add_co_ci_u32_e32 v16, vcc_lo, s11, v16, vcc_lo
	v_add_co_u32 v17, vcc_lo, s10, v17
	v_add_co_ci_u32_e32 v18, vcc_lo, s11, v18, vcc_lo
	;; [unrolled: 2-line block ×11, first 2 shown]
	s_clause 0xa
	global_store_b32 v[15:16], v37, off
	global_store_b32 v[17:18], v32, off
	;; [unrolled: 1-line block ×11, first 2 shown]
	s_nop 0
	s_sendmsg sendmsg(MSG_DEALLOC_VGPRS)
	s_endpgm
	.section	.rodata,"a",@progbits
	.p2align	6, 0x0
	.amdhsa_kernel _Z6kernelI14exclusive_scanILN6hipcub18BlockScanAlgorithmE0EEiLj64ELj11ELj100EEvPKT0_PS4_S4_
		.amdhsa_group_segment_fixed_size 8
		.amdhsa_private_segment_fixed_size 0
		.amdhsa_kernarg_size 280
		.amdhsa_user_sgpr_count 15
		.amdhsa_user_sgpr_dispatch_ptr 0
		.amdhsa_user_sgpr_queue_ptr 0
		.amdhsa_user_sgpr_kernarg_segment_ptr 1
		.amdhsa_user_sgpr_dispatch_id 0
		.amdhsa_user_sgpr_private_segment_size 0
		.amdhsa_wavefront_size32 1
		.amdhsa_uses_dynamic_stack 0
		.amdhsa_enable_private_segment 0
		.amdhsa_system_sgpr_workgroup_id_x 1
		.amdhsa_system_sgpr_workgroup_id_y 0
		.amdhsa_system_sgpr_workgroup_id_z 0
		.amdhsa_system_sgpr_workgroup_info 0
		.amdhsa_system_vgpr_workitem_id 0
		.amdhsa_next_free_vgpr 47
		.amdhsa_next_free_sgpr 16
		.amdhsa_reserve_vcc 1
		.amdhsa_float_round_mode_32 0
		.amdhsa_float_round_mode_16_64 0
		.amdhsa_float_denorm_mode_32 3
		.amdhsa_float_denorm_mode_16_64 3
		.amdhsa_dx10_clamp 1
		.amdhsa_ieee_mode 1
		.amdhsa_fp16_overflow 0
		.amdhsa_workgroup_processor_mode 1
		.amdhsa_memory_ordered 1
		.amdhsa_forward_progress 0
		.amdhsa_shared_vgpr_count 0
		.amdhsa_exception_fp_ieee_invalid_op 0
		.amdhsa_exception_fp_denorm_src 0
		.amdhsa_exception_fp_ieee_div_zero 0
		.amdhsa_exception_fp_ieee_overflow 0
		.amdhsa_exception_fp_ieee_underflow 0
		.amdhsa_exception_fp_ieee_inexact 0
		.amdhsa_exception_int_div_zero 0
	.end_amdhsa_kernel
	.section	.text._Z6kernelI14exclusive_scanILN6hipcub18BlockScanAlgorithmE0EEiLj64ELj11ELj100EEvPKT0_PS4_S4_,"axG",@progbits,_Z6kernelI14exclusive_scanILN6hipcub18BlockScanAlgorithmE0EEiLj64ELj11ELj100EEvPKT0_PS4_S4_,comdat
.Lfunc_end166:
	.size	_Z6kernelI14exclusive_scanILN6hipcub18BlockScanAlgorithmE0EEiLj64ELj11ELj100EEvPKT0_PS4_S4_, .Lfunc_end166-_Z6kernelI14exclusive_scanILN6hipcub18BlockScanAlgorithmE0EEiLj64ELj11ELj100EEvPKT0_PS4_S4_
                                        ; -- End function
	.section	.AMDGPU.csdata,"",@progbits
; Kernel info:
; codeLenInByte = 1332
; NumSgprs: 18
; NumVgprs: 47
; ScratchSize: 0
; MemoryBound: 0
; FloatMode: 240
; IeeeMode: 1
; LDSByteSize: 8 bytes/workgroup (compile time only)
; SGPRBlocks: 2
; VGPRBlocks: 5
; NumSGPRsForWavesPerEU: 18
; NumVGPRsForWavesPerEU: 47
; Occupancy: 16
; WaveLimiterHint : 0
; COMPUTE_PGM_RSRC2:SCRATCH_EN: 0
; COMPUTE_PGM_RSRC2:USER_SGPR: 15
; COMPUTE_PGM_RSRC2:TRAP_HANDLER: 0
; COMPUTE_PGM_RSRC2:TGID_X_EN: 1
; COMPUTE_PGM_RSRC2:TGID_Y_EN: 0
; COMPUTE_PGM_RSRC2:TGID_Z_EN: 0
; COMPUTE_PGM_RSRC2:TIDIG_COMP_CNT: 0
	.section	.text._Z6kernelI14exclusive_scanILN6hipcub18BlockScanAlgorithmE0EEiLj64ELj16ELj100EEvPKT0_PS4_S4_,"axG",@progbits,_Z6kernelI14exclusive_scanILN6hipcub18BlockScanAlgorithmE0EEiLj64ELj16ELj100EEvPKT0_PS4_S4_,comdat
	.protected	_Z6kernelI14exclusive_scanILN6hipcub18BlockScanAlgorithmE0EEiLj64ELj16ELj100EEvPKT0_PS4_S4_ ; -- Begin function _Z6kernelI14exclusive_scanILN6hipcub18BlockScanAlgorithmE0EEiLj64ELj16ELj100EEvPKT0_PS4_S4_
	.globl	_Z6kernelI14exclusive_scanILN6hipcub18BlockScanAlgorithmE0EEiLj64ELj16ELj100EEvPKT0_PS4_S4_
	.p2align	8
	.type	_Z6kernelI14exclusive_scanILN6hipcub18BlockScanAlgorithmE0EEiLj64ELj16ELj100EEvPKT0_PS4_S4_,@function
_Z6kernelI14exclusive_scanILN6hipcub18BlockScanAlgorithmE0EEiLj64ELj16ELj100EEvPKT0_PS4_S4_: ; @_Z6kernelI14exclusive_scanILN6hipcub18BlockScanAlgorithmE0EEiLj64ELj16ELj100EEvPKT0_PS4_S4_
; %bb.0:
	s_clause 0x1
	s_load_b32 s2, s[0:1], 0x24
	s_load_b128 s[8:11], s[0:1], 0x0
	v_mbcnt_lo_u32_b32 v17, -1, 0
	v_mov_b32_e32 v2, 0
	s_load_b32 s12, s[0:1], 0x10
	v_or_b32_e32 v23, 31, v0
	v_cmp_gt_u32_e64 s5, 2, v0
	v_and_b32_e32 v19, 16, v17
	v_add_nc_u32_e32 v20, -1, v17
	v_and_b32_e32 v18, 15, v17
	v_cmp_lt_u32_e64 s6, 31, v0
	v_cmp_eq_u32_e64 s7, 0, v17
	v_cmp_eq_u32_e64 s3, 0, v19
	v_cmp_gt_i32_e64 s4, 0, v20
	v_cmp_lt_u32_e64 s0, 1, v18
	v_cmp_lt_u32_e64 s1, 3, v18
	v_lshrrev_b32_e32 v19, 3, v0
	v_lshlrev_b32_e32 v25, 2, v0
	s_movk_i32 s13, 0x64
	s_waitcnt lgkmcnt(0)
	s_and_b32 s2, s2, 0xffff
	v_and_b32_e32 v24, 4, v19
	s_mul_i32 s15, s15, s2
	v_cmp_lt_u32_e64 s2, 7, v18
	v_add_lshl_u32 v1, s15, v0, 4
	s_delay_alu instid0(VALU_DEP_3) | instskip(NEXT) | instid1(VALU_DEP_2)
	v_add_nc_u32_e32 v26, -4, v24
	v_lshlrev_b64 v[21:22], 2, v[1:2]
	s_delay_alu instid0(VALU_DEP_1) | instskip(NEXT) | instid1(VALU_DEP_2)
	v_add_co_u32 v1, vcc_lo, s8, v21
	v_add_co_ci_u32_e32 v2, vcc_lo, s9, v22, vcc_lo
	v_cmp_eq_u32_e32 vcc_lo, 0, v18
	v_cndmask_b32_e64 v18, v20, v17, s4
	v_cmp_eq_u32_e64 s4, v23, v0
	s_clause 0x3
	global_load_b128 v[13:16], v[1:2], off
	global_load_b128 v[9:12], v[1:2], off offset:16
	global_load_b128 v[5:8], v[1:2], off offset:32
	;; [unrolled: 1-line block ×3, first 2 shown]
	v_cmp_eq_u32_e64 s8, 0, v0
	v_lshlrev_b32_e32 v23, 2, v18
	v_and_b32_e32 v18, 1, v17
	s_delay_alu instid0(VALU_DEP_1)
	v_cmp_eq_u32_e64 s9, 0, v18
.LBB167_1:                              ; =>This Inner Loop Header: Depth=1
	s_waitcnt vmcnt(0)
	v_add_nc_u32_e32 v0, v3, v4
	s_delay_alu instid0(VALU_DEP_1) | instskip(NEXT) | instid1(VALU_DEP_1)
	v_add3_u32 v0, v0, v2, v1
	v_add3_u32 v0, v0, v8, v7
	s_delay_alu instid0(VALU_DEP_1) | instskip(NEXT) | instid1(VALU_DEP_1)
	v_add3_u32 v0, v0, v6, v5
	v_add3_u32 v0, v0, v12, v11
	;; [unrolled: 3-line block ×3, first 2 shown]
	s_delay_alu instid0(VALU_DEP_1) | instskip(NEXT) | instid1(VALU_DEP_1)
	v_add3_u32 v0, v0, v14, v13
	v_mov_b32_dpp v4, v0 row_shr:1 row_mask:0xf bank_mask:0xf
	s_delay_alu instid0(VALU_DEP_1) | instskip(NEXT) | instid1(VALU_DEP_1)
	v_cndmask_b32_e64 v4, v4, 0, vcc_lo
	v_add_nc_u32_e32 v0, v0, v4
	s_delay_alu instid0(VALU_DEP_1) | instskip(NEXT) | instid1(VALU_DEP_1)
	v_mov_b32_dpp v4, v0 row_shr:2 row_mask:0xf bank_mask:0xf
	v_cndmask_b32_e64 v4, 0, v4, s0
	s_delay_alu instid0(VALU_DEP_1) | instskip(NEXT) | instid1(VALU_DEP_1)
	v_add_nc_u32_e32 v0, v0, v4
	v_mov_b32_dpp v4, v0 row_shr:4 row_mask:0xf bank_mask:0xf
	s_delay_alu instid0(VALU_DEP_1) | instskip(NEXT) | instid1(VALU_DEP_1)
	v_cndmask_b32_e64 v4, 0, v4, s1
	v_add_nc_u32_e32 v0, v0, v4
	s_delay_alu instid0(VALU_DEP_1) | instskip(NEXT) | instid1(VALU_DEP_1)
	v_mov_b32_dpp v4, v0 row_shr:8 row_mask:0xf bank_mask:0xf
	v_cndmask_b32_e64 v4, 0, v4, s2
	s_delay_alu instid0(VALU_DEP_1) | instskip(SKIP_3) | instid1(VALU_DEP_1)
	v_add_nc_u32_e32 v0, v0, v4
	ds_swizzle_b32 v4, v0 offset:swizzle(BROADCAST,32,15)
	s_waitcnt lgkmcnt(0)
	v_cndmask_b32_e64 v4, v4, 0, s3
	v_add_nc_u32_e32 v0, v0, v4
	s_and_saveexec_b32 s14, s4
	s_cbranch_execz .LBB167_3
; %bb.2:                                ;   in Loop: Header=BB167_1 Depth=1
	ds_store_b32 v24, v0
.LBB167_3:                              ;   in Loop: Header=BB167_1 Depth=1
	s_or_b32 exec_lo, exec_lo, s14
	s_waitcnt lgkmcnt(0)
	s_barrier
	buffer_gl0_inv
	s_and_saveexec_b32 s14, s5
	s_cbranch_execz .LBB167_5
; %bb.4:                                ;   in Loop: Header=BB167_1 Depth=1
	ds_load_b32 v4, v25
	s_waitcnt lgkmcnt(0)
	v_mov_b32_dpp v17, v4 row_shr:1 row_mask:0xf bank_mask:0xf
	s_delay_alu instid0(VALU_DEP_1) | instskip(NEXT) | instid1(VALU_DEP_1)
	v_cndmask_b32_e64 v17, v17, 0, s9
	v_add_nc_u32_e32 v4, v17, v4
	ds_store_b32 v25, v4
.LBB167_5:                              ;   in Loop: Header=BB167_1 Depth=1
	s_or_b32 exec_lo, exec_lo, s14
	v_mov_b32_e32 v4, s12
	s_waitcnt lgkmcnt(0)
	s_barrier
	buffer_gl0_inv
	s_and_saveexec_b32 s14, s6
	s_cbranch_execz .LBB167_7
; %bb.6:                                ;   in Loop: Header=BB167_1 Depth=1
	ds_load_b32 v4, v26
	s_waitcnt lgkmcnt(0)
	v_add_nc_u32_e32 v4, s12, v4
.LBB167_7:                              ;   in Loop: Header=BB167_1 Depth=1
	s_or_b32 exec_lo, exec_lo, s14
	s_delay_alu instid0(VALU_DEP_1) | instskip(SKIP_1) | instid1(SALU_CYCLE_1)
	v_add_nc_u32_e32 v0, v4, v0
	s_add_i32 s13, s13, -1
	s_cmp_lg_u32 s13, 0
	ds_bpermute_b32 v0, v23, v0
	s_waitcnt lgkmcnt(0)
	v_cndmask_b32_e64 v0, v0, v4, s7
	s_delay_alu instid0(VALU_DEP_1) | instskip(NEXT) | instid1(VALU_DEP_1)
	v_cndmask_b32_e64 v17, v0, s12, s8
	v_add_nc_u32_e32 v18, v17, v13
	s_delay_alu instid0(VALU_DEP_1) | instskip(NEXT) | instid1(VALU_DEP_1)
	v_add_nc_u32_e32 v19, v18, v14
	v_add_nc_u32_e32 v20, v19, v15
	s_delay_alu instid0(VALU_DEP_1) | instskip(NEXT) | instid1(VALU_DEP_1)
	v_add_nc_u32_e32 v13, v20, v16
	;; [unrolled: 3-line block ×7, first 2 shown]
	v_add_nc_u32_e32 v4, v2, v3
	s_cbranch_scc0 .LBB167_9
; %bb.8:                                ;   in Loop: Header=BB167_1 Depth=1
	v_dual_mov_b32 v3, v2 :: v_dual_mov_b32 v2, v1
	v_dual_mov_b32 v1, v0 :: v_dual_mov_b32 v6, v10
	;; [unrolled: 1-line block ×7, first 2 shown]
	v_mov_b32_e32 v13, v17
	s_branch .LBB167_1
.LBB167_9:
	v_add_co_u32 v5, vcc_lo, s10, v21
	v_add_co_ci_u32_e32 v6, vcc_lo, s11, v22, vcc_lo
	s_delay_alu instid0(VALU_DEP_3)
	v_mov_b32_e32 v3, v4
	s_clause 0x3
	global_store_b128 v[5:6], v[17:20], off
	global_store_b128 v[5:6], v[13:16], off offset:16
	global_store_b128 v[5:6], v[9:12], off offset:32
	global_store_b128 v[5:6], v[0:3], off offset:48
	s_nop 0
	s_sendmsg sendmsg(MSG_DEALLOC_VGPRS)
	s_endpgm
	.section	.rodata,"a",@progbits
	.p2align	6, 0x0
	.amdhsa_kernel _Z6kernelI14exclusive_scanILN6hipcub18BlockScanAlgorithmE0EEiLj64ELj16ELj100EEvPKT0_PS4_S4_
		.amdhsa_group_segment_fixed_size 8
		.amdhsa_private_segment_fixed_size 0
		.amdhsa_kernarg_size 280
		.amdhsa_user_sgpr_count 15
		.amdhsa_user_sgpr_dispatch_ptr 0
		.amdhsa_user_sgpr_queue_ptr 0
		.amdhsa_user_sgpr_kernarg_segment_ptr 1
		.amdhsa_user_sgpr_dispatch_id 0
		.amdhsa_user_sgpr_private_segment_size 0
		.amdhsa_wavefront_size32 1
		.amdhsa_uses_dynamic_stack 0
		.amdhsa_enable_private_segment 0
		.amdhsa_system_sgpr_workgroup_id_x 1
		.amdhsa_system_sgpr_workgroup_id_y 0
		.amdhsa_system_sgpr_workgroup_id_z 0
		.amdhsa_system_sgpr_workgroup_info 0
		.amdhsa_system_vgpr_workitem_id 0
		.amdhsa_next_free_vgpr 27
		.amdhsa_next_free_sgpr 16
		.amdhsa_reserve_vcc 1
		.amdhsa_float_round_mode_32 0
		.amdhsa_float_round_mode_16_64 0
		.amdhsa_float_denorm_mode_32 3
		.amdhsa_float_denorm_mode_16_64 3
		.amdhsa_dx10_clamp 1
		.amdhsa_ieee_mode 1
		.amdhsa_fp16_overflow 0
		.amdhsa_workgroup_processor_mode 1
		.amdhsa_memory_ordered 1
		.amdhsa_forward_progress 0
		.amdhsa_shared_vgpr_count 0
		.amdhsa_exception_fp_ieee_invalid_op 0
		.amdhsa_exception_fp_denorm_src 0
		.amdhsa_exception_fp_ieee_div_zero 0
		.amdhsa_exception_fp_ieee_overflow 0
		.amdhsa_exception_fp_ieee_underflow 0
		.amdhsa_exception_fp_ieee_inexact 0
		.amdhsa_exception_int_div_zero 0
	.end_amdhsa_kernel
	.section	.text._Z6kernelI14exclusive_scanILN6hipcub18BlockScanAlgorithmE0EEiLj64ELj16ELj100EEvPKT0_PS4_S4_,"axG",@progbits,_Z6kernelI14exclusive_scanILN6hipcub18BlockScanAlgorithmE0EEiLj64ELj16ELj100EEvPKT0_PS4_S4_,comdat
.Lfunc_end167:
	.size	_Z6kernelI14exclusive_scanILN6hipcub18BlockScanAlgorithmE0EEiLj64ELj16ELj100EEvPKT0_PS4_S4_, .Lfunc_end167-_Z6kernelI14exclusive_scanILN6hipcub18BlockScanAlgorithmE0EEiLj64ELj16ELj100EEvPKT0_PS4_S4_
                                        ; -- End function
	.section	.AMDGPU.csdata,"",@progbits
; Kernel info:
; codeLenInByte = 896
; NumSgprs: 18
; NumVgprs: 27
; ScratchSize: 0
; MemoryBound: 0
; FloatMode: 240
; IeeeMode: 1
; LDSByteSize: 8 bytes/workgroup (compile time only)
; SGPRBlocks: 2
; VGPRBlocks: 3
; NumSGPRsForWavesPerEU: 18
; NumVGPRsForWavesPerEU: 27
; Occupancy: 16
; WaveLimiterHint : 0
; COMPUTE_PGM_RSRC2:SCRATCH_EN: 0
; COMPUTE_PGM_RSRC2:USER_SGPR: 15
; COMPUTE_PGM_RSRC2:TRAP_HANDLER: 0
; COMPUTE_PGM_RSRC2:TGID_X_EN: 1
; COMPUTE_PGM_RSRC2:TGID_Y_EN: 0
; COMPUTE_PGM_RSRC2:TGID_Z_EN: 0
; COMPUTE_PGM_RSRC2:TIDIG_COMP_CNT: 0
	.section	.text._Z6kernelI14exclusive_scanILN6hipcub18BlockScanAlgorithmE0EEfLj64ELj1ELj100EEvPKT0_PS4_S4_,"axG",@progbits,_Z6kernelI14exclusive_scanILN6hipcub18BlockScanAlgorithmE0EEfLj64ELj1ELj100EEvPKT0_PS4_S4_,comdat
	.protected	_Z6kernelI14exclusive_scanILN6hipcub18BlockScanAlgorithmE0EEfLj64ELj1ELj100EEvPKT0_PS4_S4_ ; -- Begin function _Z6kernelI14exclusive_scanILN6hipcub18BlockScanAlgorithmE0EEfLj64ELj1ELj100EEvPKT0_PS4_S4_
	.globl	_Z6kernelI14exclusive_scanILN6hipcub18BlockScanAlgorithmE0EEfLj64ELj1ELj100EEvPKT0_PS4_S4_
	.p2align	8
	.type	_Z6kernelI14exclusive_scanILN6hipcub18BlockScanAlgorithmE0EEfLj64ELj1ELj100EEvPKT0_PS4_S4_,@function
_Z6kernelI14exclusive_scanILN6hipcub18BlockScanAlgorithmE0EEfLj64ELj1ELj100EEvPKT0_PS4_S4_: ; @_Z6kernelI14exclusive_scanILN6hipcub18BlockScanAlgorithmE0EEfLj64ELj1ELj100EEvPKT0_PS4_S4_
; %bb.0:
	s_clause 0x1
	s_load_b32 s2, s[0:1], 0x24
	s_load_b128 s[8:11], s[0:1], 0x0
	v_mbcnt_lo_u32_b32 v5, -1, 0
	s_load_b32 s12, s[0:1], 0x10
	v_or_b32_e32 v7, 31, v0
	v_cmp_lt_u32_e64 s6, 31, v0
	s_delay_alu instid0(VALU_DEP_3) | instskip(SKIP_1) | instid1(VALU_DEP_4)
	v_add_nc_u32_e32 v8, -1, v5
	v_cmp_eq_u32_e64 s7, 0, v5
	v_cmp_eq_u32_e64 s4, v7, v0
	v_and_b32_e32 v7, 1, v5
	s_delay_alu instid0(VALU_DEP_4) | instskip(SKIP_2) | instid1(SALU_CYCLE_1)
	v_cmp_gt_i32_e64 s5, 0, v8
	s_waitcnt lgkmcnt(0)
	s_and_b32 s2, s2, 0xffff
	v_mad_u64_u32 v[1:2], null, s15, s2, v[0:1]
	v_mov_b32_e32 v2, 0
	s_delay_alu instid0(VALU_DEP_1) | instskip(NEXT) | instid1(VALU_DEP_1)
	v_lshlrev_b64 v[1:2], 2, v[1:2]
	v_add_co_u32 v3, vcc_lo, s8, v1
	s_delay_alu instid0(VALU_DEP_2)
	v_add_co_ci_u32_e32 v4, vcc_lo, s9, v2, vcc_lo
	v_cmp_eq_u32_e64 s8, 0, v7
	s_movk_i32 s9, 0x64
	global_load_b32 v6, v[3:4], off
	v_and_b32_e32 v3, 15, v5
	v_and_b32_e32 v4, 16, v5
	s_delay_alu instid0(VALU_DEP_2)
	v_cmp_eq_u32_e32 vcc_lo, 0, v3
	v_cmp_lt_u32_e64 s0, 1, v3
	v_cmp_lt_u32_e64 s1, 3, v3
	;; [unrolled: 1-line block ×3, first 2 shown]
	v_lshrrev_b32_e32 v3, 3, v0
	v_cmp_eq_u32_e64 s3, 0, v4
	v_cndmask_b32_e64 v4, v8, v5, s5
	v_cmp_gt_u32_e64 s5, 2, v0
	v_lshlrev_b32_e32 v0, 2, v0
	v_and_b32_e32 v3, 4, v3
	s_delay_alu instid0(VALU_DEP_4) | instskip(NEXT) | instid1(VALU_DEP_2)
	v_lshlrev_b32_e32 v4, 2, v4
	v_add_nc_u32_e32 v5, -4, v3
	s_branch .LBB168_2
.LBB168_1:                              ;   in Loop: Header=BB168_2 Depth=1
	s_or_b32 exec_lo, exec_lo, s13
	s_delay_alu instid0(VALU_DEP_1) | instskip(SKIP_1) | instid1(SALU_CYCLE_1)
	v_add_f32_e32 v6, v6, v7
	s_add_i32 s9, s9, -1
	s_cmp_lg_u32 s9, 0
	ds_bpermute_b32 v6, v4, v6
	s_waitcnt lgkmcnt(0)
	v_cndmask_b32_e64 v6, v6, v7, s7
	s_cbranch_scc0 .LBB168_8
.LBB168_2:                              ; =>This Inner Loop Header: Depth=1
	s_waitcnt vmcnt(0)
	s_delay_alu instid0(VALU_DEP_1) | instskip(NEXT) | instid1(VALU_DEP_1)
	v_mov_b32_dpp v7, v6 row_shr:1 row_mask:0xf bank_mask:0xf
	v_add_f32_e32 v7, v6, v7
	s_delay_alu instid0(VALU_DEP_1) | instskip(NEXT) | instid1(VALU_DEP_1)
	v_cndmask_b32_e32 v6, v7, v6, vcc_lo
	v_mov_b32_dpp v7, v6 row_shr:2 row_mask:0xf bank_mask:0xf
	s_delay_alu instid0(VALU_DEP_1) | instskip(NEXT) | instid1(VALU_DEP_1)
	v_add_f32_e32 v7, v6, v7
	v_cndmask_b32_e64 v6, v6, v7, s0
	s_delay_alu instid0(VALU_DEP_1) | instskip(NEXT) | instid1(VALU_DEP_1)
	v_mov_b32_dpp v7, v6 row_shr:4 row_mask:0xf bank_mask:0xf
	v_add_f32_e32 v7, v6, v7
	s_delay_alu instid0(VALU_DEP_1) | instskip(NEXT) | instid1(VALU_DEP_1)
	v_cndmask_b32_e64 v6, v6, v7, s1
	v_mov_b32_dpp v7, v6 row_shr:8 row_mask:0xf bank_mask:0xf
	s_delay_alu instid0(VALU_DEP_1) | instskip(NEXT) | instid1(VALU_DEP_1)
	v_add_f32_e32 v7, v6, v7
	v_cndmask_b32_e64 v6, v6, v7, s2
	ds_swizzle_b32 v7, v6 offset:swizzle(BROADCAST,32,15)
	s_waitcnt lgkmcnt(0)
	v_add_f32_e32 v7, v6, v7
	s_delay_alu instid0(VALU_DEP_1)
	v_cndmask_b32_e64 v6, v7, v6, s3
	s_and_saveexec_b32 s13, s4
	s_cbranch_execz .LBB168_4
; %bb.3:                                ;   in Loop: Header=BB168_2 Depth=1
	ds_store_b32 v3, v6
.LBB168_4:                              ;   in Loop: Header=BB168_2 Depth=1
	s_or_b32 exec_lo, exec_lo, s13
	s_waitcnt lgkmcnt(0)
	s_barrier
	buffer_gl0_inv
	s_and_saveexec_b32 s13, s5
	s_cbranch_execz .LBB168_6
; %bb.5:                                ;   in Loop: Header=BB168_2 Depth=1
	ds_load_b32 v7, v0
	s_waitcnt lgkmcnt(0)
	v_mov_b32_dpp v8, v7 row_shr:1 row_mask:0xf bank_mask:0xf
	s_delay_alu instid0(VALU_DEP_1) | instskip(NEXT) | instid1(VALU_DEP_1)
	v_add_f32_e32 v8, v7, v8
	v_cndmask_b32_e64 v7, v8, v7, s8
	ds_store_b32 v0, v7
.LBB168_6:                              ;   in Loop: Header=BB168_2 Depth=1
	s_or_b32 exec_lo, exec_lo, s13
	v_mov_b32_e32 v7, s12
	s_waitcnt lgkmcnt(0)
	s_barrier
	buffer_gl0_inv
	s_and_saveexec_b32 s13, s6
	s_cbranch_execz .LBB168_1
; %bb.7:                                ;   in Loop: Header=BB168_2 Depth=1
	ds_load_b32 v7, v5
	s_waitcnt lgkmcnt(0)
	v_add_f32_e32 v7, s12, v7
	s_branch .LBB168_1
.LBB168_8:
	v_add_co_u32 v0, vcc_lo, s10, v1
	v_add_co_ci_u32_e32 v1, vcc_lo, s11, v2, vcc_lo
	global_store_b32 v[0:1], v6, off
	s_nop 0
	s_sendmsg sendmsg(MSG_DEALLOC_VGPRS)
	s_endpgm
	.section	.rodata,"a",@progbits
	.p2align	6, 0x0
	.amdhsa_kernel _Z6kernelI14exclusive_scanILN6hipcub18BlockScanAlgorithmE0EEfLj64ELj1ELj100EEvPKT0_PS4_S4_
		.amdhsa_group_segment_fixed_size 8
		.amdhsa_private_segment_fixed_size 0
		.amdhsa_kernarg_size 280
		.amdhsa_user_sgpr_count 15
		.amdhsa_user_sgpr_dispatch_ptr 0
		.amdhsa_user_sgpr_queue_ptr 0
		.amdhsa_user_sgpr_kernarg_segment_ptr 1
		.amdhsa_user_sgpr_dispatch_id 0
		.amdhsa_user_sgpr_private_segment_size 0
		.amdhsa_wavefront_size32 1
		.amdhsa_uses_dynamic_stack 0
		.amdhsa_enable_private_segment 0
		.amdhsa_system_sgpr_workgroup_id_x 1
		.amdhsa_system_sgpr_workgroup_id_y 0
		.amdhsa_system_sgpr_workgroup_id_z 0
		.amdhsa_system_sgpr_workgroup_info 0
		.amdhsa_system_vgpr_workitem_id 0
		.amdhsa_next_free_vgpr 9
		.amdhsa_next_free_sgpr 16
		.amdhsa_reserve_vcc 1
		.amdhsa_float_round_mode_32 0
		.amdhsa_float_round_mode_16_64 0
		.amdhsa_float_denorm_mode_32 3
		.amdhsa_float_denorm_mode_16_64 3
		.amdhsa_dx10_clamp 1
		.amdhsa_ieee_mode 1
		.amdhsa_fp16_overflow 0
		.amdhsa_workgroup_processor_mode 1
		.amdhsa_memory_ordered 1
		.amdhsa_forward_progress 0
		.amdhsa_shared_vgpr_count 0
		.amdhsa_exception_fp_ieee_invalid_op 0
		.amdhsa_exception_fp_denorm_src 0
		.amdhsa_exception_fp_ieee_div_zero 0
		.amdhsa_exception_fp_ieee_overflow 0
		.amdhsa_exception_fp_ieee_underflow 0
		.amdhsa_exception_fp_ieee_inexact 0
		.amdhsa_exception_int_div_zero 0
	.end_amdhsa_kernel
	.section	.text._Z6kernelI14exclusive_scanILN6hipcub18BlockScanAlgorithmE0EEfLj64ELj1ELj100EEvPKT0_PS4_S4_,"axG",@progbits,_Z6kernelI14exclusive_scanILN6hipcub18BlockScanAlgorithmE0EEfLj64ELj1ELj100EEvPKT0_PS4_S4_,comdat
.Lfunc_end168:
	.size	_Z6kernelI14exclusive_scanILN6hipcub18BlockScanAlgorithmE0EEfLj64ELj1ELj100EEvPKT0_PS4_S4_, .Lfunc_end168-_Z6kernelI14exclusive_scanILN6hipcub18BlockScanAlgorithmE0EEfLj64ELj1ELj100EEvPKT0_PS4_S4_
                                        ; -- End function
	.section	.AMDGPU.csdata,"",@progbits
; Kernel info:
; codeLenInByte = 600
; NumSgprs: 18
; NumVgprs: 9
; ScratchSize: 0
; MemoryBound: 0
; FloatMode: 240
; IeeeMode: 1
; LDSByteSize: 8 bytes/workgroup (compile time only)
; SGPRBlocks: 2
; VGPRBlocks: 1
; NumSGPRsForWavesPerEU: 18
; NumVGPRsForWavesPerEU: 9
; Occupancy: 16
; WaveLimiterHint : 0
; COMPUTE_PGM_RSRC2:SCRATCH_EN: 0
; COMPUTE_PGM_RSRC2:USER_SGPR: 15
; COMPUTE_PGM_RSRC2:TRAP_HANDLER: 0
; COMPUTE_PGM_RSRC2:TGID_X_EN: 1
; COMPUTE_PGM_RSRC2:TGID_Y_EN: 0
; COMPUTE_PGM_RSRC2:TGID_Z_EN: 0
; COMPUTE_PGM_RSRC2:TIDIG_COMP_CNT: 0
	.section	.text._Z6kernelI14exclusive_scanILN6hipcub18BlockScanAlgorithmE0EEfLj64ELj3ELj100EEvPKT0_PS4_S4_,"axG",@progbits,_Z6kernelI14exclusive_scanILN6hipcub18BlockScanAlgorithmE0EEfLj64ELj3ELj100EEvPKT0_PS4_S4_,comdat
	.protected	_Z6kernelI14exclusive_scanILN6hipcub18BlockScanAlgorithmE0EEfLj64ELj3ELj100EEvPKT0_PS4_S4_ ; -- Begin function _Z6kernelI14exclusive_scanILN6hipcub18BlockScanAlgorithmE0EEfLj64ELj3ELj100EEvPKT0_PS4_S4_
	.globl	_Z6kernelI14exclusive_scanILN6hipcub18BlockScanAlgorithmE0EEfLj64ELj3ELj100EEvPKT0_PS4_S4_
	.p2align	8
	.type	_Z6kernelI14exclusive_scanILN6hipcub18BlockScanAlgorithmE0EEfLj64ELj3ELj100EEvPKT0_PS4_S4_,@function
_Z6kernelI14exclusive_scanILN6hipcub18BlockScanAlgorithmE0EEfLj64ELj3ELj100EEvPKT0_PS4_S4_: ; @_Z6kernelI14exclusive_scanILN6hipcub18BlockScanAlgorithmE0EEfLj64ELj3ELj100EEvPKT0_PS4_S4_
; %bb.0:
	s_clause 0x2
	s_load_b32 s2, s[0:1], 0x24
	s_load_b32 s12, s[0:1], 0x10
	s_load_b128 s[8:11], s[0:1], 0x0
	v_or_b32_e32 v14, 31, v0
	v_cmp_gt_u32_e64 s5, 2, v0
	v_cmp_lt_u32_e64 s6, 31, v0
	s_movk_i32 s13, 0x64
	s_waitcnt lgkmcnt(0)
	s_and_b32 s2, s2, 0xffff
	s_delay_alu instid0(SALU_CYCLE_1) | instskip(NEXT) | instid1(VALU_DEP_1)
	v_mad_u64_u32 v[1:2], null, s15, s2, v[0:1]
	v_lshl_add_u32 v3, v1, 1, v1
	s_delay_alu instid0(VALU_DEP_1) | instskip(NEXT) | instid1(VALU_DEP_1)
	v_dual_mov_b32 v4, 0 :: v_dual_add_nc_u32 v5, 1, v3
	v_mov_b32_e32 v6, v4
	v_lshlrev_b64 v[1:2], 2, v[3:4]
	v_add_nc_u32_e32 v3, 2, v3
	s_delay_alu instid0(VALU_DEP_3) | instskip(NEXT) | instid1(VALU_DEP_2)
	v_lshlrev_b64 v[5:6], 2, v[5:6]
	v_lshlrev_b64 v[3:4], 2, v[3:4]
	s_delay_alu instid0(VALU_DEP_4) | instskip(SKIP_1) | instid1(VALU_DEP_4)
	v_add_co_u32 v7, vcc_lo, s8, v1
	v_add_co_ci_u32_e32 v8, vcc_lo, s9, v2, vcc_lo
	v_add_co_u32 v9, vcc_lo, s8, v5
	v_add_co_ci_u32_e32 v10, vcc_lo, s9, v6, vcc_lo
	;; [unrolled: 2-line block ×3, first 2 shown]
	s_clause 0x2
	global_load_b32 v7, v[7:8], off
	global_load_b32 v8, v[9:10], off
	;; [unrolled: 1-line block ×3, first 2 shown]
	v_mbcnt_lo_u32_b32 v11, -1, 0
	v_cmp_eq_u32_e64 s8, 0, v0
	s_delay_alu instid0(VALU_DEP_2) | instskip(SKIP_3) | instid1(VALU_DEP_4)
	v_and_b32_e32 v10, 16, v11
	v_add_nc_u32_e32 v13, -1, v11
	v_and_b32_e32 v9, 15, v11
	v_cmp_eq_u32_e64 s7, 0, v11
	v_cmp_eq_u32_e64 s3, 0, v10
	s_delay_alu instid0(VALU_DEP_4)
	v_cmp_gt_i32_e64 s4, 0, v13
	v_lshrrev_b32_e32 v10, 3, v0
	v_cmp_eq_u32_e32 vcc_lo, 0, v9
	v_cmp_lt_u32_e64 s0, 1, v9
	v_cmp_lt_u32_e64 s1, 3, v9
	;; [unrolled: 1-line block ×3, first 2 shown]
	v_cndmask_b32_e64 v9, v13, v11, s4
	v_and_b32_e32 v13, 1, v11
	v_and_b32_e32 v10, 4, v10
	v_cmp_eq_u32_e64 s4, v14, v0
	v_lshlrev_b32_e32 v0, 2, v0
	v_lshlrev_b32_e32 v9, 2, v9
	v_cmp_eq_u32_e64 s9, 0, v13
	v_add_nc_u32_e32 v11, -4, v10
.LBB169_1:                              ; =>This Inner Loop Header: Depth=1
	s_waitcnt vmcnt(1)
	s_delay_alu instid0(VALU_DEP_1) | instskip(SKIP_1) | instid1(VALU_DEP_1)
	v_add_f32_e32 v13, v7, v8
	s_waitcnt vmcnt(0)
	v_add_f32_e32 v12, v12, v13
	s_delay_alu instid0(VALU_DEP_1) | instskip(NEXT) | instid1(VALU_DEP_1)
	v_mov_b32_dpp v13, v12 row_shr:1 row_mask:0xf bank_mask:0xf
	v_add_f32_e32 v13, v12, v13
	s_delay_alu instid0(VALU_DEP_1) | instskip(NEXT) | instid1(VALU_DEP_1)
	v_cndmask_b32_e32 v12, v13, v12, vcc_lo
	v_mov_b32_dpp v13, v12 row_shr:2 row_mask:0xf bank_mask:0xf
	s_delay_alu instid0(VALU_DEP_1) | instskip(NEXT) | instid1(VALU_DEP_1)
	v_add_f32_e32 v13, v12, v13
	v_cndmask_b32_e64 v12, v12, v13, s0
	s_delay_alu instid0(VALU_DEP_1) | instskip(NEXT) | instid1(VALU_DEP_1)
	v_mov_b32_dpp v13, v12 row_shr:4 row_mask:0xf bank_mask:0xf
	v_add_f32_e32 v13, v12, v13
	s_delay_alu instid0(VALU_DEP_1) | instskip(NEXT) | instid1(VALU_DEP_1)
	v_cndmask_b32_e64 v12, v12, v13, s1
	v_mov_b32_dpp v13, v12 row_shr:8 row_mask:0xf bank_mask:0xf
	s_delay_alu instid0(VALU_DEP_1) | instskip(NEXT) | instid1(VALU_DEP_1)
	v_add_f32_e32 v13, v12, v13
	v_cndmask_b32_e64 v12, v12, v13, s2
	ds_swizzle_b32 v13, v12 offset:swizzle(BROADCAST,32,15)
	s_waitcnt lgkmcnt(0)
	v_add_f32_e32 v13, v12, v13
	s_delay_alu instid0(VALU_DEP_1)
	v_cndmask_b32_e64 v12, v13, v12, s3
	s_and_saveexec_b32 s14, s4
	s_cbranch_execz .LBB169_3
; %bb.2:                                ;   in Loop: Header=BB169_1 Depth=1
	ds_store_b32 v10, v12
.LBB169_3:                              ;   in Loop: Header=BB169_1 Depth=1
	s_or_b32 exec_lo, exec_lo, s14
	s_waitcnt lgkmcnt(0)
	s_barrier
	buffer_gl0_inv
	s_and_saveexec_b32 s14, s5
	s_cbranch_execz .LBB169_5
; %bb.4:                                ;   in Loop: Header=BB169_1 Depth=1
	ds_load_b32 v13, v0
	s_waitcnt lgkmcnt(0)
	v_mov_b32_dpp v14, v13 row_shr:1 row_mask:0xf bank_mask:0xf
	s_delay_alu instid0(VALU_DEP_1) | instskip(NEXT) | instid1(VALU_DEP_1)
	v_add_f32_e32 v14, v13, v14
	v_cndmask_b32_e64 v13, v14, v13, s9
	ds_store_b32 v0, v13
.LBB169_5:                              ;   in Loop: Header=BB169_1 Depth=1
	s_or_b32 exec_lo, exec_lo, s14
	v_mov_b32_e32 v13, s12
	s_waitcnt lgkmcnt(0)
	s_barrier
	buffer_gl0_inv
	s_and_saveexec_b32 s14, s6
	s_cbranch_execz .LBB169_7
; %bb.6:                                ;   in Loop: Header=BB169_1 Depth=1
	ds_load_b32 v13, v11
	s_waitcnt lgkmcnt(0)
	v_add_f32_e32 v13, s12, v13
.LBB169_7:                              ;   in Loop: Header=BB169_1 Depth=1
	s_or_b32 exec_lo, exec_lo, s14
	s_delay_alu instid0(VALU_DEP_1) | instskip(SKIP_1) | instid1(SALU_CYCLE_1)
	v_add_f32_e32 v12, v12, v13
	s_add_i32 s13, s13, -1
	s_cmp_lg_u32 s13, 0
	ds_bpermute_b32 v12, v9, v12
	s_waitcnt lgkmcnt(0)
	v_cndmask_b32_e64 v12, v12, v13, s7
	s_delay_alu instid0(VALU_DEP_1) | instskip(NEXT) | instid1(VALU_DEP_1)
	v_cndmask_b32_e64 v14, v12, s12, s8
	v_add_f32_e32 v13, v7, v14
	s_delay_alu instid0(VALU_DEP_1)
	v_add_f32_e32 v12, v8, v13
	s_cbranch_scc0 .LBB169_9
; %bb.8:                                ;   in Loop: Header=BB169_1 Depth=1
	v_dual_mov_b32 v7, v14 :: v_dual_mov_b32 v8, v13
	s_branch .LBB169_1
.LBB169_9:
	v_add_co_u32 v0, vcc_lo, s10, v1
	v_add_co_ci_u32_e32 v1, vcc_lo, s11, v2, vcc_lo
	v_add_co_u32 v5, vcc_lo, s10, v5
	v_add_co_ci_u32_e32 v6, vcc_lo, s11, v6, vcc_lo
	;; [unrolled: 2-line block ×3, first 2 shown]
	s_clause 0x2
	global_store_b32 v[0:1], v14, off
	global_store_b32 v[5:6], v13, off
	;; [unrolled: 1-line block ×3, first 2 shown]
	s_nop 0
	s_sendmsg sendmsg(MSG_DEALLOC_VGPRS)
	s_endpgm
	.section	.rodata,"a",@progbits
	.p2align	6, 0x0
	.amdhsa_kernel _Z6kernelI14exclusive_scanILN6hipcub18BlockScanAlgorithmE0EEfLj64ELj3ELj100EEvPKT0_PS4_S4_
		.amdhsa_group_segment_fixed_size 8
		.amdhsa_private_segment_fixed_size 0
		.amdhsa_kernarg_size 280
		.amdhsa_user_sgpr_count 15
		.amdhsa_user_sgpr_dispatch_ptr 0
		.amdhsa_user_sgpr_queue_ptr 0
		.amdhsa_user_sgpr_kernarg_segment_ptr 1
		.amdhsa_user_sgpr_dispatch_id 0
		.amdhsa_user_sgpr_private_segment_size 0
		.amdhsa_wavefront_size32 1
		.amdhsa_uses_dynamic_stack 0
		.amdhsa_enable_private_segment 0
		.amdhsa_system_sgpr_workgroup_id_x 1
		.amdhsa_system_sgpr_workgroup_id_y 0
		.amdhsa_system_sgpr_workgroup_id_z 0
		.amdhsa_system_sgpr_workgroup_info 0
		.amdhsa_system_vgpr_workitem_id 0
		.amdhsa_next_free_vgpr 15
		.amdhsa_next_free_sgpr 16
		.amdhsa_reserve_vcc 1
		.amdhsa_float_round_mode_32 0
		.amdhsa_float_round_mode_16_64 0
		.amdhsa_float_denorm_mode_32 3
		.amdhsa_float_denorm_mode_16_64 3
		.amdhsa_dx10_clamp 1
		.amdhsa_ieee_mode 1
		.amdhsa_fp16_overflow 0
		.amdhsa_workgroup_processor_mode 1
		.amdhsa_memory_ordered 1
		.amdhsa_forward_progress 0
		.amdhsa_shared_vgpr_count 0
		.amdhsa_exception_fp_ieee_invalid_op 0
		.amdhsa_exception_fp_denorm_src 0
		.amdhsa_exception_fp_ieee_div_zero 0
		.amdhsa_exception_fp_ieee_overflow 0
		.amdhsa_exception_fp_ieee_underflow 0
		.amdhsa_exception_fp_ieee_inexact 0
		.amdhsa_exception_int_div_zero 0
	.end_amdhsa_kernel
	.section	.text._Z6kernelI14exclusive_scanILN6hipcub18BlockScanAlgorithmE0EEfLj64ELj3ELj100EEvPKT0_PS4_S4_,"axG",@progbits,_Z6kernelI14exclusive_scanILN6hipcub18BlockScanAlgorithmE0EEfLj64ELj3ELj100EEvPKT0_PS4_S4_,comdat
.Lfunc_end169:
	.size	_Z6kernelI14exclusive_scanILN6hipcub18BlockScanAlgorithmE0EEfLj64ELj3ELj100EEvPKT0_PS4_S4_, .Lfunc_end169-_Z6kernelI14exclusive_scanILN6hipcub18BlockScanAlgorithmE0EEfLj64ELj3ELj100EEvPKT0_PS4_S4_
                                        ; -- End function
	.section	.AMDGPU.csdata,"",@progbits
; Kernel info:
; codeLenInByte = 776
; NumSgprs: 18
; NumVgprs: 15
; ScratchSize: 0
; MemoryBound: 0
; FloatMode: 240
; IeeeMode: 1
; LDSByteSize: 8 bytes/workgroup (compile time only)
; SGPRBlocks: 2
; VGPRBlocks: 1
; NumSGPRsForWavesPerEU: 18
; NumVGPRsForWavesPerEU: 15
; Occupancy: 16
; WaveLimiterHint : 0
; COMPUTE_PGM_RSRC2:SCRATCH_EN: 0
; COMPUTE_PGM_RSRC2:USER_SGPR: 15
; COMPUTE_PGM_RSRC2:TRAP_HANDLER: 0
; COMPUTE_PGM_RSRC2:TGID_X_EN: 1
; COMPUTE_PGM_RSRC2:TGID_Y_EN: 0
; COMPUTE_PGM_RSRC2:TGID_Z_EN: 0
; COMPUTE_PGM_RSRC2:TIDIG_COMP_CNT: 0
	.section	.text._Z6kernelI14exclusive_scanILN6hipcub18BlockScanAlgorithmE0EEfLj64ELj4ELj100EEvPKT0_PS4_S4_,"axG",@progbits,_Z6kernelI14exclusive_scanILN6hipcub18BlockScanAlgorithmE0EEfLj64ELj4ELj100EEvPKT0_PS4_S4_,comdat
	.protected	_Z6kernelI14exclusive_scanILN6hipcub18BlockScanAlgorithmE0EEfLj64ELj4ELj100EEvPKT0_PS4_S4_ ; -- Begin function _Z6kernelI14exclusive_scanILN6hipcub18BlockScanAlgorithmE0EEfLj64ELj4ELj100EEvPKT0_PS4_S4_
	.globl	_Z6kernelI14exclusive_scanILN6hipcub18BlockScanAlgorithmE0EEfLj64ELj4ELj100EEvPKT0_PS4_S4_
	.p2align	8
	.type	_Z6kernelI14exclusive_scanILN6hipcub18BlockScanAlgorithmE0EEfLj64ELj4ELj100EEvPKT0_PS4_S4_,@function
_Z6kernelI14exclusive_scanILN6hipcub18BlockScanAlgorithmE0EEfLj64ELj4ELj100EEvPKT0_PS4_S4_: ; @_Z6kernelI14exclusive_scanILN6hipcub18BlockScanAlgorithmE0EEfLj64ELj4ELj100EEvPKT0_PS4_S4_
; %bb.0:
	s_clause 0x1
	s_load_b32 s2, s[0:1], 0x24
	s_load_b128 s[8:11], s[0:1], 0x0
	v_mbcnt_lo_u32_b32 v5, -1, 0
	v_mov_b32_e32 v2, 0
	s_load_b32 s12, s[0:1], 0x10
	v_or_b32_e32 v11, 31, v0
	v_cmp_gt_u32_e64 s5, 2, v0
	v_and_b32_e32 v7, 16, v5
	v_add_nc_u32_e32 v10, -1, v5
	v_and_b32_e32 v6, 15, v5
	v_cmp_lt_u32_e64 s6, 31, v0
	v_cmp_eq_u32_e64 s7, 0, v5
	v_cmp_eq_u32_e64 s3, 0, v7
	v_cmp_gt_i32_e64 s4, 0, v10
	v_cmp_lt_u32_e64 s0, 1, v6
	v_cmp_lt_u32_e64 s1, 3, v6
	v_lshrrev_b32_e32 v7, 3, v0
	s_movk_i32 s13, 0x64
	s_waitcnt lgkmcnt(0)
	s_and_b32 s2, s2, 0xffff
	s_delay_alu instid0(SALU_CYCLE_1) | instskip(SKIP_2) | instid1(VALU_DEP_1)
	s_mul_i32 s15, s15, s2
	v_cmp_lt_u32_e64 s2, 7, v6
	v_add_lshl_u32 v1, s15, v0, 2
	v_lshlrev_b64 v[8:9], 2, v[1:2]
	s_delay_alu instid0(VALU_DEP_1) | instskip(NEXT) | instid1(VALU_DEP_2)
	v_add_co_u32 v1, vcc_lo, s8, v8
	v_add_co_ci_u32_e32 v2, vcc_lo, s9, v9, vcc_lo
	v_cmp_eq_u32_e32 vcc_lo, 0, v6
	v_cndmask_b32_e64 v6, v10, v5, s4
	v_cmp_eq_u32_e64 s4, v11, v0
	global_load_b128 v[1:4], v[1:2], off
	v_and_b32_e32 v11, 4, v7
	v_cmp_eq_u32_e64 s8, 0, v0
	v_lshlrev_b32_e32 v10, 2, v6
	v_and_b32_e32 v6, 1, v5
	v_lshlrev_b32_e32 v0, 2, v0
	v_add_nc_u32_e32 v12, -4, v11
	s_delay_alu instid0(VALU_DEP_3)
	v_cmp_eq_u32_e64 s9, 0, v6
.LBB170_1:                              ; =>This Inner Loop Header: Depth=1
	s_waitcnt vmcnt(0)
	s_delay_alu instid0(VALU_DEP_2) | instskip(NEXT) | instid1(VALU_DEP_1)
	v_add_f32_e32 v5, v1, v2
	v_add_f32_e32 v5, v3, v5
	s_delay_alu instid0(VALU_DEP_1) | instskip(NEXT) | instid1(VALU_DEP_1)
	v_add_f32_e32 v4, v4, v5
	v_mov_b32_dpp v5, v4 row_shr:1 row_mask:0xf bank_mask:0xf
	s_delay_alu instid0(VALU_DEP_1) | instskip(NEXT) | instid1(VALU_DEP_1)
	v_add_f32_e32 v5, v4, v5
	v_cndmask_b32_e32 v4, v5, v4, vcc_lo
	s_delay_alu instid0(VALU_DEP_1) | instskip(NEXT) | instid1(VALU_DEP_1)
	v_mov_b32_dpp v5, v4 row_shr:2 row_mask:0xf bank_mask:0xf
	v_add_f32_e32 v5, v4, v5
	s_delay_alu instid0(VALU_DEP_1) | instskip(NEXT) | instid1(VALU_DEP_1)
	v_cndmask_b32_e64 v4, v4, v5, s0
	v_mov_b32_dpp v5, v4 row_shr:4 row_mask:0xf bank_mask:0xf
	s_delay_alu instid0(VALU_DEP_1) | instskip(NEXT) | instid1(VALU_DEP_1)
	v_add_f32_e32 v5, v4, v5
	v_cndmask_b32_e64 v4, v4, v5, s1
	s_delay_alu instid0(VALU_DEP_1) | instskip(NEXT) | instid1(VALU_DEP_1)
	v_mov_b32_dpp v5, v4 row_shr:8 row_mask:0xf bank_mask:0xf
	v_add_f32_e32 v5, v4, v5
	s_delay_alu instid0(VALU_DEP_1) | instskip(SKIP_3) | instid1(VALU_DEP_1)
	v_cndmask_b32_e64 v4, v4, v5, s2
	ds_swizzle_b32 v5, v4 offset:swizzle(BROADCAST,32,15)
	s_waitcnt lgkmcnt(0)
	v_add_f32_e32 v5, v4, v5
	v_cndmask_b32_e64 v4, v5, v4, s3
	s_and_saveexec_b32 s14, s4
	s_cbranch_execz .LBB170_3
; %bb.2:                                ;   in Loop: Header=BB170_1 Depth=1
	ds_store_b32 v11, v4
.LBB170_3:                              ;   in Loop: Header=BB170_1 Depth=1
	s_or_b32 exec_lo, exec_lo, s14
	s_waitcnt lgkmcnt(0)
	s_barrier
	buffer_gl0_inv
	s_and_saveexec_b32 s14, s5
	s_cbranch_execz .LBB170_5
; %bb.4:                                ;   in Loop: Header=BB170_1 Depth=1
	ds_load_b32 v5, v0
	s_waitcnt lgkmcnt(0)
	v_mov_b32_dpp v6, v5 row_shr:1 row_mask:0xf bank_mask:0xf
	s_delay_alu instid0(VALU_DEP_1) | instskip(NEXT) | instid1(VALU_DEP_1)
	v_add_f32_e32 v6, v5, v6
	v_cndmask_b32_e64 v5, v6, v5, s9
	ds_store_b32 v0, v5
.LBB170_5:                              ;   in Loop: Header=BB170_1 Depth=1
	s_or_b32 exec_lo, exec_lo, s14
	v_mov_b32_e32 v5, s12
	s_waitcnt lgkmcnt(0)
	s_barrier
	buffer_gl0_inv
	s_and_saveexec_b32 s14, s6
	s_cbranch_execz .LBB170_7
; %bb.6:                                ;   in Loop: Header=BB170_1 Depth=1
	ds_load_b32 v5, v12
	s_waitcnt lgkmcnt(0)
	v_add_f32_e32 v5, s12, v5
.LBB170_7:                              ;   in Loop: Header=BB170_1 Depth=1
	s_or_b32 exec_lo, exec_lo, s14
	s_delay_alu instid0(VALU_DEP_1) | instskip(SKIP_1) | instid1(SALU_CYCLE_1)
	v_add_f32_e32 v4, v4, v5
	s_add_i32 s13, s13, -1
	s_cmp_lg_u32 s13, 0
	ds_bpermute_b32 v4, v10, v4
	s_waitcnt lgkmcnt(0)
	v_cndmask_b32_e64 v4, v4, v5, s7
	s_delay_alu instid0(VALU_DEP_1) | instskip(NEXT) | instid1(VALU_DEP_1)
	v_cndmask_b32_e64 v5, v4, s12, s8
	v_add_f32_e32 v6, v1, v5
	s_delay_alu instid0(VALU_DEP_1) | instskip(NEXT) | instid1(VALU_DEP_1)
	v_add_f32_e32 v7, v2, v6
	v_add_f32_e32 v4, v3, v7
	s_cbranch_scc0 .LBB170_9
; %bb.8:                                ;   in Loop: Header=BB170_1 Depth=1
	v_dual_mov_b32 v1, v5 :: v_dual_mov_b32 v2, v6
	v_mov_b32_e32 v3, v7
	s_branch .LBB170_1
.LBB170_9:
	v_add_co_u32 v0, vcc_lo, s10, v8
	v_add_co_ci_u32_e32 v1, vcc_lo, s11, v9, vcc_lo
	s_delay_alu instid0(VALU_DEP_3)
	v_mov_b32_e32 v8, v4
	global_store_b128 v[0:1], v[5:8], off
	s_nop 0
	s_sendmsg sendmsg(MSG_DEALLOC_VGPRS)
	s_endpgm
	.section	.rodata,"a",@progbits
	.p2align	6, 0x0
	.amdhsa_kernel _Z6kernelI14exclusive_scanILN6hipcub18BlockScanAlgorithmE0EEfLj64ELj4ELj100EEvPKT0_PS4_S4_
		.amdhsa_group_segment_fixed_size 8
		.amdhsa_private_segment_fixed_size 0
		.amdhsa_kernarg_size 280
		.amdhsa_user_sgpr_count 15
		.amdhsa_user_sgpr_dispatch_ptr 0
		.amdhsa_user_sgpr_queue_ptr 0
		.amdhsa_user_sgpr_kernarg_segment_ptr 1
		.amdhsa_user_sgpr_dispatch_id 0
		.amdhsa_user_sgpr_private_segment_size 0
		.amdhsa_wavefront_size32 1
		.amdhsa_uses_dynamic_stack 0
		.amdhsa_enable_private_segment 0
		.amdhsa_system_sgpr_workgroup_id_x 1
		.amdhsa_system_sgpr_workgroup_id_y 0
		.amdhsa_system_sgpr_workgroup_id_z 0
		.amdhsa_system_sgpr_workgroup_info 0
		.amdhsa_system_vgpr_workitem_id 0
		.amdhsa_next_free_vgpr 13
		.amdhsa_next_free_sgpr 16
		.amdhsa_reserve_vcc 1
		.amdhsa_float_round_mode_32 0
		.amdhsa_float_round_mode_16_64 0
		.amdhsa_float_denorm_mode_32 3
		.amdhsa_float_denorm_mode_16_64 3
		.amdhsa_dx10_clamp 1
		.amdhsa_ieee_mode 1
		.amdhsa_fp16_overflow 0
		.amdhsa_workgroup_processor_mode 1
		.amdhsa_memory_ordered 1
		.amdhsa_forward_progress 0
		.amdhsa_shared_vgpr_count 0
		.amdhsa_exception_fp_ieee_invalid_op 0
		.amdhsa_exception_fp_denorm_src 0
		.amdhsa_exception_fp_ieee_div_zero 0
		.amdhsa_exception_fp_ieee_overflow 0
		.amdhsa_exception_fp_ieee_underflow 0
		.amdhsa_exception_fp_ieee_inexact 0
		.amdhsa_exception_int_div_zero 0
	.end_amdhsa_kernel
	.section	.text._Z6kernelI14exclusive_scanILN6hipcub18BlockScanAlgorithmE0EEfLj64ELj4ELj100EEvPKT0_PS4_S4_,"axG",@progbits,_Z6kernelI14exclusive_scanILN6hipcub18BlockScanAlgorithmE0EEfLj64ELj4ELj100EEvPKT0_PS4_S4_,comdat
.Lfunc_end170:
	.size	_Z6kernelI14exclusive_scanILN6hipcub18BlockScanAlgorithmE0EEfLj64ELj4ELj100EEvPKT0_PS4_S4_, .Lfunc_end170-_Z6kernelI14exclusive_scanILN6hipcub18BlockScanAlgorithmE0EEfLj64ELj4ELj100EEvPKT0_PS4_S4_
                                        ; -- End function
	.section	.AMDGPU.csdata,"",@progbits
; Kernel info:
; codeLenInByte = 660
; NumSgprs: 18
; NumVgprs: 13
; ScratchSize: 0
; MemoryBound: 0
; FloatMode: 240
; IeeeMode: 1
; LDSByteSize: 8 bytes/workgroup (compile time only)
; SGPRBlocks: 2
; VGPRBlocks: 1
; NumSGPRsForWavesPerEU: 18
; NumVGPRsForWavesPerEU: 13
; Occupancy: 16
; WaveLimiterHint : 0
; COMPUTE_PGM_RSRC2:SCRATCH_EN: 0
; COMPUTE_PGM_RSRC2:USER_SGPR: 15
; COMPUTE_PGM_RSRC2:TRAP_HANDLER: 0
; COMPUTE_PGM_RSRC2:TGID_X_EN: 1
; COMPUTE_PGM_RSRC2:TGID_Y_EN: 0
; COMPUTE_PGM_RSRC2:TGID_Z_EN: 0
; COMPUTE_PGM_RSRC2:TIDIG_COMP_CNT: 0
	.section	.text._Z6kernelI14exclusive_scanILN6hipcub18BlockScanAlgorithmE0EEfLj64ELj8ELj100EEvPKT0_PS4_S4_,"axG",@progbits,_Z6kernelI14exclusive_scanILN6hipcub18BlockScanAlgorithmE0EEfLj64ELj8ELj100EEvPKT0_PS4_S4_,comdat
	.protected	_Z6kernelI14exclusive_scanILN6hipcub18BlockScanAlgorithmE0EEfLj64ELj8ELj100EEvPKT0_PS4_S4_ ; -- Begin function _Z6kernelI14exclusive_scanILN6hipcub18BlockScanAlgorithmE0EEfLj64ELj8ELj100EEvPKT0_PS4_S4_
	.globl	_Z6kernelI14exclusive_scanILN6hipcub18BlockScanAlgorithmE0EEfLj64ELj8ELj100EEvPKT0_PS4_S4_
	.p2align	8
	.type	_Z6kernelI14exclusive_scanILN6hipcub18BlockScanAlgorithmE0EEfLj64ELj8ELj100EEvPKT0_PS4_S4_,@function
_Z6kernelI14exclusive_scanILN6hipcub18BlockScanAlgorithmE0EEfLj64ELj8ELj100EEvPKT0_PS4_S4_: ; @_Z6kernelI14exclusive_scanILN6hipcub18BlockScanAlgorithmE0EEfLj64ELj8ELj100EEvPKT0_PS4_S4_
; %bb.0:
	s_clause 0x1
	s_load_b32 s2, s[0:1], 0x24
	s_load_b128 s[8:11], s[0:1], 0x0
	v_mbcnt_lo_u32_b32 v9, -1, 0
	v_mov_b32_e32 v2, 0
	s_load_b32 s12, s[0:1], 0x10
	v_or_b32_e32 v13, 31, v0
	v_cmp_gt_u32_e64 s5, 2, v0
	v_and_b32_e32 v11, 16, v9
	v_add_nc_u32_e32 v12, -1, v9
	v_and_b32_e32 v10, 15, v9
	v_cmp_lt_u32_e64 s6, 31, v0
	v_cmp_eq_u32_e64 s7, 0, v9
	v_cmp_eq_u32_e64 s3, 0, v11
	v_cmp_gt_i32_e64 s4, 0, v12
	v_cmp_lt_u32_e64 s0, 1, v10
	v_cmp_lt_u32_e64 s1, 3, v10
	v_lshrrev_b32_e32 v11, 3, v0
	s_movk_i32 s13, 0x64
	s_waitcnt lgkmcnt(0)
	s_and_b32 s2, s2, 0xffff
	s_delay_alu instid0(VALU_DEP_1) | instskip(SKIP_3) | instid1(VALU_DEP_3)
	v_and_b32_e32 v19, 4, v11
	s_mul_i32 s15, s15, s2
	v_cmp_lt_u32_e64 s2, 7, v10
	v_add_lshl_u32 v1, s15, v0, 3
	v_add_nc_u32_e32 v20, -4, v19
	s_delay_alu instid0(VALU_DEP_2) | instskip(NEXT) | instid1(VALU_DEP_1)
	v_lshlrev_b64 v[17:18], 2, v[1:2]
	v_add_co_u32 v1, vcc_lo, s8, v17
	s_delay_alu instid0(VALU_DEP_2)
	v_add_co_ci_u32_e32 v2, vcc_lo, s9, v18, vcc_lo
	v_cmp_eq_u32_e32 vcc_lo, 0, v10
	v_cndmask_b32_e64 v10, v12, v9, s4
	v_cmp_eq_u32_e64 s4, v13, v0
	s_clause 0x1
	global_load_b128 v[5:8], v[1:2], off
	global_load_b128 v[1:4], v[1:2], off offset:16
	v_cmp_eq_u32_e64 s8, 0, v0
	v_lshlrev_b32_e32 v0, 2, v0
	v_lshlrev_b32_e32 v12, 2, v10
	v_and_b32_e32 v10, 1, v9
	s_delay_alu instid0(VALU_DEP_1)
	v_cmp_eq_u32_e64 s9, 0, v10
.LBB171_1:                              ; =>This Inner Loop Header: Depth=1
	s_waitcnt vmcnt(1)
	v_add_f32_e32 v9, v5, v6
	s_delay_alu instid0(VALU_DEP_1) | instskip(NEXT) | instid1(VALU_DEP_1)
	v_add_f32_e32 v9, v7, v9
	v_add_f32_e32 v9, v8, v9
	s_waitcnt vmcnt(0)
	s_delay_alu instid0(VALU_DEP_1) | instskip(NEXT) | instid1(VALU_DEP_1)
	v_add_f32_e32 v9, v1, v9
	v_add_f32_e32 v9, v2, v9
	s_delay_alu instid0(VALU_DEP_1) | instskip(NEXT) | instid1(VALU_DEP_1)
	v_add_f32_e32 v9, v3, v9
	v_add_f32_e32 v4, v4, v9
	s_delay_alu instid0(VALU_DEP_1) | instskip(NEXT) | instid1(VALU_DEP_1)
	v_mov_b32_dpp v9, v4 row_shr:1 row_mask:0xf bank_mask:0xf
	v_add_f32_e32 v9, v4, v9
	s_delay_alu instid0(VALU_DEP_1) | instskip(NEXT) | instid1(VALU_DEP_1)
	v_cndmask_b32_e32 v4, v9, v4, vcc_lo
	v_mov_b32_dpp v9, v4 row_shr:2 row_mask:0xf bank_mask:0xf
	s_delay_alu instid0(VALU_DEP_1) | instskip(NEXT) | instid1(VALU_DEP_1)
	v_add_f32_e32 v9, v4, v9
	v_cndmask_b32_e64 v4, v4, v9, s0
	s_delay_alu instid0(VALU_DEP_1) | instskip(NEXT) | instid1(VALU_DEP_1)
	v_mov_b32_dpp v9, v4 row_shr:4 row_mask:0xf bank_mask:0xf
	v_add_f32_e32 v9, v4, v9
	s_delay_alu instid0(VALU_DEP_1) | instskip(NEXT) | instid1(VALU_DEP_1)
	v_cndmask_b32_e64 v4, v4, v9, s1
	v_mov_b32_dpp v9, v4 row_shr:8 row_mask:0xf bank_mask:0xf
	s_delay_alu instid0(VALU_DEP_1) | instskip(NEXT) | instid1(VALU_DEP_1)
	v_add_f32_e32 v9, v4, v9
	v_cndmask_b32_e64 v4, v4, v9, s2
	ds_swizzle_b32 v9, v4 offset:swizzle(BROADCAST,32,15)
	s_waitcnt lgkmcnt(0)
	v_add_f32_e32 v9, v4, v9
	s_delay_alu instid0(VALU_DEP_1)
	v_cndmask_b32_e64 v4, v9, v4, s3
	s_and_saveexec_b32 s14, s4
	s_cbranch_execz .LBB171_3
; %bb.2:                                ;   in Loop: Header=BB171_1 Depth=1
	ds_store_b32 v19, v4
.LBB171_3:                              ;   in Loop: Header=BB171_1 Depth=1
	s_or_b32 exec_lo, exec_lo, s14
	s_waitcnt lgkmcnt(0)
	s_barrier
	buffer_gl0_inv
	s_and_saveexec_b32 s14, s5
	s_cbranch_execz .LBB171_5
; %bb.4:                                ;   in Loop: Header=BB171_1 Depth=1
	ds_load_b32 v9, v0
	s_waitcnt lgkmcnt(0)
	v_mov_b32_dpp v10, v9 row_shr:1 row_mask:0xf bank_mask:0xf
	s_delay_alu instid0(VALU_DEP_1) | instskip(NEXT) | instid1(VALU_DEP_1)
	v_add_f32_e32 v10, v9, v10
	v_cndmask_b32_e64 v9, v10, v9, s9
	ds_store_b32 v0, v9
.LBB171_5:                              ;   in Loop: Header=BB171_1 Depth=1
	s_or_b32 exec_lo, exec_lo, s14
	v_mov_b32_e32 v9, s12
	s_waitcnt lgkmcnt(0)
	s_barrier
	buffer_gl0_inv
	s_and_saveexec_b32 s14, s6
	s_cbranch_execz .LBB171_7
; %bb.6:                                ;   in Loop: Header=BB171_1 Depth=1
	ds_load_b32 v9, v20
	s_waitcnt lgkmcnt(0)
	v_add_f32_e32 v9, s12, v9
.LBB171_7:                              ;   in Loop: Header=BB171_1 Depth=1
	s_or_b32 exec_lo, exec_lo, s14
	s_delay_alu instid0(VALU_DEP_1) | instskip(SKIP_1) | instid1(SALU_CYCLE_1)
	v_add_f32_e32 v4, v4, v9
	s_add_i32 s13, s13, -1
	s_cmp_lg_u32 s13, 0
	ds_bpermute_b32 v4, v12, v4
	s_waitcnt lgkmcnt(0)
	v_cndmask_b32_e64 v4, v4, v9, s7
	s_delay_alu instid0(VALU_DEP_1) | instskip(NEXT) | instid1(VALU_DEP_1)
	v_cndmask_b32_e64 v13, v4, s12, s8
	v_add_f32_e32 v14, v5, v13
	s_delay_alu instid0(VALU_DEP_1) | instskip(NEXT) | instid1(VALU_DEP_1)
	v_add_f32_e32 v15, v6, v14
	v_add_f32_e32 v16, v7, v15
	s_delay_alu instid0(VALU_DEP_1) | instskip(NEXT) | instid1(VALU_DEP_1)
	v_add_f32_e32 v9, v8, v16
	;; [unrolled: 3-line block ×3, first 2 shown]
	v_add_f32_e32 v4, v3, v11
	s_cbranch_scc0 .LBB171_9
; %bb.8:                                ;   in Loop: Header=BB171_1 Depth=1
	v_dual_mov_b32 v5, v13 :: v_dual_mov_b32 v6, v14
	v_dual_mov_b32 v7, v15 :: v_dual_mov_b32 v8, v16
	;; [unrolled: 1-line block ×3, first 2 shown]
	v_mov_b32_e32 v3, v11
	s_branch .LBB171_1
.LBB171_9:
	v_add_co_u32 v0, vcc_lo, s10, v17
	v_add_co_ci_u32_e32 v1, vcc_lo, s11, v18, vcc_lo
	s_delay_alu instid0(VALU_DEP_3)
	v_mov_b32_e32 v12, v4
	s_clause 0x1
	global_store_b128 v[0:1], v[13:16], off
	global_store_b128 v[0:1], v[9:12], off offset:16
	s_nop 0
	s_sendmsg sendmsg(MSG_DEALLOC_VGPRS)
	s_endpgm
	.section	.rodata,"a",@progbits
	.p2align	6, 0x0
	.amdhsa_kernel _Z6kernelI14exclusive_scanILN6hipcub18BlockScanAlgorithmE0EEfLj64ELj8ELj100EEvPKT0_PS4_S4_
		.amdhsa_group_segment_fixed_size 8
		.amdhsa_private_segment_fixed_size 0
		.amdhsa_kernarg_size 280
		.amdhsa_user_sgpr_count 15
		.amdhsa_user_sgpr_dispatch_ptr 0
		.amdhsa_user_sgpr_queue_ptr 0
		.amdhsa_user_sgpr_kernarg_segment_ptr 1
		.amdhsa_user_sgpr_dispatch_id 0
		.amdhsa_user_sgpr_private_segment_size 0
		.amdhsa_wavefront_size32 1
		.amdhsa_uses_dynamic_stack 0
		.amdhsa_enable_private_segment 0
		.amdhsa_system_sgpr_workgroup_id_x 1
		.amdhsa_system_sgpr_workgroup_id_y 0
		.amdhsa_system_sgpr_workgroup_id_z 0
		.amdhsa_system_sgpr_workgroup_info 0
		.amdhsa_system_vgpr_workitem_id 0
		.amdhsa_next_free_vgpr 21
		.amdhsa_next_free_sgpr 16
		.amdhsa_reserve_vcc 1
		.amdhsa_float_round_mode_32 0
		.amdhsa_float_round_mode_16_64 0
		.amdhsa_float_denorm_mode_32 3
		.amdhsa_float_denorm_mode_16_64 3
		.amdhsa_dx10_clamp 1
		.amdhsa_ieee_mode 1
		.amdhsa_fp16_overflow 0
		.amdhsa_workgroup_processor_mode 1
		.amdhsa_memory_ordered 1
		.amdhsa_forward_progress 0
		.amdhsa_shared_vgpr_count 0
		.amdhsa_exception_fp_ieee_invalid_op 0
		.amdhsa_exception_fp_denorm_src 0
		.amdhsa_exception_fp_ieee_div_zero 0
		.amdhsa_exception_fp_ieee_overflow 0
		.amdhsa_exception_fp_ieee_underflow 0
		.amdhsa_exception_fp_ieee_inexact 0
		.amdhsa_exception_int_div_zero 0
	.end_amdhsa_kernel
	.section	.text._Z6kernelI14exclusive_scanILN6hipcub18BlockScanAlgorithmE0EEfLj64ELj8ELj100EEvPKT0_PS4_S4_,"axG",@progbits,_Z6kernelI14exclusive_scanILN6hipcub18BlockScanAlgorithmE0EEfLj64ELj8ELj100EEvPKT0_PS4_S4_,comdat
.Lfunc_end171:
	.size	_Z6kernelI14exclusive_scanILN6hipcub18BlockScanAlgorithmE0EEfLj64ELj8ELj100EEvPKT0_PS4_S4_, .Lfunc_end171-_Z6kernelI14exclusive_scanILN6hipcub18BlockScanAlgorithmE0EEfLj64ELj8ELj100EEvPKT0_PS4_S4_
                                        ; -- End function
	.section	.AMDGPU.csdata,"",@progbits
; Kernel info:
; codeLenInByte = 756
; NumSgprs: 18
; NumVgprs: 21
; ScratchSize: 0
; MemoryBound: 0
; FloatMode: 240
; IeeeMode: 1
; LDSByteSize: 8 bytes/workgroup (compile time only)
; SGPRBlocks: 2
; VGPRBlocks: 2
; NumSGPRsForWavesPerEU: 18
; NumVGPRsForWavesPerEU: 21
; Occupancy: 16
; WaveLimiterHint : 0
; COMPUTE_PGM_RSRC2:SCRATCH_EN: 0
; COMPUTE_PGM_RSRC2:USER_SGPR: 15
; COMPUTE_PGM_RSRC2:TRAP_HANDLER: 0
; COMPUTE_PGM_RSRC2:TGID_X_EN: 1
; COMPUTE_PGM_RSRC2:TGID_Y_EN: 0
; COMPUTE_PGM_RSRC2:TGID_Z_EN: 0
; COMPUTE_PGM_RSRC2:TIDIG_COMP_CNT: 0
	.section	.text._Z6kernelI14exclusive_scanILN6hipcub18BlockScanAlgorithmE0EEfLj64ELj11ELj100EEvPKT0_PS4_S4_,"axG",@progbits,_Z6kernelI14exclusive_scanILN6hipcub18BlockScanAlgorithmE0EEfLj64ELj11ELj100EEvPKT0_PS4_S4_,comdat
	.protected	_Z6kernelI14exclusive_scanILN6hipcub18BlockScanAlgorithmE0EEfLj64ELj11ELj100EEvPKT0_PS4_S4_ ; -- Begin function _Z6kernelI14exclusive_scanILN6hipcub18BlockScanAlgorithmE0EEfLj64ELj11ELj100EEvPKT0_PS4_S4_
	.globl	_Z6kernelI14exclusive_scanILN6hipcub18BlockScanAlgorithmE0EEfLj64ELj11ELj100EEvPKT0_PS4_S4_
	.p2align	8
	.type	_Z6kernelI14exclusive_scanILN6hipcub18BlockScanAlgorithmE0EEfLj64ELj11ELj100EEvPKT0_PS4_S4_,@function
_Z6kernelI14exclusive_scanILN6hipcub18BlockScanAlgorithmE0EEfLj64ELj11ELj100EEvPKT0_PS4_S4_: ; @_Z6kernelI14exclusive_scanILN6hipcub18BlockScanAlgorithmE0EEfLj64ELj11ELj100EEvPKT0_PS4_S4_
; %bb.0:
	s_clause 0x2
	s_load_b32 s2, s[0:1], 0x24
	s_load_b128 s[8:11], s[0:1], 0x0
	s_load_b32 s12, s[0:1], 0x10
	v_cmp_gt_u32_e64 s5, 2, v0
	v_cmp_lt_u32_e64 s6, 31, v0
	s_movk_i32 s13, 0x64
	s_waitcnt lgkmcnt(0)
	s_and_b32 s2, s2, 0xffff
	s_delay_alu instid0(SALU_CYCLE_1) | instskip(NEXT) | instid1(VALU_DEP_1)
	v_mad_u64_u32 v[1:2], null, s15, s2, v[0:1]
	v_mul_lo_u32 v21, v1, 11
	s_delay_alu instid0(VALU_DEP_1) | instskip(NEXT) | instid1(VALU_DEP_1)
	v_dual_mov_b32 v22, 0 :: v_dual_add_nc_u32 v1, 1, v21
	v_dual_mov_b32 v2, v22 :: v_dual_add_nc_u32 v3, 2, v21
	v_lshlrev_b64 v[15:16], 2, v[21:22]
	v_dual_mov_b32 v4, v22 :: v_dual_add_nc_u32 v5, 3, v21
	s_delay_alu instid0(VALU_DEP_3) | instskip(SKIP_1) | instid1(VALU_DEP_3)
	v_lshlrev_b64 v[17:18], 2, v[1:2]
	v_dual_mov_b32 v6, v22 :: v_dual_add_nc_u32 v7, 4, v21
	v_lshlrev_b64 v[13:14], 2, v[3:4]
	v_add_co_u32 v25, vcc_lo, s8, v15
	v_dual_mov_b32 v8, v22 :: v_dual_add_nc_u32 v11, 5, v21
	v_add_co_ci_u32_e32 v26, vcc_lo, s9, v16, vcc_lo
	v_lshlrev_b64 v[9:10], 2, v[5:6]
	v_add_co_u32 v27, vcc_lo, s8, v17
	v_dual_mov_b32 v12, v22 :: v_dual_add_nc_u32 v19, 6, v21
	v_add_co_ci_u32_e32 v28, vcc_lo, s9, v18, vcc_lo
	;; [unrolled: 4-line block ×4, first 2 shown]
	v_lshlrev_b64 v[1:2], 2, v[19:20]
	v_add_co_u32 v36, vcc_lo, s8, v5
	v_add_co_ci_u32_e32 v37, vcc_lo, s9, v6, vcc_lo
	v_add_co_u32 v38, vcc_lo, s8, v3
	v_lshlrev_b64 v[7:8], 2, v[23:24]
	v_add_nc_u32_e32 v19, 9, v21
	v_add_co_ci_u32_e32 v39, vcc_lo, s9, v4, vcc_lo
	v_add_co_u32 v23, vcc_lo, s8, v1
	v_lshlrev_b64 v[11:12], 2, v[11:12]
	v_add_nc_u32_e32 v21, 10, v21
	v_add_co_ci_u32_e32 v24, vcc_lo, s9, v2, vcc_lo
	v_add_co_u32 v40, vcc_lo, s8, v7
	v_lshlrev_b64 v[19:20], 2, v[19:20]
	v_add_co_ci_u32_e32 v41, vcc_lo, s9, v8, vcc_lo
	v_add_co_u32 v42, vcc_lo, s8, v11
	v_lshlrev_b64 v[21:22], 2, v[21:22]
	v_add_co_ci_u32_e32 v43, vcc_lo, s9, v12, vcc_lo
	v_add_co_u32 v44, vcc_lo, s8, v19
	v_add_co_ci_u32_e32 v45, vcc_lo, s9, v20, vcc_lo
	s_delay_alu instid0(VALU_DEP_4)
	v_add_co_u32 v46, vcc_lo, s8, v21
	v_add_co_ci_u32_e32 v47, vcc_lo, s9, v22, vcc_lo
	s_clause 0xa
	global_load_b32 v33, v[25:26], off
	global_load_b32 v32, v[27:28], off
	;; [unrolled: 1-line block ×11, first 2 shown]
	v_mbcnt_lo_u32_b32 v36, -1, 0
	v_or_b32_e32 v38, 31, v0
	v_cmp_eq_u32_e64 s8, 0, v0
	s_delay_alu instid0(VALU_DEP_3) | instskip(SKIP_3) | instid1(VALU_DEP_4)
	v_and_b32_e32 v35, 16, v36
	v_add_nc_u32_e32 v37, -1, v36
	v_and_b32_e32 v34, 15, v36
	v_cmp_eq_u32_e64 s7, 0, v36
	v_cmp_eq_u32_e64 s3, 0, v35
	s_delay_alu instid0(VALU_DEP_4)
	v_cmp_gt_i32_e64 s4, 0, v37
	v_lshrrev_b32_e32 v35, 3, v0
	v_cmp_eq_u32_e32 vcc_lo, 0, v34
	v_cmp_lt_u32_e64 s0, 1, v34
	v_cmp_lt_u32_e64 s1, 3, v34
	;; [unrolled: 1-line block ×3, first 2 shown]
	v_cndmask_b32_e64 v34, v37, v36, s4
	v_and_b32_e32 v37, 1, v36
	v_and_b32_e32 v35, 4, v35
	v_cmp_eq_u32_e64 s4, v38, v0
	v_lshlrev_b32_e32 v0, 2, v0
	v_lshlrev_b32_e32 v34, 2, v34
	v_cmp_eq_u32_e64 s9, 0, v37
	v_add_nc_u32_e32 v36, -4, v35
.LBB172_1:                              ; =>This Inner Loop Header: Depth=1
	s_waitcnt vmcnt(9)
	s_delay_alu instid0(VALU_DEP_1) | instskip(SKIP_1) | instid1(VALU_DEP_1)
	v_add_f32_e32 v37, v32, v33
	s_waitcnt vmcnt(8)
	v_add_f32_e32 v37, v31, v37
	s_waitcnt vmcnt(7)
	s_delay_alu instid0(VALU_DEP_1) | instskip(SKIP_1) | instid1(VALU_DEP_1)
	v_add_f32_e32 v37, v30, v37
	s_waitcnt vmcnt(6)
	v_add_f32_e32 v37, v29, v37
	;; [unrolled: 5-line block ×5, first 2 shown]
	s_delay_alu instid0(VALU_DEP_1) | instskip(NEXT) | instid1(VALU_DEP_1)
	v_mov_b32_dpp v37, v28 row_shr:1 row_mask:0xf bank_mask:0xf
	v_add_f32_e32 v37, v28, v37
	s_delay_alu instid0(VALU_DEP_1) | instskip(NEXT) | instid1(VALU_DEP_1)
	v_cndmask_b32_e32 v28, v37, v28, vcc_lo
	v_mov_b32_dpp v37, v28 row_shr:2 row_mask:0xf bank_mask:0xf
	s_delay_alu instid0(VALU_DEP_1) | instskip(NEXT) | instid1(VALU_DEP_1)
	v_add_f32_e32 v37, v28, v37
	v_cndmask_b32_e64 v28, v28, v37, s0
	s_delay_alu instid0(VALU_DEP_1) | instskip(NEXT) | instid1(VALU_DEP_1)
	v_mov_b32_dpp v37, v28 row_shr:4 row_mask:0xf bank_mask:0xf
	v_add_f32_e32 v37, v28, v37
	s_delay_alu instid0(VALU_DEP_1) | instskip(NEXT) | instid1(VALU_DEP_1)
	v_cndmask_b32_e64 v28, v28, v37, s1
	v_mov_b32_dpp v37, v28 row_shr:8 row_mask:0xf bank_mask:0xf
	s_delay_alu instid0(VALU_DEP_1) | instskip(NEXT) | instid1(VALU_DEP_1)
	v_add_f32_e32 v37, v28, v37
	v_cndmask_b32_e64 v28, v28, v37, s2
	ds_swizzle_b32 v37, v28 offset:swizzle(BROADCAST,32,15)
	s_waitcnt lgkmcnt(0)
	v_add_f32_e32 v37, v28, v37
	s_delay_alu instid0(VALU_DEP_1)
	v_cndmask_b32_e64 v28, v37, v28, s3
	s_and_saveexec_b32 s14, s4
	s_cbranch_execz .LBB172_3
; %bb.2:                                ;   in Loop: Header=BB172_1 Depth=1
	ds_store_b32 v35, v28
.LBB172_3:                              ;   in Loop: Header=BB172_1 Depth=1
	s_or_b32 exec_lo, exec_lo, s14
	s_waitcnt lgkmcnt(0)
	s_barrier
	buffer_gl0_inv
	s_and_saveexec_b32 s14, s5
	s_cbranch_execz .LBB172_5
; %bb.4:                                ;   in Loop: Header=BB172_1 Depth=1
	ds_load_b32 v37, v0
	s_waitcnt lgkmcnt(0)
	v_mov_b32_dpp v38, v37 row_shr:1 row_mask:0xf bank_mask:0xf
	s_delay_alu instid0(VALU_DEP_1) | instskip(NEXT) | instid1(VALU_DEP_1)
	v_add_f32_e32 v38, v37, v38
	v_cndmask_b32_e64 v37, v38, v37, s9
	ds_store_b32 v0, v37
.LBB172_5:                              ;   in Loop: Header=BB172_1 Depth=1
	s_or_b32 exec_lo, exec_lo, s14
	v_mov_b32_e32 v37, s12
	s_waitcnt lgkmcnt(0)
	s_barrier
	buffer_gl0_inv
	s_and_saveexec_b32 s14, s6
	s_cbranch_execz .LBB172_7
; %bb.6:                                ;   in Loop: Header=BB172_1 Depth=1
	ds_load_b32 v37, v36
	s_waitcnt lgkmcnt(0)
	v_add_f32_e32 v37, s12, v37
.LBB172_7:                              ;   in Loop: Header=BB172_1 Depth=1
	s_or_b32 exec_lo, exec_lo, s14
	s_delay_alu instid0(VALU_DEP_1) | instskip(SKIP_1) | instid1(SALU_CYCLE_1)
	v_add_f32_e32 v28, v28, v37
	s_add_i32 s13, s13, -1
	s_cmp_lg_u32 s13, 0
	ds_bpermute_b32 v28, v34, v28
	s_waitcnt lgkmcnt(0)
	v_cndmask_b32_e64 v28, v28, v37, s7
	s_delay_alu instid0(VALU_DEP_1) | instskip(NEXT) | instid1(VALU_DEP_1)
	v_cndmask_b32_e64 v37, v28, s12, s8
	v_add_f32_e32 v33, v33, v37
	s_delay_alu instid0(VALU_DEP_1) | instskip(NEXT) | instid1(VALU_DEP_1)
	v_add_f32_e32 v32, v32, v33
	v_add_f32_e32 v31, v31, v32
	s_delay_alu instid0(VALU_DEP_1) | instskip(NEXT) | instid1(VALU_DEP_1)
	v_add_f32_e32 v30, v30, v31
	;; [unrolled: 3-line block ×4, first 2 shown]
	v_add_f32_e32 v24, v24, v25
	s_delay_alu instid0(VALU_DEP_1)
	v_add_f32_e32 v28, v23, v24
	s_cbranch_scc0 .LBB172_9
; %bb.8:                                ;   in Loop: Header=BB172_1 Depth=1
	v_dual_mov_b32 v23, v24 :: v_dual_mov_b32 v24, v25
	v_dual_mov_b32 v25, v26 :: v_dual_mov_b32 v26, v27
	v_mov_b32_e32 v27, v29
	v_dual_mov_b32 v29, v30 :: v_dual_mov_b32 v30, v31
	v_dual_mov_b32 v31, v32 :: v_dual_mov_b32 v32, v33
	v_mov_b32_e32 v33, v37
	s_branch .LBB172_1
.LBB172_9:
	v_add_co_u32 v15, vcc_lo, s10, v15
	v_add_co_ci_u32_e32 v16, vcc_lo, s11, v16, vcc_lo
	v_add_co_u32 v17, vcc_lo, s10, v17
	v_add_co_ci_u32_e32 v18, vcc_lo, s11, v18, vcc_lo
	;; [unrolled: 2-line block ×11, first 2 shown]
	s_clause 0xa
	global_store_b32 v[15:16], v37, off
	global_store_b32 v[17:18], v33, off
	;; [unrolled: 1-line block ×11, first 2 shown]
	s_nop 0
	s_sendmsg sendmsg(MSG_DEALLOC_VGPRS)
	s_endpgm
	.section	.rodata,"a",@progbits
	.p2align	6, 0x0
	.amdhsa_kernel _Z6kernelI14exclusive_scanILN6hipcub18BlockScanAlgorithmE0EEfLj64ELj11ELj100EEvPKT0_PS4_S4_
		.amdhsa_group_segment_fixed_size 8
		.amdhsa_private_segment_fixed_size 0
		.amdhsa_kernarg_size 280
		.amdhsa_user_sgpr_count 15
		.amdhsa_user_sgpr_dispatch_ptr 0
		.amdhsa_user_sgpr_queue_ptr 0
		.amdhsa_user_sgpr_kernarg_segment_ptr 1
		.amdhsa_user_sgpr_dispatch_id 0
		.amdhsa_user_sgpr_private_segment_size 0
		.amdhsa_wavefront_size32 1
		.amdhsa_uses_dynamic_stack 0
		.amdhsa_enable_private_segment 0
		.amdhsa_system_sgpr_workgroup_id_x 1
		.amdhsa_system_sgpr_workgroup_id_y 0
		.amdhsa_system_sgpr_workgroup_id_z 0
		.amdhsa_system_sgpr_workgroup_info 0
		.amdhsa_system_vgpr_workitem_id 0
		.amdhsa_next_free_vgpr 48
		.amdhsa_next_free_sgpr 16
		.amdhsa_reserve_vcc 1
		.amdhsa_float_round_mode_32 0
		.amdhsa_float_round_mode_16_64 0
		.amdhsa_float_denorm_mode_32 3
		.amdhsa_float_denorm_mode_16_64 3
		.amdhsa_dx10_clamp 1
		.amdhsa_ieee_mode 1
		.amdhsa_fp16_overflow 0
		.amdhsa_workgroup_processor_mode 1
		.amdhsa_memory_ordered 1
		.amdhsa_forward_progress 0
		.amdhsa_shared_vgpr_count 0
		.amdhsa_exception_fp_ieee_invalid_op 0
		.amdhsa_exception_fp_denorm_src 0
		.amdhsa_exception_fp_ieee_div_zero 0
		.amdhsa_exception_fp_ieee_overflow 0
		.amdhsa_exception_fp_ieee_underflow 0
		.amdhsa_exception_fp_ieee_inexact 0
		.amdhsa_exception_int_div_zero 0
	.end_amdhsa_kernel
	.section	.text._Z6kernelI14exclusive_scanILN6hipcub18BlockScanAlgorithmE0EEfLj64ELj11ELj100EEvPKT0_PS4_S4_,"axG",@progbits,_Z6kernelI14exclusive_scanILN6hipcub18BlockScanAlgorithmE0EEfLj64ELj11ELj100EEvPKT0_PS4_S4_,comdat
.Lfunc_end172:
	.size	_Z6kernelI14exclusive_scanILN6hipcub18BlockScanAlgorithmE0EEfLj64ELj11ELj100EEvPKT0_PS4_S4_, .Lfunc_end172-_Z6kernelI14exclusive_scanILN6hipcub18BlockScanAlgorithmE0EEfLj64ELj11ELj100EEvPKT0_PS4_S4_
                                        ; -- End function
	.section	.AMDGPU.csdata,"",@progbits
; Kernel info:
; codeLenInByte = 1376
; NumSgprs: 18
; NumVgprs: 48
; ScratchSize: 0
; MemoryBound: 0
; FloatMode: 240
; IeeeMode: 1
; LDSByteSize: 8 bytes/workgroup (compile time only)
; SGPRBlocks: 2
; VGPRBlocks: 5
; NumSGPRsForWavesPerEU: 18
; NumVGPRsForWavesPerEU: 48
; Occupancy: 16
; WaveLimiterHint : 0
; COMPUTE_PGM_RSRC2:SCRATCH_EN: 0
; COMPUTE_PGM_RSRC2:USER_SGPR: 15
; COMPUTE_PGM_RSRC2:TRAP_HANDLER: 0
; COMPUTE_PGM_RSRC2:TGID_X_EN: 1
; COMPUTE_PGM_RSRC2:TGID_Y_EN: 0
; COMPUTE_PGM_RSRC2:TGID_Z_EN: 0
; COMPUTE_PGM_RSRC2:TIDIG_COMP_CNT: 0
	.section	.text._Z6kernelI14exclusive_scanILN6hipcub18BlockScanAlgorithmE0EEfLj64ELj16ELj100EEvPKT0_PS4_S4_,"axG",@progbits,_Z6kernelI14exclusive_scanILN6hipcub18BlockScanAlgorithmE0EEfLj64ELj16ELj100EEvPKT0_PS4_S4_,comdat
	.protected	_Z6kernelI14exclusive_scanILN6hipcub18BlockScanAlgorithmE0EEfLj64ELj16ELj100EEvPKT0_PS4_S4_ ; -- Begin function _Z6kernelI14exclusive_scanILN6hipcub18BlockScanAlgorithmE0EEfLj64ELj16ELj100EEvPKT0_PS4_S4_
	.globl	_Z6kernelI14exclusive_scanILN6hipcub18BlockScanAlgorithmE0EEfLj64ELj16ELj100EEvPKT0_PS4_S4_
	.p2align	8
	.type	_Z6kernelI14exclusive_scanILN6hipcub18BlockScanAlgorithmE0EEfLj64ELj16ELj100EEvPKT0_PS4_S4_,@function
_Z6kernelI14exclusive_scanILN6hipcub18BlockScanAlgorithmE0EEfLj64ELj16ELj100EEvPKT0_PS4_S4_: ; @_Z6kernelI14exclusive_scanILN6hipcub18BlockScanAlgorithmE0EEfLj64ELj16ELj100EEvPKT0_PS4_S4_
; %bb.0:
	s_clause 0x1
	s_load_b32 s2, s[0:1], 0x24
	s_load_b128 s[8:11], s[0:1], 0x0
	v_mbcnt_lo_u32_b32 v17, -1, 0
	v_mov_b32_e32 v2, 0
	s_load_b32 s12, s[0:1], 0x10
	v_or_b32_e32 v23, 31, v0
	v_cmp_gt_u32_e64 s5, 2, v0
	v_and_b32_e32 v19, 16, v17
	v_add_nc_u32_e32 v20, -1, v17
	v_and_b32_e32 v18, 15, v17
	v_cmp_lt_u32_e64 s6, 31, v0
	v_cmp_eq_u32_e64 s7, 0, v17
	v_cmp_eq_u32_e64 s3, 0, v19
	v_cmp_gt_i32_e64 s4, 0, v20
	v_cmp_lt_u32_e64 s0, 1, v18
	v_cmp_lt_u32_e64 s1, 3, v18
	v_lshrrev_b32_e32 v19, 3, v0
	v_lshlrev_b32_e32 v25, 2, v0
	s_movk_i32 s13, 0x64
	s_waitcnt lgkmcnt(0)
	s_and_b32 s2, s2, 0xffff
	v_and_b32_e32 v24, 4, v19
	s_mul_i32 s15, s15, s2
	v_cmp_lt_u32_e64 s2, 7, v18
	v_add_lshl_u32 v1, s15, v0, 4
	s_delay_alu instid0(VALU_DEP_3) | instskip(NEXT) | instid1(VALU_DEP_2)
	v_add_nc_u32_e32 v26, -4, v24
	v_lshlrev_b64 v[21:22], 2, v[1:2]
	s_delay_alu instid0(VALU_DEP_1) | instskip(NEXT) | instid1(VALU_DEP_2)
	v_add_co_u32 v1, vcc_lo, s8, v21
	v_add_co_ci_u32_e32 v2, vcc_lo, s9, v22, vcc_lo
	v_cmp_eq_u32_e32 vcc_lo, 0, v18
	v_cndmask_b32_e64 v18, v20, v17, s4
	v_cmp_eq_u32_e64 s4, v23, v0
	s_clause 0x3
	global_load_b128 v[13:16], v[1:2], off
	global_load_b128 v[9:12], v[1:2], off offset:16
	global_load_b128 v[5:8], v[1:2], off offset:32
	;; [unrolled: 1-line block ×3, first 2 shown]
	v_cmp_eq_u32_e64 s8, 0, v0
	v_lshlrev_b32_e32 v23, 2, v18
	v_and_b32_e32 v18, 1, v17
	s_delay_alu instid0(VALU_DEP_1)
	v_cmp_eq_u32_e64 s9, 0, v18
.LBB173_1:                              ; =>This Inner Loop Header: Depth=1
	s_waitcnt vmcnt(3)
	s_delay_alu instid0(VALU_DEP_1) | instskip(NEXT) | instid1(VALU_DEP_1)
	v_add_f32_e32 v0, v14, v13
	v_add_f32_e32 v0, v15, v0
	s_delay_alu instid0(VALU_DEP_1) | instskip(SKIP_1) | instid1(VALU_DEP_1)
	v_add_f32_e32 v0, v16, v0
	s_waitcnt vmcnt(2)
	v_add_f32_e32 v0, v9, v0
	s_delay_alu instid0(VALU_DEP_1) | instskip(NEXT) | instid1(VALU_DEP_1)
	v_add_f32_e32 v0, v10, v0
	v_add_f32_e32 v0, v11, v0
	s_delay_alu instid0(VALU_DEP_1) | instskip(SKIP_1) | instid1(VALU_DEP_1)
	v_add_f32_e32 v0, v12, v0
	s_waitcnt vmcnt(1)
	v_add_f32_e32 v0, v5, v0
	;; [unrolled: 7-line block ×3, first 2 shown]
	s_delay_alu instid0(VALU_DEP_1) | instskip(NEXT) | instid1(VALU_DEP_1)
	v_add_f32_e32 v0, v2, v0
	v_add_f32_e32 v0, v3, v0
	s_delay_alu instid0(VALU_DEP_1) | instskip(NEXT) | instid1(VALU_DEP_1)
	v_add_f32_e32 v0, v4, v0
	v_mov_b32_dpp v4, v0 row_shr:1 row_mask:0xf bank_mask:0xf
	s_delay_alu instid0(VALU_DEP_1) | instskip(NEXT) | instid1(VALU_DEP_1)
	v_add_f32_e32 v4, v0, v4
	v_cndmask_b32_e32 v0, v4, v0, vcc_lo
	s_delay_alu instid0(VALU_DEP_1) | instskip(NEXT) | instid1(VALU_DEP_1)
	v_mov_b32_dpp v4, v0 row_shr:2 row_mask:0xf bank_mask:0xf
	v_add_f32_e32 v4, v0, v4
	s_delay_alu instid0(VALU_DEP_1) | instskip(NEXT) | instid1(VALU_DEP_1)
	v_cndmask_b32_e64 v0, v0, v4, s0
	v_mov_b32_dpp v4, v0 row_shr:4 row_mask:0xf bank_mask:0xf
	s_delay_alu instid0(VALU_DEP_1) | instskip(NEXT) | instid1(VALU_DEP_1)
	v_add_f32_e32 v4, v0, v4
	v_cndmask_b32_e64 v0, v0, v4, s1
	s_delay_alu instid0(VALU_DEP_1) | instskip(NEXT) | instid1(VALU_DEP_1)
	v_mov_b32_dpp v4, v0 row_shr:8 row_mask:0xf bank_mask:0xf
	v_add_f32_e32 v4, v0, v4
	s_delay_alu instid0(VALU_DEP_1) | instskip(SKIP_3) | instid1(VALU_DEP_1)
	v_cndmask_b32_e64 v0, v0, v4, s2
	ds_swizzle_b32 v4, v0 offset:swizzle(BROADCAST,32,15)
	s_waitcnt lgkmcnt(0)
	v_add_f32_e32 v4, v0, v4
	v_cndmask_b32_e64 v0, v4, v0, s3
	s_and_saveexec_b32 s14, s4
	s_cbranch_execz .LBB173_3
; %bb.2:                                ;   in Loop: Header=BB173_1 Depth=1
	ds_store_b32 v24, v0
.LBB173_3:                              ;   in Loop: Header=BB173_1 Depth=1
	s_or_b32 exec_lo, exec_lo, s14
	s_waitcnt lgkmcnt(0)
	s_barrier
	buffer_gl0_inv
	s_and_saveexec_b32 s14, s5
	s_cbranch_execz .LBB173_5
; %bb.4:                                ;   in Loop: Header=BB173_1 Depth=1
	ds_load_b32 v4, v25
	s_waitcnt lgkmcnt(0)
	v_mov_b32_dpp v17, v4 row_shr:1 row_mask:0xf bank_mask:0xf
	s_delay_alu instid0(VALU_DEP_1) | instskip(NEXT) | instid1(VALU_DEP_1)
	v_add_f32_e32 v17, v4, v17
	v_cndmask_b32_e64 v4, v17, v4, s9
	ds_store_b32 v25, v4
.LBB173_5:                              ;   in Loop: Header=BB173_1 Depth=1
	s_or_b32 exec_lo, exec_lo, s14
	v_mov_b32_e32 v4, s12
	s_waitcnt lgkmcnt(0)
	s_barrier
	buffer_gl0_inv
	s_and_saveexec_b32 s14, s6
	s_cbranch_execz .LBB173_7
; %bb.6:                                ;   in Loop: Header=BB173_1 Depth=1
	ds_load_b32 v4, v26
	s_waitcnt lgkmcnt(0)
	v_add_f32_e32 v4, s12, v4
.LBB173_7:                              ;   in Loop: Header=BB173_1 Depth=1
	s_or_b32 exec_lo, exec_lo, s14
	s_delay_alu instid0(VALU_DEP_1) | instskip(SKIP_1) | instid1(SALU_CYCLE_1)
	v_add_f32_e32 v0, v0, v4
	s_add_i32 s13, s13, -1
	s_cmp_lg_u32 s13, 0
	ds_bpermute_b32 v0, v23, v0
	s_waitcnt lgkmcnt(0)
	v_cndmask_b32_e64 v0, v0, v4, s7
	s_delay_alu instid0(VALU_DEP_1) | instskip(NEXT) | instid1(VALU_DEP_1)
	v_cndmask_b32_e64 v17, v0, s12, s8
	v_add_f32_e32 v18, v13, v17
	s_delay_alu instid0(VALU_DEP_1) | instskip(NEXT) | instid1(VALU_DEP_1)
	v_add_f32_e32 v19, v14, v18
	v_add_f32_e32 v20, v15, v19
	s_delay_alu instid0(VALU_DEP_1) | instskip(NEXT) | instid1(VALU_DEP_1)
	v_add_f32_e32 v13, v16, v20
	;; [unrolled: 3-line block ×7, first 2 shown]
	v_add_f32_e32 v4, v3, v2
	s_cbranch_scc0 .LBB173_9
; %bb.8:                                ;   in Loop: Header=BB173_1 Depth=1
	v_dual_mov_b32 v3, v2 :: v_dual_mov_b32 v2, v1
	v_dual_mov_b32 v1, v0 :: v_dual_mov_b32 v6, v10
	;; [unrolled: 1-line block ×7, first 2 shown]
	v_mov_b32_e32 v13, v17
	s_branch .LBB173_1
.LBB173_9:
	v_add_co_u32 v5, vcc_lo, s10, v21
	v_add_co_ci_u32_e32 v6, vcc_lo, s11, v22, vcc_lo
	s_delay_alu instid0(VALU_DEP_3)
	v_mov_b32_e32 v3, v4
	s_clause 0x3
	global_store_b128 v[5:6], v[17:20], off
	global_store_b128 v[5:6], v[13:16], off offset:16
	global_store_b128 v[5:6], v[9:12], off offset:32
	;; [unrolled: 1-line block ×3, first 2 shown]
	s_nop 0
	s_sendmsg sendmsg(MSG_DEALLOC_VGPRS)
	s_endpgm
	.section	.rodata,"a",@progbits
	.p2align	6, 0x0
	.amdhsa_kernel _Z6kernelI14exclusive_scanILN6hipcub18BlockScanAlgorithmE0EEfLj64ELj16ELj100EEvPKT0_PS4_S4_
		.amdhsa_group_segment_fixed_size 8
		.amdhsa_private_segment_fixed_size 0
		.amdhsa_kernarg_size 280
		.amdhsa_user_sgpr_count 15
		.amdhsa_user_sgpr_dispatch_ptr 0
		.amdhsa_user_sgpr_queue_ptr 0
		.amdhsa_user_sgpr_kernarg_segment_ptr 1
		.amdhsa_user_sgpr_dispatch_id 0
		.amdhsa_user_sgpr_private_segment_size 0
		.amdhsa_wavefront_size32 1
		.amdhsa_uses_dynamic_stack 0
		.amdhsa_enable_private_segment 0
		.amdhsa_system_sgpr_workgroup_id_x 1
		.amdhsa_system_sgpr_workgroup_id_y 0
		.amdhsa_system_sgpr_workgroup_id_z 0
		.amdhsa_system_sgpr_workgroup_info 0
		.amdhsa_system_vgpr_workitem_id 0
		.amdhsa_next_free_vgpr 27
		.amdhsa_next_free_sgpr 16
		.amdhsa_reserve_vcc 1
		.amdhsa_float_round_mode_32 0
		.amdhsa_float_round_mode_16_64 0
		.amdhsa_float_denorm_mode_32 3
		.amdhsa_float_denorm_mode_16_64 3
		.amdhsa_dx10_clamp 1
		.amdhsa_ieee_mode 1
		.amdhsa_fp16_overflow 0
		.amdhsa_workgroup_processor_mode 1
		.amdhsa_memory_ordered 1
		.amdhsa_forward_progress 0
		.amdhsa_shared_vgpr_count 0
		.amdhsa_exception_fp_ieee_invalid_op 0
		.amdhsa_exception_fp_denorm_src 0
		.amdhsa_exception_fp_ieee_div_zero 0
		.amdhsa_exception_fp_ieee_overflow 0
		.amdhsa_exception_fp_ieee_underflow 0
		.amdhsa_exception_fp_ieee_inexact 0
		.amdhsa_exception_int_div_zero 0
	.end_amdhsa_kernel
	.section	.text._Z6kernelI14exclusive_scanILN6hipcub18BlockScanAlgorithmE0EEfLj64ELj16ELj100EEvPKT0_PS4_S4_,"axG",@progbits,_Z6kernelI14exclusive_scanILN6hipcub18BlockScanAlgorithmE0EEfLj64ELj16ELj100EEvPKT0_PS4_S4_,comdat
.Lfunc_end173:
	.size	_Z6kernelI14exclusive_scanILN6hipcub18BlockScanAlgorithmE0EEfLj64ELj16ELj100EEvPKT0_PS4_S4_, .Lfunc_end173-_Z6kernelI14exclusive_scanILN6hipcub18BlockScanAlgorithmE0EEfLj64ELj16ELj100EEvPKT0_PS4_S4_
                                        ; -- End function
	.section	.AMDGPU.csdata,"",@progbits
; Kernel info:
; codeLenInByte = 920
; NumSgprs: 18
; NumVgprs: 27
; ScratchSize: 0
; MemoryBound: 0
; FloatMode: 240
; IeeeMode: 1
; LDSByteSize: 8 bytes/workgroup (compile time only)
; SGPRBlocks: 2
; VGPRBlocks: 3
; NumSGPRsForWavesPerEU: 18
; NumVGPRsForWavesPerEU: 27
; Occupancy: 16
; WaveLimiterHint : 0
; COMPUTE_PGM_RSRC2:SCRATCH_EN: 0
; COMPUTE_PGM_RSRC2:USER_SGPR: 15
; COMPUTE_PGM_RSRC2:TRAP_HANDLER: 0
; COMPUTE_PGM_RSRC2:TGID_X_EN: 1
; COMPUTE_PGM_RSRC2:TGID_Y_EN: 0
; COMPUTE_PGM_RSRC2:TGID_Z_EN: 0
; COMPUTE_PGM_RSRC2:TIDIG_COMP_CNT: 0
	.section	.text._Z6kernelI14exclusive_scanILN6hipcub18BlockScanAlgorithmE0EEdLj64ELj1ELj100EEvPKT0_PS4_S4_,"axG",@progbits,_Z6kernelI14exclusive_scanILN6hipcub18BlockScanAlgorithmE0EEdLj64ELj1ELj100EEvPKT0_PS4_S4_,comdat
	.protected	_Z6kernelI14exclusive_scanILN6hipcub18BlockScanAlgorithmE0EEdLj64ELj1ELj100EEvPKT0_PS4_S4_ ; -- Begin function _Z6kernelI14exclusive_scanILN6hipcub18BlockScanAlgorithmE0EEdLj64ELj1ELj100EEvPKT0_PS4_S4_
	.globl	_Z6kernelI14exclusive_scanILN6hipcub18BlockScanAlgorithmE0EEdLj64ELj1ELj100EEvPKT0_PS4_S4_
	.p2align	8
	.type	_Z6kernelI14exclusive_scanILN6hipcub18BlockScanAlgorithmE0EEdLj64ELj1ELj100EEvPKT0_PS4_S4_,@function
_Z6kernelI14exclusive_scanILN6hipcub18BlockScanAlgorithmE0EEdLj64ELj1ELj100EEvPKT0_PS4_S4_: ; @_Z6kernelI14exclusive_scanILN6hipcub18BlockScanAlgorithmE0EEdLj64ELj1ELj100EEvPKT0_PS4_S4_
; %bb.0:
	s_clause 0x1
	s_load_b32 s2, s[0:1], 0x24
	s_load_b128 s[8:11], s[0:1], 0x0
	v_mbcnt_lo_u32_b32 v5, -1, 0
	s_load_b64 s[12:13], s[0:1], 0x10
	v_or_b32_e32 v8, 31, v0
	v_cmp_lt_u32_e64 s6, 31, v0
	s_delay_alu instid0(VALU_DEP_3) | instskip(SKIP_1) | instid1(VALU_DEP_4)
	v_and_b32_e32 v6, 15, v5
	v_add_nc_u32_e32 v9, -1, v5
	v_cmp_eq_u32_e64 s4, v8, v0
	v_and_b32_e32 v8, 1, v5
	v_cmp_eq_u32_e64 s7, 0, v5
	v_cmp_lt_u32_e64 s0, 1, v6
	v_cmp_lt_u32_e64 s1, 3, v6
	v_cmp_gt_i32_e64 s5, 0, v9
	v_and_b32_e32 v7, 16, v5
	s_waitcnt lgkmcnt(0)
	s_and_b32 s2, s2, 0xffff
	s_delay_alu instid0(VALU_DEP_1)
	v_cmp_ne_u32_e64 s3, 0, v7
	v_mad_u64_u32 v[1:2], null, s15, s2, v[0:1]
	v_mov_b32_e32 v2, 0
	v_cmp_lt_u32_e64 s2, 7, v6
	v_cndmask_b32_e64 v7, v9, v5, s5
	v_cmp_gt_u32_e64 s5, 2, v0
	s_delay_alu instid0(VALU_DEP_4) | instskip(NEXT) | instid1(VALU_DEP_3)
	v_lshlrev_b64 v[1:2], 3, v[1:2]
	v_lshlrev_b32_e32 v10, 2, v7
	s_delay_alu instid0(VALU_DEP_2) | instskip(NEXT) | instid1(VALU_DEP_3)
	v_add_co_u32 v3, vcc_lo, s8, v1
	v_add_co_ci_u32_e32 v4, vcc_lo, s9, v2, vcc_lo
	v_cmp_ne_u32_e32 vcc_lo, 0, v6
	v_lshrrev_b32_e32 v6, 2, v0
	v_lshlrev_b32_e32 v0, 3, v0
	global_load_b64 v[3:4], v[3:4], off
	v_cmp_eq_u32_e64 s8, 1, v8
	s_movk_i32 s9, 0x64
	v_and_b32_e32 v9, 8, v6
	s_delay_alu instid0(VALU_DEP_1)
	v_add_nc_u32_e32 v11, -8, v9
	s_branch .LBB174_2
.LBB174_1:                              ;   in Loop: Header=BB174_2 Depth=1
	s_or_b32 exec_lo, exec_lo, s14
	s_delay_alu instid0(VALU_DEP_1) | instskip(SKIP_1) | instid1(SALU_CYCLE_1)
	v_add_f64 v[3:4], v[3:4], v[5:6]
	s_add_i32 s9, s9, -1
	s_cmp_lg_u32 s9, 0
	ds_bpermute_b32 v4, v10, v4
	ds_bpermute_b32 v3, v10, v3
	s_waitcnt lgkmcnt(1)
	v_cndmask_b32_e64 v4, v4, v6, s7
	s_waitcnt lgkmcnt(0)
	v_cndmask_b32_e64 v3, v3, v5, s7
	s_cbranch_scc0 .LBB174_20
.LBB174_2:                              ; =>This Inner Loop Header: Depth=1
	s_waitcnt vmcnt(0)
	s_delay_alu instid0(VALU_DEP_1)
	v_mov_b32_dpp v5, v3 row_shr:1 row_mask:0xf bank_mask:0xf
	v_mov_b32_dpp v6, v4 row_shr:1 row_mask:0xf bank_mask:0xf
	s_and_saveexec_b32 s14, vcc_lo
; %bb.3:                                ;   in Loop: Header=BB174_2 Depth=1
	s_delay_alu instid0(VALU_DEP_1)
	v_add_f64 v[3:4], v[3:4], v[5:6]
; %bb.4:                                ;   in Loop: Header=BB174_2 Depth=1
	s_or_b32 exec_lo, exec_lo, s14
	s_delay_alu instid0(VALU_DEP_1) | instskip(NEXT) | instid1(VALU_DEP_2)
	v_mov_b32_dpp v5, v3 row_shr:2 row_mask:0xf bank_mask:0xf
	v_mov_b32_dpp v6, v4 row_shr:2 row_mask:0xf bank_mask:0xf
	s_and_saveexec_b32 s14, s0
; %bb.5:                                ;   in Loop: Header=BB174_2 Depth=1
	s_delay_alu instid0(VALU_DEP_1)
	v_add_f64 v[3:4], v[3:4], v[5:6]
; %bb.6:                                ;   in Loop: Header=BB174_2 Depth=1
	s_or_b32 exec_lo, exec_lo, s14
	s_delay_alu instid0(VALU_DEP_1) | instskip(NEXT) | instid1(VALU_DEP_2)
	v_mov_b32_dpp v5, v3 row_shr:4 row_mask:0xf bank_mask:0xf
	v_mov_b32_dpp v6, v4 row_shr:4 row_mask:0xf bank_mask:0xf
	s_and_saveexec_b32 s14, s1
	;; [unrolled: 9-line block ×3, first 2 shown]
; %bb.9:                                ;   in Loop: Header=BB174_2 Depth=1
	s_delay_alu instid0(VALU_DEP_1)
	v_add_f64 v[3:4], v[3:4], v[5:6]
; %bb.10:                               ;   in Loop: Header=BB174_2 Depth=1
	s_or_b32 exec_lo, exec_lo, s14
	ds_swizzle_b32 v5, v3 offset:swizzle(BROADCAST,32,15)
	ds_swizzle_b32 v6, v4 offset:swizzle(BROADCAST,32,15)
	s_and_saveexec_b32 s14, s3
	s_cbranch_execz .LBB174_12
; %bb.11:                               ;   in Loop: Header=BB174_2 Depth=1
	s_waitcnt lgkmcnt(0)
	v_add_f64 v[3:4], v[3:4], v[5:6]
.LBB174_12:                             ;   in Loop: Header=BB174_2 Depth=1
	s_or_b32 exec_lo, exec_lo, s14
	s_and_saveexec_b32 s14, s4
	s_cbranch_execz .LBB174_14
; %bb.13:                               ;   in Loop: Header=BB174_2 Depth=1
	ds_store_b64 v9, v[3:4]
.LBB174_14:                             ;   in Loop: Header=BB174_2 Depth=1
	s_or_b32 exec_lo, exec_lo, s14
	s_waitcnt lgkmcnt(0)
	s_barrier
	buffer_gl0_inv
	s_and_saveexec_b32 s14, s5
	s_cbranch_execz .LBB174_18
; %bb.15:                               ;   in Loop: Header=BB174_2 Depth=1
	ds_load_b64 v[5:6], v0
	s_waitcnt lgkmcnt(0)
	v_mov_b32_dpp v7, v5 row_shr:1 row_mask:0xf bank_mask:0xf
	v_mov_b32_dpp v8, v6 row_shr:1 row_mask:0xf bank_mask:0xf
	s_and_saveexec_b32 s15, s8
; %bb.16:                               ;   in Loop: Header=BB174_2 Depth=1
	s_delay_alu instid0(VALU_DEP_1)
	v_add_f64 v[5:6], v[5:6], v[7:8]
; %bb.17:                               ;   in Loop: Header=BB174_2 Depth=1
	s_or_b32 exec_lo, exec_lo, s15
	ds_store_b64 v0, v[5:6]
.LBB174_18:                             ;   in Loop: Header=BB174_2 Depth=1
	s_or_b32 exec_lo, exec_lo, s14
	v_dual_mov_b32 v5, s12 :: v_dual_mov_b32 v6, s13
	s_waitcnt lgkmcnt(0)
	s_barrier
	buffer_gl0_inv
	s_and_saveexec_b32 s14, s6
	s_cbranch_execz .LBB174_1
; %bb.19:                               ;   in Loop: Header=BB174_2 Depth=1
	ds_load_b64 v[5:6], v11
	s_waitcnt lgkmcnt(0)
	v_add_f64 v[5:6], v[5:6], s[12:13]
	s_branch .LBB174_1
.LBB174_20:
	v_add_co_u32 v0, vcc_lo, s10, v1
	v_add_co_ci_u32_e32 v1, vcc_lo, s11, v2, vcc_lo
	global_store_b64 v[0:1], v[3:4], off
	s_nop 0
	s_sendmsg sendmsg(MSG_DEALLOC_VGPRS)
	s_endpgm
	.section	.rodata,"a",@progbits
	.p2align	6, 0x0
	.amdhsa_kernel _Z6kernelI14exclusive_scanILN6hipcub18BlockScanAlgorithmE0EEdLj64ELj1ELj100EEvPKT0_PS4_S4_
		.amdhsa_group_segment_fixed_size 16
		.amdhsa_private_segment_fixed_size 0
		.amdhsa_kernarg_size 280
		.amdhsa_user_sgpr_count 15
		.amdhsa_user_sgpr_dispatch_ptr 0
		.amdhsa_user_sgpr_queue_ptr 0
		.amdhsa_user_sgpr_kernarg_segment_ptr 1
		.amdhsa_user_sgpr_dispatch_id 0
		.amdhsa_user_sgpr_private_segment_size 0
		.amdhsa_wavefront_size32 1
		.amdhsa_uses_dynamic_stack 0
		.amdhsa_enable_private_segment 0
		.amdhsa_system_sgpr_workgroup_id_x 1
		.amdhsa_system_sgpr_workgroup_id_y 0
		.amdhsa_system_sgpr_workgroup_id_z 0
		.amdhsa_system_sgpr_workgroup_info 0
		.amdhsa_system_vgpr_workitem_id 0
		.amdhsa_next_free_vgpr 12
		.amdhsa_next_free_sgpr 16
		.amdhsa_reserve_vcc 1
		.amdhsa_float_round_mode_32 0
		.amdhsa_float_round_mode_16_64 0
		.amdhsa_float_denorm_mode_32 3
		.amdhsa_float_denorm_mode_16_64 3
		.amdhsa_dx10_clamp 1
		.amdhsa_ieee_mode 1
		.amdhsa_fp16_overflow 0
		.amdhsa_workgroup_processor_mode 1
		.amdhsa_memory_ordered 1
		.amdhsa_forward_progress 0
		.amdhsa_shared_vgpr_count 0
		.amdhsa_exception_fp_ieee_invalid_op 0
		.amdhsa_exception_fp_denorm_src 0
		.amdhsa_exception_fp_ieee_div_zero 0
		.amdhsa_exception_fp_ieee_overflow 0
		.amdhsa_exception_fp_ieee_underflow 0
		.amdhsa_exception_fp_ieee_inexact 0
		.amdhsa_exception_int_div_zero 0
	.end_amdhsa_kernel
	.section	.text._Z6kernelI14exclusive_scanILN6hipcub18BlockScanAlgorithmE0EEdLj64ELj1ELj100EEvPKT0_PS4_S4_,"axG",@progbits,_Z6kernelI14exclusive_scanILN6hipcub18BlockScanAlgorithmE0EEdLj64ELj1ELj100EEvPKT0_PS4_S4_,comdat
.Lfunc_end174:
	.size	_Z6kernelI14exclusive_scanILN6hipcub18BlockScanAlgorithmE0EEdLj64ELj1ELj100EEvPKT0_PS4_S4_, .Lfunc_end174-_Z6kernelI14exclusive_scanILN6hipcub18BlockScanAlgorithmE0EEdLj64ELj1ELj100EEvPKT0_PS4_S4_
                                        ; -- End function
	.section	.AMDGPU.csdata,"",@progbits
; Kernel info:
; codeLenInByte = 712
; NumSgprs: 18
; NumVgprs: 12
; ScratchSize: 0
; MemoryBound: 0
; FloatMode: 240
; IeeeMode: 1
; LDSByteSize: 16 bytes/workgroup (compile time only)
; SGPRBlocks: 2
; VGPRBlocks: 1
; NumSGPRsForWavesPerEU: 18
; NumVGPRsForWavesPerEU: 12
; Occupancy: 16
; WaveLimiterHint : 0
; COMPUTE_PGM_RSRC2:SCRATCH_EN: 0
; COMPUTE_PGM_RSRC2:USER_SGPR: 15
; COMPUTE_PGM_RSRC2:TRAP_HANDLER: 0
; COMPUTE_PGM_RSRC2:TGID_X_EN: 1
; COMPUTE_PGM_RSRC2:TGID_Y_EN: 0
; COMPUTE_PGM_RSRC2:TGID_Z_EN: 0
; COMPUTE_PGM_RSRC2:TIDIG_COMP_CNT: 0
	.section	.text._Z6kernelI14exclusive_scanILN6hipcub18BlockScanAlgorithmE0EEdLj64ELj3ELj100EEvPKT0_PS4_S4_,"axG",@progbits,_Z6kernelI14exclusive_scanILN6hipcub18BlockScanAlgorithmE0EEdLj64ELj3ELj100EEvPKT0_PS4_S4_,comdat
	.protected	_Z6kernelI14exclusive_scanILN6hipcub18BlockScanAlgorithmE0EEdLj64ELj3ELj100EEvPKT0_PS4_S4_ ; -- Begin function _Z6kernelI14exclusive_scanILN6hipcub18BlockScanAlgorithmE0EEdLj64ELj3ELj100EEvPKT0_PS4_S4_
	.globl	_Z6kernelI14exclusive_scanILN6hipcub18BlockScanAlgorithmE0EEdLj64ELj3ELj100EEvPKT0_PS4_S4_
	.p2align	8
	.type	_Z6kernelI14exclusive_scanILN6hipcub18BlockScanAlgorithmE0EEdLj64ELj3ELj100EEvPKT0_PS4_S4_,@function
_Z6kernelI14exclusive_scanILN6hipcub18BlockScanAlgorithmE0EEdLj64ELj3ELj100EEvPKT0_PS4_S4_: ; @_Z6kernelI14exclusive_scanILN6hipcub18BlockScanAlgorithmE0EEdLj64ELj3ELj100EEvPKT0_PS4_S4_
; %bb.0:
	s_clause 0x2
	s_load_b32 s2, s[0:1], 0x24
	s_load_b128 s[8:11], s[0:1], 0x0
	s_load_b64 s[12:13], s[0:1], 0x10
	v_mbcnt_lo_u32_b32 v13, -1, 0
	v_or_b32_e32 v17, 31, v0
	v_cmp_gt_u32_e64 s5, 2, v0
	v_cmp_lt_u32_e64 s6, 31, v0
	s_movk_i32 s14, 0x64
	v_add_nc_u32_e32 v16, -1, v13
	v_and_b32_e32 v14, 15, v13
	v_and_b32_e32 v15, 16, v13
	v_cmp_eq_u32_e64 s7, 0, v13
	s_delay_alu instid0(VALU_DEP_4) | instskip(NEXT) | instid1(VALU_DEP_4)
	v_cmp_gt_i32_e64 s4, 0, v16
	v_cmp_lt_u32_e64 s0, 1, v14
	v_cmp_lt_u32_e64 s1, 3, v14
	v_cmp_ne_u32_e64 s3, 0, v15
	v_lshrrev_b32_e32 v15, 2, v0
	s_waitcnt lgkmcnt(0)
	s_and_b32 s2, s2, 0xffff
	s_delay_alu instid0(VALU_DEP_1) | instskip(SKIP_2) | instid1(VALU_DEP_3)
	v_and_b32_e32 v18, 8, v15
	v_mad_u64_u32 v[1:2], null, s15, s2, v[0:1]
	v_cmp_lt_u32_e64 s2, 7, v14
	v_add_nc_u32_e32 v19, -8, v18
	s_delay_alu instid0(VALU_DEP_3) | instskip(NEXT) | instid1(VALU_DEP_1)
	v_lshl_add_u32 v3, v1, 1, v1
	v_dual_mov_b32 v4, 0 :: v_dual_add_nc_u32 v5, 1, v3
	s_delay_alu instid0(VALU_DEP_1) | instskip(SKIP_2) | instid1(VALU_DEP_3)
	v_mov_b32_e32 v6, v4
	v_lshlrev_b64 v[1:2], 3, v[3:4]
	v_add_nc_u32_e32 v3, 2, v3
	v_lshlrev_b64 v[5:6], 3, v[5:6]
	s_delay_alu instid0(VALU_DEP_2) | instskip(NEXT) | instid1(VALU_DEP_4)
	v_lshlrev_b64 v[3:4], 3, v[3:4]
	v_add_co_u32 v7, vcc_lo, s8, v1
	v_add_co_ci_u32_e32 v8, vcc_lo, s9, v2, vcc_lo
	s_delay_alu instid0(VALU_DEP_4)
	v_add_co_u32 v9, vcc_lo, s8, v5
	v_add_co_ci_u32_e32 v10, vcc_lo, s9, v6, vcc_lo
	v_add_co_u32 v11, vcc_lo, s8, v3
	v_add_co_ci_u32_e32 v12, vcc_lo, s9, v4, vcc_lo
	s_clause 0x2
	global_load_b64 v[7:8], v[7:8], off
	global_load_b64 v[9:10], v[9:10], off
	;; [unrolled: 1-line block ×3, first 2 shown]
	v_cmp_ne_u32_e32 vcc_lo, 0, v14
	v_cndmask_b32_e64 v14, v16, v13, s4
	v_cmp_eq_u32_e64 s4, v17, v0
	v_cmp_eq_u32_e64 s8, 0, v0
	v_lshlrev_b32_e32 v0, 3, v0
	s_delay_alu instid0(VALU_DEP_4) | instskip(SKIP_1) | instid1(VALU_DEP_1)
	v_lshlrev_b32_e32 v17, 2, v14
	v_and_b32_e32 v14, 1, v13
	v_cmp_eq_u32_e64 s9, 1, v14
.LBB175_1:                              ; =>This Inner Loop Header: Depth=1
	s_waitcnt vmcnt(1)
	s_delay_alu instid0(VALU_DEP_1) | instskip(SKIP_1) | instid1(VALU_DEP_1)
	v_add_f64 v[13:14], v[7:8], v[9:10]
	s_waitcnt vmcnt(0)
	v_add_f64 v[11:12], v[11:12], v[13:14]
	s_delay_alu instid0(VALU_DEP_1) | instskip(NEXT) | instid1(VALU_DEP_2)
	v_mov_b32_dpp v13, v11 row_shr:1 row_mask:0xf bank_mask:0xf
	v_mov_b32_dpp v14, v12 row_shr:1 row_mask:0xf bank_mask:0xf
	s_and_saveexec_b32 s15, vcc_lo
; %bb.2:                                ;   in Loop: Header=BB175_1 Depth=1
	s_delay_alu instid0(VALU_DEP_1)
	v_add_f64 v[11:12], v[11:12], v[13:14]
; %bb.3:                                ;   in Loop: Header=BB175_1 Depth=1
	s_or_b32 exec_lo, exec_lo, s15
	s_delay_alu instid0(VALU_DEP_1) | instskip(NEXT) | instid1(VALU_DEP_2)
	v_mov_b32_dpp v13, v11 row_shr:2 row_mask:0xf bank_mask:0xf
	v_mov_b32_dpp v14, v12 row_shr:2 row_mask:0xf bank_mask:0xf
	s_and_saveexec_b32 s15, s0
; %bb.4:                                ;   in Loop: Header=BB175_1 Depth=1
	s_delay_alu instid0(VALU_DEP_1)
	v_add_f64 v[11:12], v[11:12], v[13:14]
; %bb.5:                                ;   in Loop: Header=BB175_1 Depth=1
	s_or_b32 exec_lo, exec_lo, s15
	s_delay_alu instid0(VALU_DEP_1) | instskip(NEXT) | instid1(VALU_DEP_2)
	v_mov_b32_dpp v13, v11 row_shr:4 row_mask:0xf bank_mask:0xf
	v_mov_b32_dpp v14, v12 row_shr:4 row_mask:0xf bank_mask:0xf
	s_and_saveexec_b32 s15, s1
	;; [unrolled: 9-line block ×3, first 2 shown]
; %bb.8:                                ;   in Loop: Header=BB175_1 Depth=1
	s_delay_alu instid0(VALU_DEP_1)
	v_add_f64 v[11:12], v[11:12], v[13:14]
; %bb.9:                                ;   in Loop: Header=BB175_1 Depth=1
	s_or_b32 exec_lo, exec_lo, s15
	ds_swizzle_b32 v13, v11 offset:swizzle(BROADCAST,32,15)
	ds_swizzle_b32 v14, v12 offset:swizzle(BROADCAST,32,15)
	s_and_saveexec_b32 s15, s3
	s_cbranch_execz .LBB175_11
; %bb.10:                               ;   in Loop: Header=BB175_1 Depth=1
	s_waitcnt lgkmcnt(0)
	v_add_f64 v[11:12], v[11:12], v[13:14]
.LBB175_11:                             ;   in Loop: Header=BB175_1 Depth=1
	s_or_b32 exec_lo, exec_lo, s15
	s_and_saveexec_b32 s15, s4
	s_cbranch_execz .LBB175_13
; %bb.12:                               ;   in Loop: Header=BB175_1 Depth=1
	ds_store_b64 v18, v[11:12]
.LBB175_13:                             ;   in Loop: Header=BB175_1 Depth=1
	s_or_b32 exec_lo, exec_lo, s15
	s_waitcnt lgkmcnt(0)
	s_barrier
	buffer_gl0_inv
	s_and_saveexec_b32 s15, s5
	s_cbranch_execz .LBB175_17
; %bb.14:                               ;   in Loop: Header=BB175_1 Depth=1
	ds_load_b64 v[13:14], v0
	s_waitcnt lgkmcnt(0)
	v_mov_b32_dpp v15, v13 row_shr:1 row_mask:0xf bank_mask:0xf
	v_mov_b32_dpp v16, v14 row_shr:1 row_mask:0xf bank_mask:0xf
	s_and_saveexec_b32 s16, s9
; %bb.15:                               ;   in Loop: Header=BB175_1 Depth=1
	s_delay_alu instid0(VALU_DEP_1)
	v_add_f64 v[13:14], v[13:14], v[15:16]
; %bb.16:                               ;   in Loop: Header=BB175_1 Depth=1
	s_or_b32 exec_lo, exec_lo, s16
	ds_store_b64 v0, v[13:14]
.LBB175_17:                             ;   in Loop: Header=BB175_1 Depth=1
	s_or_b32 exec_lo, exec_lo, s15
	v_dual_mov_b32 v14, s13 :: v_dual_mov_b32 v13, s12
	s_waitcnt lgkmcnt(0)
	s_barrier
	buffer_gl0_inv
	s_and_saveexec_b32 s15, s6
	s_cbranch_execz .LBB175_19
; %bb.18:                               ;   in Loop: Header=BB175_1 Depth=1
	ds_load_b64 v[13:14], v19
	s_waitcnt lgkmcnt(0)
	v_add_f64 v[13:14], v[13:14], s[12:13]
.LBB175_19:                             ;   in Loop: Header=BB175_1 Depth=1
	s_or_b32 exec_lo, exec_lo, s15
	s_delay_alu instid0(VALU_DEP_1) | instskip(SKIP_1) | instid1(SALU_CYCLE_1)
	v_add_f64 v[11:12], v[11:12], v[13:14]
	s_add_i32 s14, s14, -1
	s_cmp_lg_u32 s14, 0
	ds_bpermute_b32 v12, v17, v12
	ds_bpermute_b32 v11, v17, v11
	s_waitcnt lgkmcnt(1)
	v_cndmask_b32_e64 v12, v12, v14, s7
	s_waitcnt lgkmcnt(0)
	v_cndmask_b32_e64 v11, v11, v13, s7
	s_delay_alu instid0(VALU_DEP_2) | instskip(NEXT) | instid1(VALU_DEP_2)
	v_cndmask_b32_e64 v14, v12, s13, s8
	v_cndmask_b32_e64 v13, v11, s12, s8
	s_delay_alu instid0(VALU_DEP_1) | instskip(NEXT) | instid1(VALU_DEP_1)
	v_add_f64 v[15:16], v[7:8], v[13:14]
	v_add_f64 v[11:12], v[9:10], v[15:16]
	s_cbranch_scc0 .LBB175_21
; %bb.20:                               ;   in Loop: Header=BB175_1 Depth=1
	v_dual_mov_b32 v7, v13 :: v_dual_mov_b32 v8, v14
	v_dual_mov_b32 v9, v15 :: v_dual_mov_b32 v10, v16
	s_branch .LBB175_1
.LBB175_21:
	v_add_co_u32 v0, vcc_lo, s10, v1
	v_add_co_ci_u32_e32 v1, vcc_lo, s11, v2, vcc_lo
	v_add_co_u32 v5, vcc_lo, s10, v5
	v_add_co_ci_u32_e32 v6, vcc_lo, s11, v6, vcc_lo
	;; [unrolled: 2-line block ×3, first 2 shown]
	s_clause 0x2
	global_store_b64 v[0:1], v[13:14], off
	global_store_b64 v[5:6], v[15:16], off
	;; [unrolled: 1-line block ×3, first 2 shown]
	s_nop 0
	s_sendmsg sendmsg(MSG_DEALLOC_VGPRS)
	s_endpgm
	.section	.rodata,"a",@progbits
	.p2align	6, 0x0
	.amdhsa_kernel _Z6kernelI14exclusive_scanILN6hipcub18BlockScanAlgorithmE0EEdLj64ELj3ELj100EEvPKT0_PS4_S4_
		.amdhsa_group_segment_fixed_size 16
		.amdhsa_private_segment_fixed_size 0
		.amdhsa_kernarg_size 280
		.amdhsa_user_sgpr_count 15
		.amdhsa_user_sgpr_dispatch_ptr 0
		.amdhsa_user_sgpr_queue_ptr 0
		.amdhsa_user_sgpr_kernarg_segment_ptr 1
		.amdhsa_user_sgpr_dispatch_id 0
		.amdhsa_user_sgpr_private_segment_size 0
		.amdhsa_wavefront_size32 1
		.amdhsa_uses_dynamic_stack 0
		.amdhsa_enable_private_segment 0
		.amdhsa_system_sgpr_workgroup_id_x 1
		.amdhsa_system_sgpr_workgroup_id_y 0
		.amdhsa_system_sgpr_workgroup_id_z 0
		.amdhsa_system_sgpr_workgroup_info 0
		.amdhsa_system_vgpr_workitem_id 0
		.amdhsa_next_free_vgpr 20
		.amdhsa_next_free_sgpr 17
		.amdhsa_reserve_vcc 1
		.amdhsa_float_round_mode_32 0
		.amdhsa_float_round_mode_16_64 0
		.amdhsa_float_denorm_mode_32 3
		.amdhsa_float_denorm_mode_16_64 3
		.amdhsa_dx10_clamp 1
		.amdhsa_ieee_mode 1
		.amdhsa_fp16_overflow 0
		.amdhsa_workgroup_processor_mode 1
		.amdhsa_memory_ordered 1
		.amdhsa_forward_progress 0
		.amdhsa_shared_vgpr_count 0
		.amdhsa_exception_fp_ieee_invalid_op 0
		.amdhsa_exception_fp_denorm_src 0
		.amdhsa_exception_fp_ieee_div_zero 0
		.amdhsa_exception_fp_ieee_overflow 0
		.amdhsa_exception_fp_ieee_underflow 0
		.amdhsa_exception_fp_ieee_inexact 0
		.amdhsa_exception_int_div_zero 0
	.end_amdhsa_kernel
	.section	.text._Z6kernelI14exclusive_scanILN6hipcub18BlockScanAlgorithmE0EEdLj64ELj3ELj100EEvPKT0_PS4_S4_,"axG",@progbits,_Z6kernelI14exclusive_scanILN6hipcub18BlockScanAlgorithmE0EEdLj64ELj3ELj100EEvPKT0_PS4_S4_,comdat
.Lfunc_end175:
	.size	_Z6kernelI14exclusive_scanILN6hipcub18BlockScanAlgorithmE0EEdLj64ELj3ELj100EEvPKT0_PS4_S4_, .Lfunc_end175-_Z6kernelI14exclusive_scanILN6hipcub18BlockScanAlgorithmE0EEdLj64ELj3ELj100EEvPKT0_PS4_S4_
                                        ; -- End function
	.section	.AMDGPU.csdata,"",@progbits
; Kernel info:
; codeLenInByte = 928
; NumSgprs: 19
; NumVgprs: 20
; ScratchSize: 0
; MemoryBound: 0
; FloatMode: 240
; IeeeMode: 1
; LDSByteSize: 16 bytes/workgroup (compile time only)
; SGPRBlocks: 2
; VGPRBlocks: 2
; NumSGPRsForWavesPerEU: 19
; NumVGPRsForWavesPerEU: 20
; Occupancy: 16
; WaveLimiterHint : 0
; COMPUTE_PGM_RSRC2:SCRATCH_EN: 0
; COMPUTE_PGM_RSRC2:USER_SGPR: 15
; COMPUTE_PGM_RSRC2:TRAP_HANDLER: 0
; COMPUTE_PGM_RSRC2:TGID_X_EN: 1
; COMPUTE_PGM_RSRC2:TGID_Y_EN: 0
; COMPUTE_PGM_RSRC2:TGID_Z_EN: 0
; COMPUTE_PGM_RSRC2:TIDIG_COMP_CNT: 0
	.section	.text._Z6kernelI14exclusive_scanILN6hipcub18BlockScanAlgorithmE0EEdLj64ELj4ELj100EEvPKT0_PS4_S4_,"axG",@progbits,_Z6kernelI14exclusive_scanILN6hipcub18BlockScanAlgorithmE0EEdLj64ELj4ELj100EEvPKT0_PS4_S4_,comdat
	.protected	_Z6kernelI14exclusive_scanILN6hipcub18BlockScanAlgorithmE0EEdLj64ELj4ELj100EEvPKT0_PS4_S4_ ; -- Begin function _Z6kernelI14exclusive_scanILN6hipcub18BlockScanAlgorithmE0EEdLj64ELj4ELj100EEvPKT0_PS4_S4_
	.globl	_Z6kernelI14exclusive_scanILN6hipcub18BlockScanAlgorithmE0EEdLj64ELj4ELj100EEvPKT0_PS4_S4_
	.p2align	8
	.type	_Z6kernelI14exclusive_scanILN6hipcub18BlockScanAlgorithmE0EEdLj64ELj4ELj100EEvPKT0_PS4_S4_,@function
_Z6kernelI14exclusive_scanILN6hipcub18BlockScanAlgorithmE0EEdLj64ELj4ELj100EEvPKT0_PS4_S4_: ; @_Z6kernelI14exclusive_scanILN6hipcub18BlockScanAlgorithmE0EEdLj64ELj4ELj100EEvPKT0_PS4_S4_
; %bb.0:
	s_clause 0x1
	s_load_b32 s2, s[0:1], 0x24
	s_load_b128 s[8:11], s[0:1], 0x0
	v_mbcnt_lo_u32_b32 v9, -1, 0
	v_mov_b32_e32 v2, 0
	s_load_b64 s[12:13], s[0:1], 0x10
	v_or_b32_e32 v13, 31, v0
	v_cmp_gt_u32_e64 s5, 2, v0
	v_and_b32_e32 v11, 16, v9
	v_add_nc_u32_e32 v12, -1, v9
	v_and_b32_e32 v10, 15, v9
	v_cmp_lt_u32_e64 s6, 31, v0
	v_cmp_eq_u32_e64 s7, 0, v9
	v_cmp_ne_u32_e64 s3, 0, v11
	v_cmp_gt_i32_e64 s4, 0, v12
	v_cmp_lt_u32_e64 s0, 1, v10
	v_cmp_lt_u32_e64 s1, 3, v10
	v_lshrrev_b32_e32 v11, 2, v0
	s_movk_i32 s14, 0x64
	s_waitcnt lgkmcnt(0)
	s_and_b32 s2, s2, 0xffff
	s_delay_alu instid0(VALU_DEP_1) | instskip(SKIP_3) | instid1(VALU_DEP_3)
	v_and_b32_e32 v18, 8, v11
	s_mul_i32 s15, s15, s2
	v_cmp_lt_u32_e64 s2, 7, v10
	v_add_lshl_u32 v1, s15, v0, 2
	v_add_nc_u32_e32 v19, -8, v18
	s_delay_alu instid0(VALU_DEP_2) | instskip(NEXT) | instid1(VALU_DEP_1)
	v_lshlrev_b64 v[15:16], 3, v[1:2]
	v_add_co_u32 v5, vcc_lo, s8, v15
	s_delay_alu instid0(VALU_DEP_2)
	v_add_co_ci_u32_e32 v6, vcc_lo, s9, v16, vcc_lo
	v_cmp_ne_u32_e32 vcc_lo, 0, v10
	v_cndmask_b32_e64 v10, v12, v9, s4
	v_cmp_eq_u32_e64 s4, v13, v0
	s_clause 0x1
	global_load_b128 v[1:4], v[5:6], off offset:16
	global_load_b128 v[5:8], v[5:6], off
	v_cmp_eq_u32_e64 s8, 0, v0
	v_lshlrev_b32_e32 v0, 3, v0
	v_lshlrev_b32_e32 v17, 2, v10
	v_and_b32_e32 v10, 1, v9
	s_delay_alu instid0(VALU_DEP_1)
	v_cmp_eq_u32_e64 s9, 1, v10
.LBB176_1:                              ; =>This Inner Loop Header: Depth=1
	s_waitcnt vmcnt(0)
	s_delay_alu instid0(VALU_DEP_2) | instskip(NEXT) | instid1(VALU_DEP_1)
	v_add_f64 v[9:10], v[5:6], v[7:8]
	v_add_f64 v[9:10], v[1:2], v[9:10]
	s_delay_alu instid0(VALU_DEP_1) | instskip(NEXT) | instid1(VALU_DEP_1)
	v_add_f64 v[3:4], v[3:4], v[9:10]
	v_mov_b32_dpp v9, v3 row_shr:1 row_mask:0xf bank_mask:0xf
	s_delay_alu instid0(VALU_DEP_2)
	v_mov_b32_dpp v10, v4 row_shr:1 row_mask:0xf bank_mask:0xf
	s_and_saveexec_b32 s15, vcc_lo
; %bb.2:                                ;   in Loop: Header=BB176_1 Depth=1
	s_delay_alu instid0(VALU_DEP_1)
	v_add_f64 v[3:4], v[3:4], v[9:10]
; %bb.3:                                ;   in Loop: Header=BB176_1 Depth=1
	s_or_b32 exec_lo, exec_lo, s15
	s_delay_alu instid0(VALU_DEP_1) | instskip(NEXT) | instid1(VALU_DEP_2)
	v_mov_b32_dpp v9, v3 row_shr:2 row_mask:0xf bank_mask:0xf
	v_mov_b32_dpp v10, v4 row_shr:2 row_mask:0xf bank_mask:0xf
	s_and_saveexec_b32 s15, s0
; %bb.4:                                ;   in Loop: Header=BB176_1 Depth=1
	s_delay_alu instid0(VALU_DEP_1)
	v_add_f64 v[3:4], v[3:4], v[9:10]
; %bb.5:                                ;   in Loop: Header=BB176_1 Depth=1
	s_or_b32 exec_lo, exec_lo, s15
	s_delay_alu instid0(VALU_DEP_1) | instskip(NEXT) | instid1(VALU_DEP_2)
	v_mov_b32_dpp v9, v3 row_shr:4 row_mask:0xf bank_mask:0xf
	v_mov_b32_dpp v10, v4 row_shr:4 row_mask:0xf bank_mask:0xf
	s_and_saveexec_b32 s15, s1
	;; [unrolled: 9-line block ×3, first 2 shown]
; %bb.8:                                ;   in Loop: Header=BB176_1 Depth=1
	s_delay_alu instid0(VALU_DEP_1)
	v_add_f64 v[3:4], v[3:4], v[9:10]
; %bb.9:                                ;   in Loop: Header=BB176_1 Depth=1
	s_or_b32 exec_lo, exec_lo, s15
	ds_swizzle_b32 v9, v3 offset:swizzle(BROADCAST,32,15)
	ds_swizzle_b32 v10, v4 offset:swizzle(BROADCAST,32,15)
	s_and_saveexec_b32 s15, s3
	s_cbranch_execz .LBB176_11
; %bb.10:                               ;   in Loop: Header=BB176_1 Depth=1
	s_waitcnt lgkmcnt(0)
	v_add_f64 v[3:4], v[3:4], v[9:10]
.LBB176_11:                             ;   in Loop: Header=BB176_1 Depth=1
	s_or_b32 exec_lo, exec_lo, s15
	s_and_saveexec_b32 s15, s4
	s_cbranch_execz .LBB176_13
; %bb.12:                               ;   in Loop: Header=BB176_1 Depth=1
	ds_store_b64 v18, v[3:4]
.LBB176_13:                             ;   in Loop: Header=BB176_1 Depth=1
	s_or_b32 exec_lo, exec_lo, s15
	s_waitcnt lgkmcnt(0)
	s_barrier
	buffer_gl0_inv
	s_and_saveexec_b32 s15, s5
	s_cbranch_execz .LBB176_17
; %bb.14:                               ;   in Loop: Header=BB176_1 Depth=1
	ds_load_b64 v[9:10], v0
	s_waitcnt lgkmcnt(0)
	v_mov_b32_dpp v11, v9 row_shr:1 row_mask:0xf bank_mask:0xf
	v_mov_b32_dpp v12, v10 row_shr:1 row_mask:0xf bank_mask:0xf
	s_and_saveexec_b32 s16, s9
; %bb.15:                               ;   in Loop: Header=BB176_1 Depth=1
	s_delay_alu instid0(VALU_DEP_1)
	v_add_f64 v[9:10], v[9:10], v[11:12]
; %bb.16:                               ;   in Loop: Header=BB176_1 Depth=1
	s_or_b32 exec_lo, exec_lo, s16
	ds_store_b64 v0, v[9:10]
.LBB176_17:                             ;   in Loop: Header=BB176_1 Depth=1
	s_or_b32 exec_lo, exec_lo, s15
	v_dual_mov_b32 v9, s12 :: v_dual_mov_b32 v10, s13
	s_waitcnt lgkmcnt(0)
	s_barrier
	buffer_gl0_inv
	s_and_saveexec_b32 s15, s6
	s_cbranch_execz .LBB176_19
; %bb.18:                               ;   in Loop: Header=BB176_1 Depth=1
	ds_load_b64 v[9:10], v19
	s_waitcnt lgkmcnt(0)
	v_add_f64 v[9:10], v[9:10], s[12:13]
.LBB176_19:                             ;   in Loop: Header=BB176_1 Depth=1
	s_or_b32 exec_lo, exec_lo, s15
	s_delay_alu instid0(VALU_DEP_1) | instskip(SKIP_1) | instid1(SALU_CYCLE_1)
	v_add_f64 v[3:4], v[3:4], v[9:10]
	s_add_i32 s14, s14, -1
	s_cmp_lg_u32 s14, 0
	ds_bpermute_b32 v4, v17, v4
	ds_bpermute_b32 v3, v17, v3
	s_waitcnt lgkmcnt(1)
	v_cndmask_b32_e64 v4, v4, v10, s7
	s_waitcnt lgkmcnt(0)
	v_cndmask_b32_e64 v3, v3, v9, s7
	s_delay_alu instid0(VALU_DEP_2) | instskip(NEXT) | instid1(VALU_DEP_2)
	v_cndmask_b32_e64 v10, v4, s13, s8
	v_cndmask_b32_e64 v9, v3, s12, s8
	s_delay_alu instid0(VALU_DEP_1) | instskip(NEXT) | instid1(VALU_DEP_1)
	v_add_f64 v[11:12], v[5:6], v[9:10]
	v_add_f64 v[13:14], v[7:8], v[11:12]
	s_delay_alu instid0(VALU_DEP_1)
	v_add_f64 v[3:4], v[1:2], v[13:14]
	s_cbranch_scc0 .LBB176_21
; %bb.20:                               ;   in Loop: Header=BB176_1 Depth=1
	v_dual_mov_b32 v5, v9 :: v_dual_mov_b32 v6, v10
	v_dual_mov_b32 v7, v11 :: v_dual_mov_b32 v8, v12
	;; [unrolled: 1-line block ×3, first 2 shown]
	s_branch .LBB176_1
.LBB176_21:
	v_add_co_u32 v0, vcc_lo, s10, v15
	v_add_co_ci_u32_e32 v1, vcc_lo, s11, v16, vcc_lo
	s_delay_alu instid0(VALU_DEP_3)
	v_dual_mov_b32 v15, v3 :: v_dual_mov_b32 v16, v4
	s_clause 0x1
	global_store_b128 v[0:1], v[9:12], off
	global_store_b128 v[0:1], v[13:16], off offset:16
	s_nop 0
	s_sendmsg sendmsg(MSG_DEALLOC_VGPRS)
	s_endpgm
	.section	.rodata,"a",@progbits
	.p2align	6, 0x0
	.amdhsa_kernel _Z6kernelI14exclusive_scanILN6hipcub18BlockScanAlgorithmE0EEdLj64ELj4ELj100EEvPKT0_PS4_S4_
		.amdhsa_group_segment_fixed_size 16
		.amdhsa_private_segment_fixed_size 0
		.amdhsa_kernarg_size 280
		.amdhsa_user_sgpr_count 15
		.amdhsa_user_sgpr_dispatch_ptr 0
		.amdhsa_user_sgpr_queue_ptr 0
		.amdhsa_user_sgpr_kernarg_segment_ptr 1
		.amdhsa_user_sgpr_dispatch_id 0
		.amdhsa_user_sgpr_private_segment_size 0
		.amdhsa_wavefront_size32 1
		.amdhsa_uses_dynamic_stack 0
		.amdhsa_enable_private_segment 0
		.amdhsa_system_sgpr_workgroup_id_x 1
		.amdhsa_system_sgpr_workgroup_id_y 0
		.amdhsa_system_sgpr_workgroup_id_z 0
		.amdhsa_system_sgpr_workgroup_info 0
		.amdhsa_system_vgpr_workitem_id 0
		.amdhsa_next_free_vgpr 20
		.amdhsa_next_free_sgpr 17
		.amdhsa_reserve_vcc 1
		.amdhsa_float_round_mode_32 0
		.amdhsa_float_round_mode_16_64 0
		.amdhsa_float_denorm_mode_32 3
		.amdhsa_float_denorm_mode_16_64 3
		.amdhsa_dx10_clamp 1
		.amdhsa_ieee_mode 1
		.amdhsa_fp16_overflow 0
		.amdhsa_workgroup_processor_mode 1
		.amdhsa_memory_ordered 1
		.amdhsa_forward_progress 0
		.amdhsa_shared_vgpr_count 0
		.amdhsa_exception_fp_ieee_invalid_op 0
		.amdhsa_exception_fp_denorm_src 0
		.amdhsa_exception_fp_ieee_div_zero 0
		.amdhsa_exception_fp_ieee_overflow 0
		.amdhsa_exception_fp_ieee_underflow 0
		.amdhsa_exception_fp_ieee_inexact 0
		.amdhsa_exception_int_div_zero 0
	.end_amdhsa_kernel
	.section	.text._Z6kernelI14exclusive_scanILN6hipcub18BlockScanAlgorithmE0EEdLj64ELj4ELj100EEvPKT0_PS4_S4_,"axG",@progbits,_Z6kernelI14exclusive_scanILN6hipcub18BlockScanAlgorithmE0EEdLj64ELj4ELj100EEvPKT0_PS4_S4_,comdat
.Lfunc_end176:
	.size	_Z6kernelI14exclusive_scanILN6hipcub18BlockScanAlgorithmE0EEdLj64ELj4ELj100EEvPKT0_PS4_S4_, .Lfunc_end176-_Z6kernelI14exclusive_scanILN6hipcub18BlockScanAlgorithmE0EEdLj64ELj4ELj100EEvPKT0_PS4_S4_
                                        ; -- End function
	.section	.AMDGPU.csdata,"",@progbits
; Kernel info:
; codeLenInByte = 860
; NumSgprs: 19
; NumVgprs: 20
; ScratchSize: 0
; MemoryBound: 0
; FloatMode: 240
; IeeeMode: 1
; LDSByteSize: 16 bytes/workgroup (compile time only)
; SGPRBlocks: 2
; VGPRBlocks: 2
; NumSGPRsForWavesPerEU: 19
; NumVGPRsForWavesPerEU: 20
; Occupancy: 16
; WaveLimiterHint : 0
; COMPUTE_PGM_RSRC2:SCRATCH_EN: 0
; COMPUTE_PGM_RSRC2:USER_SGPR: 15
; COMPUTE_PGM_RSRC2:TRAP_HANDLER: 0
; COMPUTE_PGM_RSRC2:TGID_X_EN: 1
; COMPUTE_PGM_RSRC2:TGID_Y_EN: 0
; COMPUTE_PGM_RSRC2:TGID_Z_EN: 0
; COMPUTE_PGM_RSRC2:TIDIG_COMP_CNT: 0
	.section	.text._Z6kernelI14exclusive_scanILN6hipcub18BlockScanAlgorithmE0EEdLj64ELj8ELj100EEvPKT0_PS4_S4_,"axG",@progbits,_Z6kernelI14exclusive_scanILN6hipcub18BlockScanAlgorithmE0EEdLj64ELj8ELj100EEvPKT0_PS4_S4_,comdat
	.protected	_Z6kernelI14exclusive_scanILN6hipcub18BlockScanAlgorithmE0EEdLj64ELj8ELj100EEvPKT0_PS4_S4_ ; -- Begin function _Z6kernelI14exclusive_scanILN6hipcub18BlockScanAlgorithmE0EEdLj64ELj8ELj100EEvPKT0_PS4_S4_
	.globl	_Z6kernelI14exclusive_scanILN6hipcub18BlockScanAlgorithmE0EEdLj64ELj8ELj100EEvPKT0_PS4_S4_
	.p2align	8
	.type	_Z6kernelI14exclusive_scanILN6hipcub18BlockScanAlgorithmE0EEdLj64ELj8ELj100EEvPKT0_PS4_S4_,@function
_Z6kernelI14exclusive_scanILN6hipcub18BlockScanAlgorithmE0EEdLj64ELj8ELj100EEvPKT0_PS4_S4_: ; @_Z6kernelI14exclusive_scanILN6hipcub18BlockScanAlgorithmE0EEdLj64ELj8ELj100EEvPKT0_PS4_S4_
; %bb.0:
	s_clause 0x1
	s_load_b32 s2, s[0:1], 0x24
	s_load_b128 s[8:11], s[0:1], 0x0
	v_mbcnt_lo_u32_b32 v17, -1, 0
	v_mov_b32_e32 v2, 0
	s_load_b64 s[12:13], s[0:1], 0x10
	v_or_b32_e32 v23, 31, v0
	v_cmp_gt_u32_e64 s5, 2, v0
	v_and_b32_e32 v19, 16, v17
	v_add_nc_u32_e32 v20, -1, v17
	v_and_b32_e32 v18, 15, v17
	v_cmp_lt_u32_e64 s6, 31, v0
	v_cmp_eq_u32_e64 s7, 0, v17
	v_cmp_ne_u32_e64 s3, 0, v19
	v_cmp_gt_i32_e64 s4, 0, v20
	v_cmp_lt_u32_e64 s0, 1, v18
	v_cmp_lt_u32_e64 s1, 3, v18
	v_lshrrev_b32_e32 v19, 2, v0
	s_movk_i32 s14, 0x64
	s_waitcnt lgkmcnt(0)
	s_and_b32 s2, s2, 0xffff
	s_delay_alu instid0(VALU_DEP_1) | instskip(SKIP_3) | instid1(VALU_DEP_3)
	v_and_b32_e32 v24, 8, v19
	s_mul_i32 s15, s15, s2
	v_cmp_lt_u32_e64 s2, 7, v18
	v_add_lshl_u32 v1, s15, v0, 3
	v_add_nc_u32_e32 v25, -8, v24
	s_delay_alu instid0(VALU_DEP_2) | instskip(NEXT) | instid1(VALU_DEP_1)
	v_lshlrev_b64 v[21:22], 3, v[1:2]
	v_add_co_u32 v13, vcc_lo, s8, v21
	s_delay_alu instid0(VALU_DEP_2)
	v_add_co_ci_u32_e32 v14, vcc_lo, s9, v22, vcc_lo
	v_cmp_ne_u32_e32 vcc_lo, 0, v18
	v_cndmask_b32_e64 v18, v20, v17, s4
	v_cmp_eq_u32_e64 s4, v23, v0
	s_clause 0x3
	global_load_b128 v[1:4], v[13:14], off offset:48
	global_load_b128 v[5:8], v[13:14], off offset:32
	;; [unrolled: 1-line block ×3, first 2 shown]
	global_load_b128 v[13:16], v[13:14], off
	v_cmp_eq_u32_e64 s8, 0, v0
	v_lshlrev_b32_e32 v0, 3, v0
	v_lshlrev_b32_e32 v23, 2, v18
	v_and_b32_e32 v18, 1, v17
	s_delay_alu instid0(VALU_DEP_1)
	v_cmp_eq_u32_e64 s9, 1, v18
.LBB177_1:                              ; =>This Inner Loop Header: Depth=1
	s_waitcnt vmcnt(0)
	s_delay_alu instid0(VALU_DEP_1) | instskip(NEXT) | instid1(VALU_DEP_1)
	v_add_f64 v[17:18], v[15:16], v[13:14]
	v_add_f64 v[17:18], v[9:10], v[17:18]
	s_delay_alu instid0(VALU_DEP_1) | instskip(NEXT) | instid1(VALU_DEP_1)
	v_add_f64 v[17:18], v[11:12], v[17:18]
	v_add_f64 v[17:18], v[5:6], v[17:18]
	;; [unrolled: 3-line block ×3, first 2 shown]
	s_delay_alu instid0(VALU_DEP_1) | instskip(NEXT) | instid1(VALU_DEP_1)
	v_add_f64 v[3:4], v[3:4], v[17:18]
	v_mov_b32_dpp v17, v3 row_shr:1 row_mask:0xf bank_mask:0xf
	s_delay_alu instid0(VALU_DEP_2)
	v_mov_b32_dpp v18, v4 row_shr:1 row_mask:0xf bank_mask:0xf
	s_and_saveexec_b32 s15, vcc_lo
; %bb.2:                                ;   in Loop: Header=BB177_1 Depth=1
	s_delay_alu instid0(VALU_DEP_1)
	v_add_f64 v[3:4], v[3:4], v[17:18]
; %bb.3:                                ;   in Loop: Header=BB177_1 Depth=1
	s_or_b32 exec_lo, exec_lo, s15
	s_delay_alu instid0(VALU_DEP_1) | instskip(NEXT) | instid1(VALU_DEP_2)
	v_mov_b32_dpp v17, v3 row_shr:2 row_mask:0xf bank_mask:0xf
	v_mov_b32_dpp v18, v4 row_shr:2 row_mask:0xf bank_mask:0xf
	s_and_saveexec_b32 s15, s0
; %bb.4:                                ;   in Loop: Header=BB177_1 Depth=1
	s_delay_alu instid0(VALU_DEP_1)
	v_add_f64 v[3:4], v[3:4], v[17:18]
; %bb.5:                                ;   in Loop: Header=BB177_1 Depth=1
	s_or_b32 exec_lo, exec_lo, s15
	s_delay_alu instid0(VALU_DEP_1) | instskip(NEXT) | instid1(VALU_DEP_2)
	v_mov_b32_dpp v17, v3 row_shr:4 row_mask:0xf bank_mask:0xf
	v_mov_b32_dpp v18, v4 row_shr:4 row_mask:0xf bank_mask:0xf
	s_and_saveexec_b32 s15, s1
	;; [unrolled: 9-line block ×3, first 2 shown]
; %bb.8:                                ;   in Loop: Header=BB177_1 Depth=1
	s_delay_alu instid0(VALU_DEP_1)
	v_add_f64 v[3:4], v[3:4], v[17:18]
; %bb.9:                                ;   in Loop: Header=BB177_1 Depth=1
	s_or_b32 exec_lo, exec_lo, s15
	ds_swizzle_b32 v17, v3 offset:swizzle(BROADCAST,32,15)
	ds_swizzle_b32 v18, v4 offset:swizzle(BROADCAST,32,15)
	s_and_saveexec_b32 s15, s3
	s_cbranch_execz .LBB177_11
; %bb.10:                               ;   in Loop: Header=BB177_1 Depth=1
	s_waitcnt lgkmcnt(0)
	v_add_f64 v[3:4], v[3:4], v[17:18]
.LBB177_11:                             ;   in Loop: Header=BB177_1 Depth=1
	s_or_b32 exec_lo, exec_lo, s15
	s_and_saveexec_b32 s15, s4
	s_cbranch_execz .LBB177_13
; %bb.12:                               ;   in Loop: Header=BB177_1 Depth=1
	ds_store_b64 v24, v[3:4]
.LBB177_13:                             ;   in Loop: Header=BB177_1 Depth=1
	s_or_b32 exec_lo, exec_lo, s15
	s_waitcnt lgkmcnt(0)
	s_barrier
	buffer_gl0_inv
	s_and_saveexec_b32 s15, s5
	s_cbranch_execz .LBB177_17
; %bb.14:                               ;   in Loop: Header=BB177_1 Depth=1
	ds_load_b64 v[17:18], v0
	s_waitcnt lgkmcnt(0)
	v_mov_b32_dpp v19, v17 row_shr:1 row_mask:0xf bank_mask:0xf
	v_mov_b32_dpp v20, v18 row_shr:1 row_mask:0xf bank_mask:0xf
	s_and_saveexec_b32 s16, s9
; %bb.15:                               ;   in Loop: Header=BB177_1 Depth=1
	s_delay_alu instid0(VALU_DEP_1)
	v_add_f64 v[17:18], v[17:18], v[19:20]
; %bb.16:                               ;   in Loop: Header=BB177_1 Depth=1
	s_or_b32 exec_lo, exec_lo, s16
	ds_store_b64 v0, v[17:18]
.LBB177_17:                             ;   in Loop: Header=BB177_1 Depth=1
	s_or_b32 exec_lo, exec_lo, s15
	v_dual_mov_b32 v18, s13 :: v_dual_mov_b32 v17, s12
	s_waitcnt lgkmcnt(0)
	s_barrier
	buffer_gl0_inv
	s_and_saveexec_b32 s15, s6
	s_cbranch_execz .LBB177_19
; %bb.18:                               ;   in Loop: Header=BB177_1 Depth=1
	ds_load_b64 v[17:18], v25
	s_waitcnt lgkmcnt(0)
	v_add_f64 v[17:18], v[17:18], s[12:13]
.LBB177_19:                             ;   in Loop: Header=BB177_1 Depth=1
	s_or_b32 exec_lo, exec_lo, s15
	s_delay_alu instid0(VALU_DEP_1) | instskip(SKIP_1) | instid1(SALU_CYCLE_1)
	v_add_f64 v[3:4], v[3:4], v[17:18]
	s_add_i32 s14, s14, -1
	s_cmp_lg_u32 s14, 0
	ds_bpermute_b32 v4, v23, v4
	ds_bpermute_b32 v3, v23, v3
	s_waitcnt lgkmcnt(1)
	v_cndmask_b32_e64 v4, v4, v18, s7
	s_waitcnt lgkmcnt(0)
	v_cndmask_b32_e64 v3, v3, v17, s7
	s_delay_alu instid0(VALU_DEP_2) | instskip(NEXT) | instid1(VALU_DEP_2)
	v_cndmask_b32_e64 v18, v4, s13, s8
	v_cndmask_b32_e64 v17, v3, s12, s8
	s_delay_alu instid0(VALU_DEP_1) | instskip(NEXT) | instid1(VALU_DEP_1)
	v_add_f64 v[19:20], v[13:14], v[17:18]
	v_add_f64 v[13:14], v[15:16], v[19:20]
	s_delay_alu instid0(VALU_DEP_1) | instskip(NEXT) | instid1(VALU_DEP_1)
	v_add_f64 v[15:16], v[9:10], v[13:14]
	v_add_f64 v[9:10], v[11:12], v[15:16]
	;; [unrolled: 3-line block ×3, first 2 shown]
	s_delay_alu instid0(VALU_DEP_1)
	v_add_f64 v[3:4], v[1:2], v[5:6]
	s_cbranch_scc0 .LBB177_21
; %bb.20:                               ;   in Loop: Header=BB177_1 Depth=1
	v_dual_mov_b32 v1, v5 :: v_dual_mov_b32 v2, v6
	v_dual_mov_b32 v7, v11 :: v_dual_mov_b32 v8, v12
	;; [unrolled: 1-line block ×7, first 2 shown]
	s_branch .LBB177_1
.LBB177_21:
	v_add_co_u32 v0, vcc_lo, s10, v21
	v_add_co_ci_u32_e32 v1, vcc_lo, s11, v22, vcc_lo
	s_delay_alu instid0(VALU_DEP_3)
	v_dual_mov_b32 v7, v3 :: v_dual_mov_b32 v8, v4
	s_clause 0x3
	global_store_b128 v[0:1], v[17:20], off
	global_store_b128 v[0:1], v[13:16], off offset:16
	global_store_b128 v[0:1], v[9:12], off offset:32
	global_store_b128 v[0:1], v[5:8], off offset:48
	s_nop 0
	s_sendmsg sendmsg(MSG_DEALLOC_VGPRS)
	s_endpgm
	.section	.rodata,"a",@progbits
	.p2align	6, 0x0
	.amdhsa_kernel _Z6kernelI14exclusive_scanILN6hipcub18BlockScanAlgorithmE0EEdLj64ELj8ELj100EEvPKT0_PS4_S4_
		.amdhsa_group_segment_fixed_size 16
		.amdhsa_private_segment_fixed_size 0
		.amdhsa_kernarg_size 280
		.amdhsa_user_sgpr_count 15
		.amdhsa_user_sgpr_dispatch_ptr 0
		.amdhsa_user_sgpr_queue_ptr 0
		.amdhsa_user_sgpr_kernarg_segment_ptr 1
		.amdhsa_user_sgpr_dispatch_id 0
		.amdhsa_user_sgpr_private_segment_size 0
		.amdhsa_wavefront_size32 1
		.amdhsa_uses_dynamic_stack 0
		.amdhsa_enable_private_segment 0
		.amdhsa_system_sgpr_workgroup_id_x 1
		.amdhsa_system_sgpr_workgroup_id_y 0
		.amdhsa_system_sgpr_workgroup_id_z 0
		.amdhsa_system_sgpr_workgroup_info 0
		.amdhsa_system_vgpr_workitem_id 0
		.amdhsa_next_free_vgpr 26
		.amdhsa_next_free_sgpr 17
		.amdhsa_reserve_vcc 1
		.amdhsa_float_round_mode_32 0
		.amdhsa_float_round_mode_16_64 0
		.amdhsa_float_denorm_mode_32 3
		.amdhsa_float_denorm_mode_16_64 3
		.amdhsa_dx10_clamp 1
		.amdhsa_ieee_mode 1
		.amdhsa_fp16_overflow 0
		.amdhsa_workgroup_processor_mode 1
		.amdhsa_memory_ordered 1
		.amdhsa_forward_progress 0
		.amdhsa_shared_vgpr_count 0
		.amdhsa_exception_fp_ieee_invalid_op 0
		.amdhsa_exception_fp_denorm_src 0
		.amdhsa_exception_fp_ieee_div_zero 0
		.amdhsa_exception_fp_ieee_overflow 0
		.amdhsa_exception_fp_ieee_underflow 0
		.amdhsa_exception_fp_ieee_inexact 0
		.amdhsa_exception_int_div_zero 0
	.end_amdhsa_kernel
	.section	.text._Z6kernelI14exclusive_scanILN6hipcub18BlockScanAlgorithmE0EEdLj64ELj8ELj100EEvPKT0_PS4_S4_,"axG",@progbits,_Z6kernelI14exclusive_scanILN6hipcub18BlockScanAlgorithmE0EEdLj64ELj8ELj100EEvPKT0_PS4_S4_,comdat
.Lfunc_end177:
	.size	_Z6kernelI14exclusive_scanILN6hipcub18BlockScanAlgorithmE0EEdLj64ELj8ELj100EEvPKT0_PS4_S4_, .Lfunc_end177-_Z6kernelI14exclusive_scanILN6hipcub18BlockScanAlgorithmE0EEdLj64ELj8ELj100EEvPKT0_PS4_S4_
                                        ; -- End function
	.section	.AMDGPU.csdata,"",@progbits
; Kernel info:
; codeLenInByte = 1004
; NumSgprs: 19
; NumVgprs: 26
; ScratchSize: 0
; MemoryBound: 0
; FloatMode: 240
; IeeeMode: 1
; LDSByteSize: 16 bytes/workgroup (compile time only)
; SGPRBlocks: 2
; VGPRBlocks: 3
; NumSGPRsForWavesPerEU: 19
; NumVGPRsForWavesPerEU: 26
; Occupancy: 16
; WaveLimiterHint : 0
; COMPUTE_PGM_RSRC2:SCRATCH_EN: 0
; COMPUTE_PGM_RSRC2:USER_SGPR: 15
; COMPUTE_PGM_RSRC2:TRAP_HANDLER: 0
; COMPUTE_PGM_RSRC2:TGID_X_EN: 1
; COMPUTE_PGM_RSRC2:TGID_Y_EN: 0
; COMPUTE_PGM_RSRC2:TGID_Z_EN: 0
; COMPUTE_PGM_RSRC2:TIDIG_COMP_CNT: 0
	.section	.text._Z6kernelI14exclusive_scanILN6hipcub18BlockScanAlgorithmE0EEdLj64ELj11ELj100EEvPKT0_PS4_S4_,"axG",@progbits,_Z6kernelI14exclusive_scanILN6hipcub18BlockScanAlgorithmE0EEdLj64ELj11ELj100EEvPKT0_PS4_S4_,comdat
	.protected	_Z6kernelI14exclusive_scanILN6hipcub18BlockScanAlgorithmE0EEdLj64ELj11ELj100EEvPKT0_PS4_S4_ ; -- Begin function _Z6kernelI14exclusive_scanILN6hipcub18BlockScanAlgorithmE0EEdLj64ELj11ELj100EEvPKT0_PS4_S4_
	.globl	_Z6kernelI14exclusive_scanILN6hipcub18BlockScanAlgorithmE0EEdLj64ELj11ELj100EEvPKT0_PS4_S4_
	.p2align	8
	.type	_Z6kernelI14exclusive_scanILN6hipcub18BlockScanAlgorithmE0EEdLj64ELj11ELj100EEvPKT0_PS4_S4_,@function
_Z6kernelI14exclusive_scanILN6hipcub18BlockScanAlgorithmE0EEdLj64ELj11ELj100EEvPKT0_PS4_S4_: ; @_Z6kernelI14exclusive_scanILN6hipcub18BlockScanAlgorithmE0EEdLj64ELj11ELj100EEvPKT0_PS4_S4_
; %bb.0:
	s_clause 0x2
	s_load_b32 s2, s[0:1], 0x24
	s_load_b128 s[8:11], s[0:1], 0x0
	s_load_b64 s[12:13], s[0:1], 0x10
	v_cmp_gt_u32_e64 s5, 2, v0
	v_cmp_lt_u32_e64 s6, 31, v0
	s_movk_i32 s14, 0x64
	s_waitcnt lgkmcnt(0)
	s_and_b32 s2, s2, 0xffff
	s_delay_alu instid0(SALU_CYCLE_1) | instskip(NEXT) | instid1(VALU_DEP_1)
	v_mad_u64_u32 v[1:2], null, s15, s2, v[0:1]
	v_mul_lo_u32 v21, v1, 11
	s_delay_alu instid0(VALU_DEP_1) | instskip(NEXT) | instid1(VALU_DEP_1)
	v_dual_mov_b32 v22, 0 :: v_dual_add_nc_u32 v1, 1, v21
	v_dual_mov_b32 v2, v22 :: v_dual_add_nc_u32 v3, 2, v21
	v_lshlrev_b64 v[15:16], 3, v[21:22]
	v_dual_mov_b32 v4, v22 :: v_dual_add_nc_u32 v5, 3, v21
	v_dual_mov_b32 v6, v22 :: v_dual_add_nc_u32 v7, 4, v21
	v_dual_mov_b32 v8, v22 :: v_dual_add_nc_u32 v11, 5, v21
	v_lshlrev_b64 v[17:18], 3, v[1:2]
	v_dual_mov_b32 v12, v22 :: v_dual_add_nc_u32 v19, 6, v21
	v_lshlrev_b64 v[13:14], 3, v[3:4]
	v_lshlrev_b64 v[9:10], 3, v[5:6]
	;; [unrolled: 1-line block ×3, first 2 shown]
	v_add_co_u32 v7, vcc_lo, s8, v15
	v_dual_mov_b32 v20, v22 :: v_dual_add_nc_u32 v31, 7, v21
	v_add_co_ci_u32_e32 v8, vcc_lo, s9, v16, vcc_lo
	v_lshlrev_b64 v[3:4], 3, v[11:12]
	v_add_co_u32 v11, vcc_lo, s8, v17
	v_add_co_ci_u32_e32 v12, vcc_lo, s9, v18, vcc_lo
	v_lshlrev_b64 v[1:2], 3, v[19:20]
	v_add_co_u32 v19, vcc_lo, s8, v13
	v_add_co_ci_u32_e32 v20, vcc_lo, s9, v14, vcc_lo
	v_add_co_u32 v23, vcc_lo, s8, v9
	v_mov_b32_e32 v32, v22
	v_add_co_ci_u32_e32 v24, vcc_lo, s9, v10, vcc_lo
	v_add_co_u32 v33, vcc_lo, s8, v5
	s_clause 0x3
	global_load_b64 v[29:30], v[7:8], off
	global_load_b64 v[27:28], v[11:12], off
	;; [unrolled: 1-line block ×4, first 2 shown]
	v_dual_mov_b32 v12, v22 :: v_dual_add_nc_u32 v11, 8, v21
	v_add_nc_u32_e32 v19, 9, v21
	v_add_co_ci_u32_e32 v34, vcc_lo, s9, v6, vcc_lo
	v_add_co_u32 v35, vcc_lo, s8, v3
	v_lshlrev_b64 v[7:8], 3, v[31:32]
	v_dual_mov_b32 v20, v22 :: v_dual_add_nc_u32 v21, 10, v21
	v_add_co_ci_u32_e32 v36, vcc_lo, s9, v4, vcc_lo
	v_add_co_u32 v31, vcc_lo, s8, v1
	v_lshlrev_b64 v[11:12], 3, v[11:12]
	v_add_co_ci_u32_e32 v32, vcc_lo, s9, v2, vcc_lo
	v_add_co_u32 v43, vcc_lo, s8, v7
	v_lshlrev_b64 v[19:20], 3, v[19:20]
	;; [unrolled: 3-line block ×3, first 2 shown]
	v_add_co_ci_u32_e32 v46, vcc_lo, s9, v12, vcc_lo
	v_add_co_u32 v47, vcc_lo, s8, v19
	v_add_co_ci_u32_e32 v48, vcc_lo, s9, v20, vcc_lo
	s_delay_alu instid0(VALU_DEP_4)
	v_add_co_u32 v49, vcc_lo, s8, v21
	v_add_co_ci_u32_e32 v50, vcc_lo, s9, v22, vcc_lo
	s_clause 0x6
	global_load_b64 v[41:42], v[33:34], off
	global_load_b64 v[39:40], v[35:36], off
	;; [unrolled: 1-line block ×7, first 2 shown]
	v_mbcnt_lo_u32_b32 v45, -1, 0
	v_or_b32_e32 v49, 31, v0
	v_cmp_eq_u32_e64 s8, 0, v0
	s_delay_alu instid0(VALU_DEP_3) | instskip(SKIP_3) | instid1(VALU_DEP_4)
	v_add_nc_u32_e32 v48, -1, v45
	v_and_b32_e32 v46, 15, v45
	v_and_b32_e32 v47, 16, v45
	v_cmp_eq_u32_e64 s7, 0, v45
	v_cmp_gt_i32_e64 s4, 0, v48
	s_delay_alu instid0(VALU_DEP_4)
	v_cmp_ne_u32_e32 vcc_lo, 0, v46
	v_cmp_lt_u32_e64 s0, 1, v46
	v_cmp_lt_u32_e64 s1, 3, v46
	;; [unrolled: 1-line block ×3, first 2 shown]
	v_cmp_ne_u32_e64 s3, 0, v47
	v_cndmask_b32_e64 v46, v48, v45, s4
	v_lshrrev_b32_e32 v47, 2, v0
	v_cmp_eq_u32_e64 s4, v49, v0
	v_lshlrev_b32_e32 v0, 3, v0
	s_delay_alu instid0(VALU_DEP_4) | instskip(SKIP_2) | instid1(VALU_DEP_2)
	v_lshlrev_b32_e32 v53, 2, v46
	v_and_b32_e32 v46, 1, v45
	v_and_b32_e32 v54, 8, v47
	v_cmp_eq_u32_e64 s9, 1, v46
	s_delay_alu instid0(VALU_DEP_2)
	v_add_nc_u32_e32 v55, -8, v54
.LBB178_1:                              ; =>This Inner Loop Header: Depth=1
	s_waitcnt vmcnt(9)
	s_delay_alu instid0(VALU_DEP_1) | instskip(SKIP_1) | instid1(VALU_DEP_1)
	v_add_f64 v[45:46], v[27:28], v[29:30]
	s_waitcnt vmcnt(8)
	v_add_f64 v[45:46], v[25:26], v[45:46]
	s_waitcnt vmcnt(7)
	s_delay_alu instid0(VALU_DEP_1) | instskip(SKIP_1) | instid1(VALU_DEP_1)
	v_add_f64 v[45:46], v[23:24], v[45:46]
	s_waitcnt vmcnt(6)
	v_add_f64 v[45:46], v[41:42], v[45:46]
	;; [unrolled: 5-line block ×5, first 2 shown]
	s_delay_alu instid0(VALU_DEP_1) | instskip(NEXT) | instid1(VALU_DEP_2)
	v_mov_b32_dpp v45, v43 row_shr:1 row_mask:0xf bank_mask:0xf
	v_mov_b32_dpp v46, v44 row_shr:1 row_mask:0xf bank_mask:0xf
	s_and_saveexec_b32 s15, vcc_lo
; %bb.2:                                ;   in Loop: Header=BB178_1 Depth=1
	s_delay_alu instid0(VALU_DEP_1)
	v_add_f64 v[43:44], v[43:44], v[45:46]
; %bb.3:                                ;   in Loop: Header=BB178_1 Depth=1
	s_or_b32 exec_lo, exec_lo, s15
	s_delay_alu instid0(VALU_DEP_1) | instskip(NEXT) | instid1(VALU_DEP_2)
	v_mov_b32_dpp v45, v43 row_shr:2 row_mask:0xf bank_mask:0xf
	v_mov_b32_dpp v46, v44 row_shr:2 row_mask:0xf bank_mask:0xf
	s_and_saveexec_b32 s15, s0
; %bb.4:                                ;   in Loop: Header=BB178_1 Depth=1
	s_delay_alu instid0(VALU_DEP_1)
	v_add_f64 v[43:44], v[43:44], v[45:46]
; %bb.5:                                ;   in Loop: Header=BB178_1 Depth=1
	s_or_b32 exec_lo, exec_lo, s15
	s_delay_alu instid0(VALU_DEP_1) | instskip(NEXT) | instid1(VALU_DEP_2)
	v_mov_b32_dpp v45, v43 row_shr:4 row_mask:0xf bank_mask:0xf
	v_mov_b32_dpp v46, v44 row_shr:4 row_mask:0xf bank_mask:0xf
	s_and_saveexec_b32 s15, s1
; %bb.6:                                ;   in Loop: Header=BB178_1 Depth=1
	s_delay_alu instid0(VALU_DEP_1)
	v_add_f64 v[43:44], v[43:44], v[45:46]
; %bb.7:                                ;   in Loop: Header=BB178_1 Depth=1
	s_or_b32 exec_lo, exec_lo, s15
	s_delay_alu instid0(VALU_DEP_1) | instskip(NEXT) | instid1(VALU_DEP_2)
	v_mov_b32_dpp v45, v43 row_shr:8 row_mask:0xf bank_mask:0xf
	v_mov_b32_dpp v46, v44 row_shr:8 row_mask:0xf bank_mask:0xf
	s_and_saveexec_b32 s15, s2
; %bb.8:                                ;   in Loop: Header=BB178_1 Depth=1
	s_delay_alu instid0(VALU_DEP_1)
	v_add_f64 v[43:44], v[43:44], v[45:46]
; %bb.9:                                ;   in Loop: Header=BB178_1 Depth=1
	s_or_b32 exec_lo, exec_lo, s15
	ds_swizzle_b32 v45, v43 offset:swizzle(BROADCAST,32,15)
	ds_swizzle_b32 v46, v44 offset:swizzle(BROADCAST,32,15)
	s_and_saveexec_b32 s15, s3
	s_cbranch_execz .LBB178_11
; %bb.10:                               ;   in Loop: Header=BB178_1 Depth=1
	s_waitcnt lgkmcnt(0)
	v_add_f64 v[43:44], v[43:44], v[45:46]
.LBB178_11:                             ;   in Loop: Header=BB178_1 Depth=1
	s_or_b32 exec_lo, exec_lo, s15
	s_and_saveexec_b32 s15, s4
	s_cbranch_execz .LBB178_13
; %bb.12:                               ;   in Loop: Header=BB178_1 Depth=1
	ds_store_b64 v54, v[43:44]
.LBB178_13:                             ;   in Loop: Header=BB178_1 Depth=1
	s_or_b32 exec_lo, exec_lo, s15
	s_waitcnt lgkmcnt(0)
	s_barrier
	buffer_gl0_inv
	s_and_saveexec_b32 s15, s5
	s_cbranch_execz .LBB178_17
; %bb.14:                               ;   in Loop: Header=BB178_1 Depth=1
	ds_load_b64 v[45:46], v0
	s_waitcnt lgkmcnt(0)
	v_mov_b32_dpp v47, v45 row_shr:1 row_mask:0xf bank_mask:0xf
	v_mov_b32_dpp v48, v46 row_shr:1 row_mask:0xf bank_mask:0xf
	s_and_saveexec_b32 s16, s9
; %bb.15:                               ;   in Loop: Header=BB178_1 Depth=1
	s_delay_alu instid0(VALU_DEP_1)
	v_add_f64 v[45:46], v[45:46], v[47:48]
; %bb.16:                               ;   in Loop: Header=BB178_1 Depth=1
	s_or_b32 exec_lo, exec_lo, s16
	ds_store_b64 v0, v[45:46]
.LBB178_17:                             ;   in Loop: Header=BB178_1 Depth=1
	s_or_b32 exec_lo, exec_lo, s15
	v_dual_mov_b32 v46, s13 :: v_dual_mov_b32 v45, s12
	s_waitcnt lgkmcnt(0)
	s_barrier
	buffer_gl0_inv
	s_and_saveexec_b32 s15, s6
	s_cbranch_execz .LBB178_19
; %bb.18:                               ;   in Loop: Header=BB178_1 Depth=1
	ds_load_b64 v[45:46], v55
	s_waitcnt lgkmcnt(0)
	v_add_f64 v[45:46], v[45:46], s[12:13]
.LBB178_19:                             ;   in Loop: Header=BB178_1 Depth=1
	s_or_b32 exec_lo, exec_lo, s15
	s_delay_alu instid0(VALU_DEP_1) | instskip(SKIP_1) | instid1(SALU_CYCLE_1)
	v_add_f64 v[43:44], v[43:44], v[45:46]
	s_add_i32 s14, s14, -1
	s_cmp_lg_u32 s14, 0
	ds_bpermute_b32 v44, v53, v44
	ds_bpermute_b32 v43, v53, v43
	s_waitcnt lgkmcnt(1)
	v_cndmask_b32_e64 v44, v44, v46, s7
	s_waitcnt lgkmcnt(0)
	v_cndmask_b32_e64 v43, v43, v45, s7
	s_delay_alu instid0(VALU_DEP_2) | instskip(NEXT) | instid1(VALU_DEP_2)
	v_cndmask_b32_e64 v46, v44, s13, s8
	v_cndmask_b32_e64 v45, v43, s12, s8
	s_delay_alu instid0(VALU_DEP_1) | instskip(NEXT) | instid1(VALU_DEP_1)
	v_add_f64 v[47:48], v[29:30], v[45:46]
	v_add_f64 v[51:52], v[27:28], v[47:48]
	s_delay_alu instid0(VALU_DEP_1) | instskip(NEXT) | instid1(VALU_DEP_1)
	v_add_f64 v[49:50], v[25:26], v[51:52]
	v_add_f64 v[23:24], v[23:24], v[49:50]
	;; [unrolled: 3-line block ×5, first 2 shown]
	s_cbranch_scc0 .LBB178_21
; %bb.20:                               ;   in Loop: Header=BB178_1 Depth=1
	v_dual_mov_b32 v31, v33 :: v_dual_mov_b32 v32, v34
	v_dual_mov_b32 v33, v35 :: v_dual_mov_b32 v34, v36
	v_dual_mov_b32 v36, v30 :: v_dual_mov_b32 v35, v29
	v_dual_mov_b32 v38, v28 :: v_dual_mov_b32 v37, v27
	v_dual_mov_b32 v40, v26 :: v_dual_mov_b32 v39, v25
	v_dual_mov_b32 v42, v24 :: v_dual_mov_b32 v41, v23
	v_dual_mov_b32 v23, v49 :: v_dual_mov_b32 v24, v50
	v_dual_mov_b32 v25, v51 :: v_dual_mov_b32 v26, v52
	v_dual_mov_b32 v27, v47 :: v_dual_mov_b32 v28, v48
	v_dual_mov_b32 v29, v45 :: v_dual_mov_b32 v30, v46
	s_branch .LBB178_1
.LBB178_21:
	v_add_co_u32 v15, vcc_lo, s10, v15
	v_add_co_ci_u32_e32 v16, vcc_lo, s11, v16, vcc_lo
	v_add_co_u32 v17, vcc_lo, s10, v17
	v_add_co_ci_u32_e32 v18, vcc_lo, s11, v18, vcc_lo
	;; [unrolled: 2-line block ×8, first 2 shown]
	s_clause 0x3
	global_store_b64 v[15:16], v[45:46], off
	global_store_b64 v[17:18], v[47:48], off
	;; [unrolled: 1-line block ×4, first 2 shown]
	v_add_co_u32 v9, vcc_lo, s10, v11
	v_add_co_ci_u32_e32 v10, vcc_lo, s11, v12, vcc_lo
	v_add_co_u32 v11, vcc_lo, s10, v19
	v_add_co_ci_u32_e32 v12, vcc_lo, s11, v20, vcc_lo
	;; [unrolled: 2-line block ×3, first 2 shown]
	s_clause 0x6
	global_store_b64 v[5:6], v[23:24], off
	global_store_b64 v[3:4], v[25:26], off
	;; [unrolled: 1-line block ×7, first 2 shown]
	s_nop 0
	s_sendmsg sendmsg(MSG_DEALLOC_VGPRS)
	s_endpgm
	.section	.rodata,"a",@progbits
	.p2align	6, 0x0
	.amdhsa_kernel _Z6kernelI14exclusive_scanILN6hipcub18BlockScanAlgorithmE0EEdLj64ELj11ELj100EEvPKT0_PS4_S4_
		.amdhsa_group_segment_fixed_size 16
		.amdhsa_private_segment_fixed_size 0
		.amdhsa_kernarg_size 280
		.amdhsa_user_sgpr_count 15
		.amdhsa_user_sgpr_dispatch_ptr 0
		.amdhsa_user_sgpr_queue_ptr 0
		.amdhsa_user_sgpr_kernarg_segment_ptr 1
		.amdhsa_user_sgpr_dispatch_id 0
		.amdhsa_user_sgpr_private_segment_size 0
		.amdhsa_wavefront_size32 1
		.amdhsa_uses_dynamic_stack 0
		.amdhsa_enable_private_segment 0
		.amdhsa_system_sgpr_workgroup_id_x 1
		.amdhsa_system_sgpr_workgroup_id_y 0
		.amdhsa_system_sgpr_workgroup_id_z 0
		.amdhsa_system_sgpr_workgroup_info 0
		.amdhsa_system_vgpr_workitem_id 0
		.amdhsa_next_free_vgpr 56
		.amdhsa_next_free_sgpr 17
		.amdhsa_reserve_vcc 1
		.amdhsa_float_round_mode_32 0
		.amdhsa_float_round_mode_16_64 0
		.amdhsa_float_denorm_mode_32 3
		.amdhsa_float_denorm_mode_16_64 3
		.amdhsa_dx10_clamp 1
		.amdhsa_ieee_mode 1
		.amdhsa_fp16_overflow 0
		.amdhsa_workgroup_processor_mode 1
		.amdhsa_memory_ordered 1
		.amdhsa_forward_progress 0
		.amdhsa_shared_vgpr_count 0
		.amdhsa_exception_fp_ieee_invalid_op 0
		.amdhsa_exception_fp_denorm_src 0
		.amdhsa_exception_fp_ieee_div_zero 0
		.amdhsa_exception_fp_ieee_overflow 0
		.amdhsa_exception_fp_ieee_underflow 0
		.amdhsa_exception_fp_ieee_inexact 0
		.amdhsa_exception_int_div_zero 0
	.end_amdhsa_kernel
	.section	.text._Z6kernelI14exclusive_scanILN6hipcub18BlockScanAlgorithmE0EEdLj64ELj11ELj100EEvPKT0_PS4_S4_,"axG",@progbits,_Z6kernelI14exclusive_scanILN6hipcub18BlockScanAlgorithmE0EEdLj64ELj11ELj100EEvPKT0_PS4_S4_,comdat
.Lfunc_end178:
	.size	_Z6kernelI14exclusive_scanILN6hipcub18BlockScanAlgorithmE0EEdLj64ELj11ELj100EEvPKT0_PS4_S4_, .Lfunc_end178-_Z6kernelI14exclusive_scanILN6hipcub18BlockScanAlgorithmE0EEdLj64ELj11ELj100EEvPKT0_PS4_S4_
                                        ; -- End function
	.section	.AMDGPU.csdata,"",@progbits
; Kernel info:
; codeLenInByte = 1640
; NumSgprs: 19
; NumVgprs: 56
; ScratchSize: 0
; MemoryBound: 0
; FloatMode: 240
; IeeeMode: 1
; LDSByteSize: 16 bytes/workgroup (compile time only)
; SGPRBlocks: 2
; VGPRBlocks: 6
; NumSGPRsForWavesPerEU: 19
; NumVGPRsForWavesPerEU: 56
; Occupancy: 16
; WaveLimiterHint : 0
; COMPUTE_PGM_RSRC2:SCRATCH_EN: 0
; COMPUTE_PGM_RSRC2:USER_SGPR: 15
; COMPUTE_PGM_RSRC2:TRAP_HANDLER: 0
; COMPUTE_PGM_RSRC2:TGID_X_EN: 1
; COMPUTE_PGM_RSRC2:TGID_Y_EN: 0
; COMPUTE_PGM_RSRC2:TGID_Z_EN: 0
; COMPUTE_PGM_RSRC2:TIDIG_COMP_CNT: 0
	.section	.text._Z6kernelI14exclusive_scanILN6hipcub18BlockScanAlgorithmE0EEdLj64ELj16ELj100EEvPKT0_PS4_S4_,"axG",@progbits,_Z6kernelI14exclusive_scanILN6hipcub18BlockScanAlgorithmE0EEdLj64ELj16ELj100EEvPKT0_PS4_S4_,comdat
	.protected	_Z6kernelI14exclusive_scanILN6hipcub18BlockScanAlgorithmE0EEdLj64ELj16ELj100EEvPKT0_PS4_S4_ ; -- Begin function _Z6kernelI14exclusive_scanILN6hipcub18BlockScanAlgorithmE0EEdLj64ELj16ELj100EEvPKT0_PS4_S4_
	.globl	_Z6kernelI14exclusive_scanILN6hipcub18BlockScanAlgorithmE0EEdLj64ELj16ELj100EEvPKT0_PS4_S4_
	.p2align	8
	.type	_Z6kernelI14exclusive_scanILN6hipcub18BlockScanAlgorithmE0EEdLj64ELj16ELj100EEvPKT0_PS4_S4_,@function
_Z6kernelI14exclusive_scanILN6hipcub18BlockScanAlgorithmE0EEdLj64ELj16ELj100EEvPKT0_PS4_S4_: ; @_Z6kernelI14exclusive_scanILN6hipcub18BlockScanAlgorithmE0EEdLj64ELj16ELj100EEvPKT0_PS4_S4_
; %bb.0:
	s_clause 0x1
	s_load_b32 s2, s[0:1], 0x24
	s_load_b128 s[8:11], s[0:1], 0x0
	v_mbcnt_lo_u32_b32 v33, -1, 0
	v_mov_b32_e32 v2, 0
	s_load_b64 s[12:13], s[0:1], 0x10
	v_or_b32_e32 v37, 31, v0
	v_cmp_gt_u32_e64 s5, 2, v0
	v_and_b32_e32 v35, 16, v33
	v_add_nc_u32_e32 v36, -1, v33
	v_and_b32_e32 v34, 15, v33
	v_cmp_lt_u32_e64 s6, 31, v0
	v_cmp_eq_u32_e64 s7, 0, v33
	v_cmp_ne_u32_e64 s3, 0, v35
	v_cmp_gt_i32_e64 s4, 0, v36
	v_cmp_lt_u32_e64 s0, 1, v34
	v_cmp_lt_u32_e64 s1, 3, v34
	v_lshrrev_b32_e32 v35, 2, v0
	s_movk_i32 s14, 0x64
	s_waitcnt lgkmcnt(0)
	s_and_b32 s2, s2, 0xffff
	s_delay_alu instid0(VALU_DEP_1) | instskip(SKIP_3) | instid1(VALU_DEP_3)
	v_and_b32_e32 v44, 8, v35
	s_mul_i32 s15, s15, s2
	v_cmp_lt_u32_e64 s2, 7, v34
	v_add_lshl_u32 v1, s15, v0, 4
	v_add_nc_u32_e32 v45, -8, v44
	s_delay_alu instid0(VALU_DEP_2) | instskip(NEXT) | instid1(VALU_DEP_1)
	v_lshlrev_b64 v[41:42], 3, v[1:2]
	v_add_co_u32 v29, vcc_lo, s8, v41
	s_delay_alu instid0(VALU_DEP_2)
	v_add_co_ci_u32_e32 v30, vcc_lo, s9, v42, vcc_lo
	v_cmp_ne_u32_e32 vcc_lo, 0, v34
	v_cndmask_b32_e64 v34, v36, v33, s4
	v_cmp_eq_u32_e64 s4, v37, v0
	s_clause 0x7
	global_load_b128 v[5:8], v[29:30], off offset:48
	global_load_b128 v[9:12], v[29:30], off offset:32
	;; [unrolled: 1-line block ×3, first 2 shown]
	global_load_b128 v[17:20], v[29:30], off
	global_load_b128 v[1:4], v[29:30], off offset:112
	global_load_b128 v[21:24], v[29:30], off offset:96
	global_load_b128 v[25:28], v[29:30], off offset:80
	global_load_b128 v[29:32], v[29:30], off offset:64
	v_cmp_eq_u32_e64 s8, 0, v0
	v_lshlrev_b32_e32 v0, 3, v0
	v_lshlrev_b32_e32 v43, 2, v34
	v_and_b32_e32 v34, 1, v33
	s_delay_alu instid0(VALU_DEP_1)
	v_cmp_eq_u32_e64 s9, 1, v34
.LBB179_1:                              ; =>This Inner Loop Header: Depth=1
	s_waitcnt vmcnt(4)
	s_delay_alu instid0(VALU_DEP_1) | instskip(NEXT) | instid1(VALU_DEP_1)
	v_add_f64 v[33:34], v[19:20], v[17:18]
	v_add_f64 v[33:34], v[13:14], v[33:34]
	s_delay_alu instid0(VALU_DEP_1) | instskip(NEXT) | instid1(VALU_DEP_1)
	v_add_f64 v[33:34], v[15:16], v[33:34]
	v_add_f64 v[33:34], v[9:10], v[33:34]
	s_delay_alu instid0(VALU_DEP_1) | instskip(NEXT) | instid1(VALU_DEP_1)
	v_add_f64 v[33:34], v[11:12], v[33:34]
	v_add_f64 v[33:34], v[5:6], v[33:34]
	s_delay_alu instid0(VALU_DEP_1) | instskip(SKIP_1) | instid1(VALU_DEP_1)
	v_add_f64 v[33:34], v[7:8], v[33:34]
	s_waitcnt vmcnt(0)
	v_add_f64 v[33:34], v[29:30], v[33:34]
	s_delay_alu instid0(VALU_DEP_1) | instskip(NEXT) | instid1(VALU_DEP_1)
	v_add_f64 v[33:34], v[31:32], v[33:34]
	v_add_f64 v[33:34], v[25:26], v[33:34]
	s_delay_alu instid0(VALU_DEP_1) | instskip(NEXT) | instid1(VALU_DEP_1)
	v_add_f64 v[33:34], v[27:28], v[33:34]
	;; [unrolled: 3-line block ×4, first 2 shown]
	v_mov_b32_dpp v33, v3 row_shr:1 row_mask:0xf bank_mask:0xf
	s_delay_alu instid0(VALU_DEP_2)
	v_mov_b32_dpp v34, v4 row_shr:1 row_mask:0xf bank_mask:0xf
	s_and_saveexec_b32 s15, vcc_lo
; %bb.2:                                ;   in Loop: Header=BB179_1 Depth=1
	s_delay_alu instid0(VALU_DEP_1)
	v_add_f64 v[3:4], v[3:4], v[33:34]
; %bb.3:                                ;   in Loop: Header=BB179_1 Depth=1
	s_or_b32 exec_lo, exec_lo, s15
	s_delay_alu instid0(VALU_DEP_1) | instskip(NEXT) | instid1(VALU_DEP_2)
	v_mov_b32_dpp v33, v3 row_shr:2 row_mask:0xf bank_mask:0xf
	v_mov_b32_dpp v34, v4 row_shr:2 row_mask:0xf bank_mask:0xf
	s_and_saveexec_b32 s15, s0
; %bb.4:                                ;   in Loop: Header=BB179_1 Depth=1
	s_delay_alu instid0(VALU_DEP_1)
	v_add_f64 v[3:4], v[3:4], v[33:34]
; %bb.5:                                ;   in Loop: Header=BB179_1 Depth=1
	s_or_b32 exec_lo, exec_lo, s15
	s_delay_alu instid0(VALU_DEP_1) | instskip(NEXT) | instid1(VALU_DEP_2)
	v_mov_b32_dpp v33, v3 row_shr:4 row_mask:0xf bank_mask:0xf
	v_mov_b32_dpp v34, v4 row_shr:4 row_mask:0xf bank_mask:0xf
	s_and_saveexec_b32 s15, s1
	;; [unrolled: 9-line block ×3, first 2 shown]
; %bb.8:                                ;   in Loop: Header=BB179_1 Depth=1
	s_delay_alu instid0(VALU_DEP_1)
	v_add_f64 v[3:4], v[3:4], v[33:34]
; %bb.9:                                ;   in Loop: Header=BB179_1 Depth=1
	s_or_b32 exec_lo, exec_lo, s15
	ds_swizzle_b32 v33, v3 offset:swizzle(BROADCAST,32,15)
	ds_swizzle_b32 v34, v4 offset:swizzle(BROADCAST,32,15)
	s_and_saveexec_b32 s15, s3
	s_cbranch_execz .LBB179_11
; %bb.10:                               ;   in Loop: Header=BB179_1 Depth=1
	s_waitcnt lgkmcnt(0)
	v_add_f64 v[3:4], v[3:4], v[33:34]
.LBB179_11:                             ;   in Loop: Header=BB179_1 Depth=1
	s_or_b32 exec_lo, exec_lo, s15
	s_and_saveexec_b32 s15, s4
	s_cbranch_execz .LBB179_13
; %bb.12:                               ;   in Loop: Header=BB179_1 Depth=1
	ds_store_b64 v44, v[3:4]
.LBB179_13:                             ;   in Loop: Header=BB179_1 Depth=1
	s_or_b32 exec_lo, exec_lo, s15
	s_waitcnt lgkmcnt(0)
	s_barrier
	buffer_gl0_inv
	s_and_saveexec_b32 s15, s5
	s_cbranch_execz .LBB179_17
; %bb.14:                               ;   in Loop: Header=BB179_1 Depth=1
	ds_load_b64 v[33:34], v0
	s_waitcnt lgkmcnt(0)
	v_mov_b32_dpp v35, v33 row_shr:1 row_mask:0xf bank_mask:0xf
	v_mov_b32_dpp v36, v34 row_shr:1 row_mask:0xf bank_mask:0xf
	s_and_saveexec_b32 s16, s9
; %bb.15:                               ;   in Loop: Header=BB179_1 Depth=1
	s_delay_alu instid0(VALU_DEP_1)
	v_add_f64 v[33:34], v[33:34], v[35:36]
; %bb.16:                               ;   in Loop: Header=BB179_1 Depth=1
	s_or_b32 exec_lo, exec_lo, s16
	ds_store_b64 v0, v[33:34]
.LBB179_17:                             ;   in Loop: Header=BB179_1 Depth=1
	s_or_b32 exec_lo, exec_lo, s15
	v_dual_mov_b32 v34, s13 :: v_dual_mov_b32 v33, s12
	s_waitcnt lgkmcnt(0)
	s_barrier
	buffer_gl0_inv
	s_and_saveexec_b32 s15, s6
	s_cbranch_execz .LBB179_19
; %bb.18:                               ;   in Loop: Header=BB179_1 Depth=1
	ds_load_b64 v[33:34], v45
	s_waitcnt lgkmcnt(0)
	v_add_f64 v[33:34], v[33:34], s[12:13]
.LBB179_19:                             ;   in Loop: Header=BB179_1 Depth=1
	s_or_b32 exec_lo, exec_lo, s15
	s_delay_alu instid0(VALU_DEP_1) | instskip(SKIP_1) | instid1(SALU_CYCLE_1)
	v_add_f64 v[3:4], v[3:4], v[33:34]
	s_add_i32 s14, s14, -1
	s_cmp_lg_u32 s14, 0
	ds_bpermute_b32 v4, v43, v4
	ds_bpermute_b32 v3, v43, v3
	s_waitcnt lgkmcnt(1)
	v_cndmask_b32_e64 v4, v4, v34, s7
	s_waitcnt lgkmcnt(0)
	v_cndmask_b32_e64 v3, v3, v33, s7
	s_delay_alu instid0(VALU_DEP_2) | instskip(NEXT) | instid1(VALU_DEP_2)
	v_cndmask_b32_e64 v38, v4, s13, s8
	v_cndmask_b32_e64 v37, v3, s12, s8
	s_delay_alu instid0(VALU_DEP_1) | instskip(NEXT) | instid1(VALU_DEP_1)
	v_add_f64 v[39:40], v[17:18], v[37:38]
	v_add_f64 v[33:34], v[19:20], v[39:40]
	s_delay_alu instid0(VALU_DEP_1) | instskip(NEXT) | instid1(VALU_DEP_1)
	v_add_f64 v[35:36], v[13:14], v[33:34]
	v_add_f64 v[13:14], v[15:16], v[35:36]
	;; [unrolled: 3-line block ×7, first 2 shown]
	s_delay_alu instid0(VALU_DEP_1)
	v_add_f64 v[3:4], v[1:2], v[21:22]
	s_cbranch_scc0 .LBB179_21
; %bb.20:                               ;   in Loop: Header=BB179_1 Depth=1
	v_dual_mov_b32 v1, v21 :: v_dual_mov_b32 v2, v22
	v_dual_mov_b32 v23, v27 :: v_dual_mov_b32 v24, v28
	;; [unrolled: 1-line block ×15, first 2 shown]
	s_branch .LBB179_1
.LBB179_21:
	v_add_co_u32 v0, vcc_lo, s10, v41
	v_add_co_ci_u32_e32 v1, vcc_lo, s11, v42, vcc_lo
	s_delay_alu instid0(VALU_DEP_3)
	v_dual_mov_b32 v23, v3 :: v_dual_mov_b32 v24, v4
	s_clause 0x7
	global_store_b128 v[0:1], v[37:40], off
	global_store_b128 v[0:1], v[33:36], off offset:16
	global_store_b128 v[0:1], v[13:16], off offset:32
	;; [unrolled: 1-line block ×7, first 2 shown]
	s_nop 0
	s_sendmsg sendmsg(MSG_DEALLOC_VGPRS)
	s_endpgm
	.section	.rodata,"a",@progbits
	.p2align	6, 0x0
	.amdhsa_kernel _Z6kernelI14exclusive_scanILN6hipcub18BlockScanAlgorithmE0EEdLj64ELj16ELj100EEvPKT0_PS4_S4_
		.amdhsa_group_segment_fixed_size 16
		.amdhsa_private_segment_fixed_size 0
		.amdhsa_kernarg_size 280
		.amdhsa_user_sgpr_count 15
		.amdhsa_user_sgpr_dispatch_ptr 0
		.amdhsa_user_sgpr_queue_ptr 0
		.amdhsa_user_sgpr_kernarg_segment_ptr 1
		.amdhsa_user_sgpr_dispatch_id 0
		.amdhsa_user_sgpr_private_segment_size 0
		.amdhsa_wavefront_size32 1
		.amdhsa_uses_dynamic_stack 0
		.amdhsa_enable_private_segment 0
		.amdhsa_system_sgpr_workgroup_id_x 1
		.amdhsa_system_sgpr_workgroup_id_y 0
		.amdhsa_system_sgpr_workgroup_id_z 0
		.amdhsa_system_sgpr_workgroup_info 0
		.amdhsa_system_vgpr_workitem_id 0
		.amdhsa_next_free_vgpr 46
		.amdhsa_next_free_sgpr 17
		.amdhsa_reserve_vcc 1
		.amdhsa_float_round_mode_32 0
		.amdhsa_float_round_mode_16_64 0
		.amdhsa_float_denorm_mode_32 3
		.amdhsa_float_denorm_mode_16_64 3
		.amdhsa_dx10_clamp 1
		.amdhsa_ieee_mode 1
		.amdhsa_fp16_overflow 0
		.amdhsa_workgroup_processor_mode 1
		.amdhsa_memory_ordered 1
		.amdhsa_forward_progress 0
		.amdhsa_shared_vgpr_count 0
		.amdhsa_exception_fp_ieee_invalid_op 0
		.amdhsa_exception_fp_denorm_src 0
		.amdhsa_exception_fp_ieee_div_zero 0
		.amdhsa_exception_fp_ieee_overflow 0
		.amdhsa_exception_fp_ieee_underflow 0
		.amdhsa_exception_fp_ieee_inexact 0
		.amdhsa_exception_int_div_zero 0
	.end_amdhsa_kernel
	.section	.text._Z6kernelI14exclusive_scanILN6hipcub18BlockScanAlgorithmE0EEdLj64ELj16ELj100EEvPKT0_PS4_S4_,"axG",@progbits,_Z6kernelI14exclusive_scanILN6hipcub18BlockScanAlgorithmE0EEdLj64ELj16ELj100EEvPKT0_PS4_S4_,comdat
.Lfunc_end179:
	.size	_Z6kernelI14exclusive_scanILN6hipcub18BlockScanAlgorithmE0EEdLj64ELj16ELj100EEvPKT0_PS4_S4_, .Lfunc_end179-_Z6kernelI14exclusive_scanILN6hipcub18BlockScanAlgorithmE0EEdLj64ELj16ELj100EEvPKT0_PS4_S4_
                                        ; -- End function
	.section	.AMDGPU.csdata,"",@progbits
; Kernel info:
; codeLenInByte = 1296
; NumSgprs: 19
; NumVgprs: 46
; ScratchSize: 0
; MemoryBound: 0
; FloatMode: 240
; IeeeMode: 1
; LDSByteSize: 16 bytes/workgroup (compile time only)
; SGPRBlocks: 2
; VGPRBlocks: 5
; NumSGPRsForWavesPerEU: 19
; NumVGPRsForWavesPerEU: 46
; Occupancy: 16
; WaveLimiterHint : 0
; COMPUTE_PGM_RSRC2:SCRATCH_EN: 0
; COMPUTE_PGM_RSRC2:USER_SGPR: 15
; COMPUTE_PGM_RSRC2:TRAP_HANDLER: 0
; COMPUTE_PGM_RSRC2:TGID_X_EN: 1
; COMPUTE_PGM_RSRC2:TGID_Y_EN: 0
; COMPUTE_PGM_RSRC2:TGID_Z_EN: 0
; COMPUTE_PGM_RSRC2:TIDIG_COMP_CNT: 0
	.section	.text._Z6kernelI14exclusive_scanILN6hipcub18BlockScanAlgorithmE0EEhLj64ELj1ELj100EEvPKT0_PS4_S4_,"axG",@progbits,_Z6kernelI14exclusive_scanILN6hipcub18BlockScanAlgorithmE0EEhLj64ELj1ELj100EEvPKT0_PS4_S4_,comdat
	.protected	_Z6kernelI14exclusive_scanILN6hipcub18BlockScanAlgorithmE0EEhLj64ELj1ELj100EEvPKT0_PS4_S4_ ; -- Begin function _Z6kernelI14exclusive_scanILN6hipcub18BlockScanAlgorithmE0EEhLj64ELj1ELj100EEvPKT0_PS4_S4_
	.globl	_Z6kernelI14exclusive_scanILN6hipcub18BlockScanAlgorithmE0EEhLj64ELj1ELj100EEvPKT0_PS4_S4_
	.p2align	8
	.type	_Z6kernelI14exclusive_scanILN6hipcub18BlockScanAlgorithmE0EEhLj64ELj1ELj100EEvPKT0_PS4_S4_,@function
_Z6kernelI14exclusive_scanILN6hipcub18BlockScanAlgorithmE0EEhLj64ELj1ELj100EEvPKT0_PS4_S4_: ; @_Z6kernelI14exclusive_scanILN6hipcub18BlockScanAlgorithmE0EEhLj64ELj1ELj100EEvPKT0_PS4_S4_
; %bb.0:
	s_clause 0x1
	s_load_b32 s2, s[0:1], 0x24
	s_load_b128 s[8:11], s[0:1], 0x0
	v_mbcnt_lo_u32_b32 v4, -1, 0
	s_load_b32 s12, s[0:1], 0x10
	v_or_b32_e32 v7, 31, v0
	v_cmp_gt_u32_e64 s5, 2, v0
	v_cmp_lt_u32_e64 s6, 31, v0
	v_add_nc_u32_e32 v6, -1, v4
	v_and_b32_e32 v3, 16, v4
	v_cmp_eq_u32_e64 s7, 0, v4
	s_delay_alu instid0(VALU_DEP_3) | instskip(NEXT) | instid1(VALU_DEP_3)
	v_cmp_gt_i32_e64 s4, 0, v6
	v_cmp_eq_u32_e64 s3, 0, v3
	s_delay_alu instid0(VALU_DEP_2)
	v_cndmask_b32_e64 v3, v6, v4, s4
	v_and_b32_e32 v6, 1, v4
	v_cmp_eq_u32_e64 s4, v7, v0
	s_waitcnt lgkmcnt(0)
	s_and_b32 s2, s2, 0xffff
	v_lshlrev_b32_e32 v3, 2, v3
	v_mad_u64_u32 v[1:2], null, s15, s2, v[0:1]
	v_and_b32_e32 v2, 15, v4
	s_delay_alu instid0(VALU_DEP_1)
	v_cmp_eq_u32_e32 vcc_lo, 0, v2
	global_load_u8 v5, v1, s[8:9]
	v_cmp_lt_u32_e64 s0, 1, v2
	v_cmp_lt_u32_e64 s1, 3, v2
	v_cmp_lt_u32_e64 s2, 7, v2
	v_lshrrev_b32_e32 v2, 5, v0
	v_cmp_eq_u32_e64 s8, 0, v6
	s_movk_i32 s9, 0x64
	s_delay_alu instid0(VALU_DEP_2)
	v_add_nc_u32_e32 v4, -1, v2
	s_branch .LBB180_2
.LBB180_1:                              ;   in Loop: Header=BB180_2 Depth=1
	s_or_b32 exec_lo, exec_lo, s13
	s_delay_alu instid0(VALU_DEP_1) | instskip(SKIP_1) | instid1(SALU_CYCLE_1)
	v_add_nc_u16 v5, v6, v5
	s_add_i32 s9, s9, -1
	s_cmp_lg_u32 s9, 0
	s_delay_alu instid0(VALU_DEP_1)
	v_and_b32_e32 v5, 0xff, v5
	ds_bpermute_b32 v5, v3, v5
	s_waitcnt lgkmcnt(0)
	v_cndmask_b32_e64 v5, v5, v6, s7
	s_cbranch_scc0 .LBB180_8
.LBB180_2:                              ; =>This Inner Loop Header: Depth=1
	s_waitcnt vmcnt(0)
	s_delay_alu instid0(VALU_DEP_1) | instskip(NEXT) | instid1(VALU_DEP_1)
	v_and_b32_e32 v6, 0xff, v5
	v_mov_b32_dpp v6, v6 row_shr:1 row_mask:0xf bank_mask:0xf
	s_delay_alu instid0(VALU_DEP_1) | instskip(NEXT) | instid1(VALU_DEP_1)
	v_cndmask_b32_e64 v6, v6, 0, vcc_lo
	v_add_nc_u16 v5, v6, v5
	s_delay_alu instid0(VALU_DEP_1) | instskip(NEXT) | instid1(VALU_DEP_1)
	v_and_b32_e32 v6, 0xff, v5
	v_mov_b32_dpp v6, v6 row_shr:2 row_mask:0xf bank_mask:0xf
	s_delay_alu instid0(VALU_DEP_1) | instskip(NEXT) | instid1(VALU_DEP_1)
	v_cndmask_b32_e64 v6, 0, v6, s0
	v_add_nc_u16 v5, v5, v6
	s_delay_alu instid0(VALU_DEP_1) | instskip(NEXT) | instid1(VALU_DEP_1)
	v_and_b32_e32 v6, 0xff, v5
	v_mov_b32_dpp v6, v6 row_shr:4 row_mask:0xf bank_mask:0xf
	s_delay_alu instid0(VALU_DEP_1) | instskip(NEXT) | instid1(VALU_DEP_1)
	v_cndmask_b32_e64 v6, 0, v6, s1
	;; [unrolled: 6-line block ×3, first 2 shown]
	v_add_nc_u16 v5, v5, v6
	s_delay_alu instid0(VALU_DEP_1) | instskip(SKIP_3) | instid1(VALU_DEP_1)
	v_and_b32_e32 v6, 0xff, v5
	ds_swizzle_b32 v6, v6 offset:swizzle(BROADCAST,32,15)
	s_waitcnt lgkmcnt(0)
	v_cndmask_b32_e64 v6, v6, 0, s3
	v_add_nc_u16 v5, v5, v6
	s_and_saveexec_b32 s13, s4
	s_cbranch_execz .LBB180_4
; %bb.3:                                ;   in Loop: Header=BB180_2 Depth=1
	ds_store_b8 v2, v5
.LBB180_4:                              ;   in Loop: Header=BB180_2 Depth=1
	s_or_b32 exec_lo, exec_lo, s13
	s_waitcnt lgkmcnt(0)
	s_barrier
	buffer_gl0_inv
	s_and_saveexec_b32 s13, s5
	s_cbranch_execz .LBB180_6
; %bb.5:                                ;   in Loop: Header=BB180_2 Depth=1
	ds_load_u8 v6, v0
	s_waitcnt lgkmcnt(0)
	v_and_b32_e32 v7, 0xff, v6
	s_delay_alu instid0(VALU_DEP_1) | instskip(NEXT) | instid1(VALU_DEP_1)
	v_mov_b32_dpp v7, v7 row_shr:1 row_mask:0xf bank_mask:0xf
	v_cndmask_b32_e64 v7, v7, 0, s8
	s_delay_alu instid0(VALU_DEP_1)
	v_add_nc_u16 v6, v7, v6
	ds_store_b8 v0, v6
.LBB180_6:                              ;   in Loop: Header=BB180_2 Depth=1
	s_or_b32 exec_lo, exec_lo, s13
	v_mov_b32_e32 v6, s12
	s_waitcnt lgkmcnt(0)
	s_barrier
	buffer_gl0_inv
	s_and_saveexec_b32 s13, s6
	s_cbranch_execz .LBB180_1
; %bb.7:                                ;   in Loop: Header=BB180_2 Depth=1
	ds_load_u8 v6, v4
	s_waitcnt lgkmcnt(0)
	v_add_nc_u16 v6, v6, s12
	s_branch .LBB180_1
.LBB180_8:
	v_add_co_u32 v0, s0, s10, v1
	s_delay_alu instid0(VALU_DEP_1)
	v_add_co_ci_u32_e64 v1, null, s11, 0, s0
	global_store_b8 v[0:1], v5, off
	s_nop 0
	s_sendmsg sendmsg(MSG_DEALLOC_VGPRS)
	s_endpgm
	.section	.rodata,"a",@progbits
	.p2align	6, 0x0
	.amdhsa_kernel _Z6kernelI14exclusive_scanILN6hipcub18BlockScanAlgorithmE0EEhLj64ELj1ELj100EEvPKT0_PS4_S4_
		.amdhsa_group_segment_fixed_size 2
		.amdhsa_private_segment_fixed_size 0
		.amdhsa_kernarg_size 280
		.amdhsa_user_sgpr_count 15
		.amdhsa_user_sgpr_dispatch_ptr 0
		.amdhsa_user_sgpr_queue_ptr 0
		.amdhsa_user_sgpr_kernarg_segment_ptr 1
		.amdhsa_user_sgpr_dispatch_id 0
		.amdhsa_user_sgpr_private_segment_size 0
		.amdhsa_wavefront_size32 1
		.amdhsa_uses_dynamic_stack 0
		.amdhsa_enable_private_segment 0
		.amdhsa_system_sgpr_workgroup_id_x 1
		.amdhsa_system_sgpr_workgroup_id_y 0
		.amdhsa_system_sgpr_workgroup_id_z 0
		.amdhsa_system_sgpr_workgroup_info 0
		.amdhsa_system_vgpr_workitem_id 0
		.amdhsa_next_free_vgpr 8
		.amdhsa_next_free_sgpr 16
		.amdhsa_reserve_vcc 1
		.amdhsa_float_round_mode_32 0
		.amdhsa_float_round_mode_16_64 0
		.amdhsa_float_denorm_mode_32 3
		.amdhsa_float_denorm_mode_16_64 3
		.amdhsa_dx10_clamp 1
		.amdhsa_ieee_mode 1
		.amdhsa_fp16_overflow 0
		.amdhsa_workgroup_processor_mode 1
		.amdhsa_memory_ordered 1
		.amdhsa_forward_progress 0
		.amdhsa_shared_vgpr_count 0
		.amdhsa_exception_fp_ieee_invalid_op 0
		.amdhsa_exception_fp_denorm_src 0
		.amdhsa_exception_fp_ieee_div_zero 0
		.amdhsa_exception_fp_ieee_overflow 0
		.amdhsa_exception_fp_ieee_underflow 0
		.amdhsa_exception_fp_ieee_inexact 0
		.amdhsa_exception_int_div_zero 0
	.end_amdhsa_kernel
	.section	.text._Z6kernelI14exclusive_scanILN6hipcub18BlockScanAlgorithmE0EEhLj64ELj1ELj100EEvPKT0_PS4_S4_,"axG",@progbits,_Z6kernelI14exclusive_scanILN6hipcub18BlockScanAlgorithmE0EEhLj64ELj1ELj100EEvPKT0_PS4_S4_,comdat
.Lfunc_end180:
	.size	_Z6kernelI14exclusive_scanILN6hipcub18BlockScanAlgorithmE0EEhLj64ELj1ELj100EEvPKT0_PS4_S4_, .Lfunc_end180-_Z6kernelI14exclusive_scanILN6hipcub18BlockScanAlgorithmE0EEhLj64ELj1ELj100EEvPKT0_PS4_S4_
                                        ; -- End function
	.section	.AMDGPU.csdata,"",@progbits
; Kernel info:
; codeLenInByte = 676
; NumSgprs: 18
; NumVgprs: 8
; ScratchSize: 0
; MemoryBound: 0
; FloatMode: 240
; IeeeMode: 1
; LDSByteSize: 2 bytes/workgroup (compile time only)
; SGPRBlocks: 2
; VGPRBlocks: 0
; NumSGPRsForWavesPerEU: 18
; NumVGPRsForWavesPerEU: 8
; Occupancy: 16
; WaveLimiterHint : 0
; COMPUTE_PGM_RSRC2:SCRATCH_EN: 0
; COMPUTE_PGM_RSRC2:USER_SGPR: 15
; COMPUTE_PGM_RSRC2:TRAP_HANDLER: 0
; COMPUTE_PGM_RSRC2:TGID_X_EN: 1
; COMPUTE_PGM_RSRC2:TGID_Y_EN: 0
; COMPUTE_PGM_RSRC2:TGID_Z_EN: 0
; COMPUTE_PGM_RSRC2:TIDIG_COMP_CNT: 0
	.section	.text._Z6kernelI14exclusive_scanILN6hipcub18BlockScanAlgorithmE0EEhLj64ELj3ELj100EEvPKT0_PS4_S4_,"axG",@progbits,_Z6kernelI14exclusive_scanILN6hipcub18BlockScanAlgorithmE0EEhLj64ELj3ELj100EEvPKT0_PS4_S4_,comdat
	.protected	_Z6kernelI14exclusive_scanILN6hipcub18BlockScanAlgorithmE0EEhLj64ELj3ELj100EEvPKT0_PS4_S4_ ; -- Begin function _Z6kernelI14exclusive_scanILN6hipcub18BlockScanAlgorithmE0EEhLj64ELj3ELj100EEvPKT0_PS4_S4_
	.globl	_Z6kernelI14exclusive_scanILN6hipcub18BlockScanAlgorithmE0EEhLj64ELj3ELj100EEvPKT0_PS4_S4_
	.p2align	8
	.type	_Z6kernelI14exclusive_scanILN6hipcub18BlockScanAlgorithmE0EEhLj64ELj3ELj100EEvPKT0_PS4_S4_,@function
_Z6kernelI14exclusive_scanILN6hipcub18BlockScanAlgorithmE0EEhLj64ELj3ELj100EEvPKT0_PS4_S4_: ; @_Z6kernelI14exclusive_scanILN6hipcub18BlockScanAlgorithmE0EEhLj64ELj3ELj100EEvPKT0_PS4_S4_
; %bb.0:
	s_clause 0x2
	s_load_b32 s2, s[0:1], 0x24
	s_load_b32 s12, s[0:1], 0x10
	s_load_b128 s[8:11], s[0:1], 0x0
	v_mbcnt_lo_u32_b32 v8, -1, 0
	v_lshrrev_b32_e32 v4, 5, v0
	v_or_b32_e32 v11, 31, v0
	v_cmp_gt_u32_e32 vcc_lo, 2, v0
	v_cmp_lt_u32_e64 s0, 31, v0
	v_add_nc_u32_e32 v12, -1, v8
	v_and_b32_e32 v9, 15, v8
	v_and_b32_e32 v10, 16, v8
	v_cmp_eq_u32_e64 s1, 0, v8
	v_and_b32_e32 v13, 1, v8
	v_cmp_gt_i32_e64 s7, 0, v12
	v_cmp_eq_u32_e64 s3, 0, v9
	v_cmp_lt_u32_e64 s4, 1, v9
	v_cmp_lt_u32_e64 s5, 3, v9
	;; [unrolled: 1-line block ×3, first 2 shown]
	s_movk_i32 s13, 0x64
	s_waitcnt lgkmcnt(0)
	s_and_b32 s2, s2, 0xffff
	s_delay_alu instid0(SALU_CYCLE_1) | instskip(SKIP_1) | instid1(VALU_DEP_2)
	v_mad_u64_u32 v[1:2], null, s15, s2, v[0:1]
	v_cmp_eq_u32_e64 s2, 0, v0
	v_lshl_add_u32 v3, v1, 1, v1
	s_delay_alu instid0(VALU_DEP_1)
	v_add_nc_u32_e32 v2, 1, v3
	v_add_nc_u32_e32 v1, 2, v3
	s_clause 0x2
	global_load_u8 v5, v2, s[8:9]
	global_load_u8 v6, v3, s[8:9]
	;; [unrolled: 1-line block ×3, first 2 shown]
	v_cmp_eq_u32_e64 s8, v11, v0
	v_cmp_eq_u32_e64 s9, 0, v13
	s_waitcnt vmcnt(2)
	v_lshlrev_b16 v5, 8, v5
	s_waitcnt vmcnt(1)
	s_delay_alu instid0(VALU_DEP_1) | instskip(SKIP_2) | instid1(VALU_DEP_3)
	v_or_b32_e32 v5, v6, v5
	v_cndmask_b32_e64 v6, v12, v8, s7
	v_cmp_eq_u32_e64 s7, 0, v10
	v_and_b32_e32 v8, 0xffff, v5
	s_delay_alu instid0(VALU_DEP_3) | instskip(SKIP_2) | instid1(VALU_DEP_3)
	v_lshlrev_b32_e32 v5, 2, v6
	v_add_nc_u32_e32 v6, -1, v4
	s_waitcnt vmcnt(0)
	v_lshl_or_b32 v7, v7, 16, v8
	s_branch .LBB181_2
.LBB181_1:                              ;   in Loop: Header=BB181_2 Depth=1
	s_or_b32 exec_lo, exec_lo, s14
	s_delay_alu instid0(VALU_DEP_1) | instskip(SKIP_1) | instid1(SALU_CYCLE_1)
	v_add_nc_u16 v9, v10, v9
	s_add_i32 s13, s13, -1
	s_cmp_lg_u32 s13, 0
	s_delay_alu instid0(VALU_DEP_1) | instskip(SKIP_3) | instid1(VALU_DEP_1)
	v_and_b32_e32 v9, 0xff, v9
	ds_bpermute_b32 v9, v5, v9
	s_waitcnt lgkmcnt(0)
	v_cndmask_b32_e64 v9, v9, v10, s1
	v_cndmask_b32_e64 v9, v9, s12, s2
	s_delay_alu instid0(VALU_DEP_1) | instskip(SKIP_1) | instid1(VALU_DEP_2)
	v_add_nc_u16 v10, v9, v7
	v_and_b32_e32 v7, 0xff, v9
	v_lshlrev_b16 v11, 8, v10
	v_add_nc_u16 v8, v10, v8
	s_delay_alu instid0(VALU_DEP_2) | instskip(NEXT) | instid1(VALU_DEP_2)
	v_or_b32_e32 v7, v7, v11
	v_and_b32_e32 v11, 0xff, v8
	s_delay_alu instid0(VALU_DEP_2) | instskip(NEXT) | instid1(VALU_DEP_2)
	v_and_b32_e32 v7, 0xffff, v7
	v_lshlrev_b32_e32 v11, 16, v11
	s_delay_alu instid0(VALU_DEP_1)
	v_or_b32_e32 v7, v7, v11
	s_cbranch_scc0 .LBB181_8
.LBB181_2:                              ; =>This Inner Loop Header: Depth=1
	s_delay_alu instid0(VALU_DEP_1) | instskip(SKIP_1) | instid1(VALU_DEP_2)
	v_lshrrev_b32_e32 v8, 8, v7
	v_lshrrev_b32_e32 v9, 16, v7
	v_add_nc_u16 v10, v8, v7
	s_delay_alu instid0(VALU_DEP_1) | instskip(NEXT) | instid1(VALU_DEP_1)
	v_add_nc_u16 v9, v10, v9
	v_and_b32_e32 v10, 0xff, v9
	s_delay_alu instid0(VALU_DEP_1) | instskip(NEXT) | instid1(VALU_DEP_1)
	v_mov_b32_dpp v10, v10 row_shr:1 row_mask:0xf bank_mask:0xf
	v_cndmask_b32_e64 v10, v10, 0, s3
	s_delay_alu instid0(VALU_DEP_1) | instskip(NEXT) | instid1(VALU_DEP_1)
	v_add_nc_u16 v9, v10, v9
	v_and_b32_e32 v10, 0xff, v9
	s_delay_alu instid0(VALU_DEP_1) | instskip(NEXT) | instid1(VALU_DEP_1)
	v_mov_b32_dpp v10, v10 row_shr:2 row_mask:0xf bank_mask:0xf
	v_cndmask_b32_e64 v10, 0, v10, s4
	;; [unrolled: 6-line block ×4, first 2 shown]
	s_delay_alu instid0(VALU_DEP_1) | instskip(NEXT) | instid1(VALU_DEP_1)
	v_add_nc_u16 v9, v9, v10
	v_and_b32_e32 v10, 0xff, v9
	ds_swizzle_b32 v10, v10 offset:swizzle(BROADCAST,32,15)
	s_waitcnt lgkmcnt(0)
	v_cndmask_b32_e64 v10, v10, 0, s7
	s_delay_alu instid0(VALU_DEP_1)
	v_add_nc_u16 v9, v9, v10
	s_and_saveexec_b32 s14, s8
	s_cbranch_execz .LBB181_4
; %bb.3:                                ;   in Loop: Header=BB181_2 Depth=1
	ds_store_b8 v4, v9
.LBB181_4:                              ;   in Loop: Header=BB181_2 Depth=1
	s_or_b32 exec_lo, exec_lo, s14
	s_waitcnt lgkmcnt(0)
	s_barrier
	buffer_gl0_inv
	s_and_saveexec_b32 s14, vcc_lo
	s_cbranch_execz .LBB181_6
; %bb.5:                                ;   in Loop: Header=BB181_2 Depth=1
	ds_load_u8 v10, v0
	s_waitcnt lgkmcnt(0)
	v_and_b32_e32 v11, 0xff, v10
	s_delay_alu instid0(VALU_DEP_1) | instskip(NEXT) | instid1(VALU_DEP_1)
	v_mov_b32_dpp v11, v11 row_shr:1 row_mask:0xf bank_mask:0xf
	v_cndmask_b32_e64 v11, v11, 0, s9
	s_delay_alu instid0(VALU_DEP_1)
	v_add_nc_u16 v10, v11, v10
	ds_store_b8 v0, v10
.LBB181_6:                              ;   in Loop: Header=BB181_2 Depth=1
	s_or_b32 exec_lo, exec_lo, s14
	v_mov_b32_e32 v10, s12
	s_waitcnt lgkmcnt(0)
	s_barrier
	buffer_gl0_inv
	s_and_saveexec_b32 s14, s0
	s_cbranch_execz .LBB181_1
; %bb.7:                                ;   in Loop: Header=BB181_2 Depth=1
	ds_load_u8 v10, v6
	s_waitcnt lgkmcnt(0)
	v_add_nc_u16 v10, v10, s12
	s_branch .LBB181_1
.LBB181_8:
	v_add_co_u32 v3, s0, s10, v3
	s_delay_alu instid0(VALU_DEP_1) | instskip(SKIP_1) | instid1(VALU_DEP_1)
	v_add_co_ci_u32_e64 v4, null, s11, 0, s0
	v_add_co_u32 v5, s0, s10, v2
	v_add_co_ci_u32_e64 v6, null, s11, 0, s0
	v_add_co_u32 v0, s0, s10, v1
	s_delay_alu instid0(VALU_DEP_1)
	v_add_co_ci_u32_e64 v1, null, s11, 0, s0
	s_clause 0x2
	global_store_b8 v[3:4], v9, off
	global_store_b8 v[5:6], v10, off
	;; [unrolled: 1-line block ×3, first 2 shown]
	s_nop 0
	s_sendmsg sendmsg(MSG_DEALLOC_VGPRS)
	s_endpgm
	.section	.rodata,"a",@progbits
	.p2align	6, 0x0
	.amdhsa_kernel _Z6kernelI14exclusive_scanILN6hipcub18BlockScanAlgorithmE0EEhLj64ELj3ELj100EEvPKT0_PS4_S4_
		.amdhsa_group_segment_fixed_size 2
		.amdhsa_private_segment_fixed_size 0
		.amdhsa_kernarg_size 280
		.amdhsa_user_sgpr_count 15
		.amdhsa_user_sgpr_dispatch_ptr 0
		.amdhsa_user_sgpr_queue_ptr 0
		.amdhsa_user_sgpr_kernarg_segment_ptr 1
		.amdhsa_user_sgpr_dispatch_id 0
		.amdhsa_user_sgpr_private_segment_size 0
		.amdhsa_wavefront_size32 1
		.amdhsa_uses_dynamic_stack 0
		.amdhsa_enable_private_segment 0
		.amdhsa_system_sgpr_workgroup_id_x 1
		.amdhsa_system_sgpr_workgroup_id_y 0
		.amdhsa_system_sgpr_workgroup_id_z 0
		.amdhsa_system_sgpr_workgroup_info 0
		.amdhsa_system_vgpr_workitem_id 0
		.amdhsa_next_free_vgpr 14
		.amdhsa_next_free_sgpr 16
		.amdhsa_reserve_vcc 1
		.amdhsa_float_round_mode_32 0
		.amdhsa_float_round_mode_16_64 0
		.amdhsa_float_denorm_mode_32 3
		.amdhsa_float_denorm_mode_16_64 3
		.amdhsa_dx10_clamp 1
		.amdhsa_ieee_mode 1
		.amdhsa_fp16_overflow 0
		.amdhsa_workgroup_processor_mode 1
		.amdhsa_memory_ordered 1
		.amdhsa_forward_progress 0
		.amdhsa_shared_vgpr_count 0
		.amdhsa_exception_fp_ieee_invalid_op 0
		.amdhsa_exception_fp_denorm_src 0
		.amdhsa_exception_fp_ieee_div_zero 0
		.amdhsa_exception_fp_ieee_overflow 0
		.amdhsa_exception_fp_ieee_underflow 0
		.amdhsa_exception_fp_ieee_inexact 0
		.amdhsa_exception_int_div_zero 0
	.end_amdhsa_kernel
	.section	.text._Z6kernelI14exclusive_scanILN6hipcub18BlockScanAlgorithmE0EEhLj64ELj3ELj100EEvPKT0_PS4_S4_,"axG",@progbits,_Z6kernelI14exclusive_scanILN6hipcub18BlockScanAlgorithmE0EEhLj64ELj3ELj100EEvPKT0_PS4_S4_,comdat
.Lfunc_end181:
	.size	_Z6kernelI14exclusive_scanILN6hipcub18BlockScanAlgorithmE0EEhLj64ELj3ELj100EEvPKT0_PS4_S4_, .Lfunc_end181-_Z6kernelI14exclusive_scanILN6hipcub18BlockScanAlgorithmE0EEhLj64ELj3ELj100EEvPKT0_PS4_S4_
                                        ; -- End function
	.section	.AMDGPU.csdata,"",@progbits
; Kernel info:
; codeLenInByte = 928
; NumSgprs: 18
; NumVgprs: 14
; ScratchSize: 0
; MemoryBound: 0
; FloatMode: 240
; IeeeMode: 1
; LDSByteSize: 2 bytes/workgroup (compile time only)
; SGPRBlocks: 2
; VGPRBlocks: 1
; NumSGPRsForWavesPerEU: 18
; NumVGPRsForWavesPerEU: 14
; Occupancy: 16
; WaveLimiterHint : 0
; COMPUTE_PGM_RSRC2:SCRATCH_EN: 0
; COMPUTE_PGM_RSRC2:USER_SGPR: 15
; COMPUTE_PGM_RSRC2:TRAP_HANDLER: 0
; COMPUTE_PGM_RSRC2:TGID_X_EN: 1
; COMPUTE_PGM_RSRC2:TGID_Y_EN: 0
; COMPUTE_PGM_RSRC2:TGID_Z_EN: 0
; COMPUTE_PGM_RSRC2:TIDIG_COMP_CNT: 0
	.section	.text._Z6kernelI14exclusive_scanILN6hipcub18BlockScanAlgorithmE0EEhLj64ELj4ELj100EEvPKT0_PS4_S4_,"axG",@progbits,_Z6kernelI14exclusive_scanILN6hipcub18BlockScanAlgorithmE0EEhLj64ELj4ELj100EEvPKT0_PS4_S4_,comdat
	.protected	_Z6kernelI14exclusive_scanILN6hipcub18BlockScanAlgorithmE0EEhLj64ELj4ELj100EEvPKT0_PS4_S4_ ; -- Begin function _Z6kernelI14exclusive_scanILN6hipcub18BlockScanAlgorithmE0EEhLj64ELj4ELj100EEvPKT0_PS4_S4_
	.globl	_Z6kernelI14exclusive_scanILN6hipcub18BlockScanAlgorithmE0EEhLj64ELj4ELj100EEvPKT0_PS4_S4_
	.p2align	8
	.type	_Z6kernelI14exclusive_scanILN6hipcub18BlockScanAlgorithmE0EEhLj64ELj4ELj100EEvPKT0_PS4_S4_,@function
_Z6kernelI14exclusive_scanILN6hipcub18BlockScanAlgorithmE0EEhLj64ELj4ELj100EEvPKT0_PS4_S4_: ; @_Z6kernelI14exclusive_scanILN6hipcub18BlockScanAlgorithmE0EEhLj64ELj4ELj100EEvPKT0_PS4_S4_
; %bb.0:
	s_clause 0x1
	s_load_b32 s2, s[0:1], 0x24
	s_load_b128 s[8:11], s[0:1], 0x0
	v_mbcnt_lo_u32_b32 v5, -1, 0
	s_load_b32 s12, s[0:1], 0x10
	v_or_b32_e32 v7, 31, v0
	v_cmp_gt_u32_e64 s5, 2, v0
	v_cmp_lt_u32_e64 s6, 31, v0
	v_add_nc_u32_e32 v6, -1, v5
	v_and_b32_e32 v3, 15, v5
	v_and_b32_e32 v4, 16, v5
	v_cmp_eq_u32_e64 s7, 0, v5
	s_movk_i32 s13, 0x64
	v_cmp_gt_i32_e64 s4, 0, v6
	v_cmp_eq_u32_e32 vcc_lo, 0, v3
	v_cmp_lt_u32_e64 s0, 1, v3
	v_cmp_lt_u32_e64 s1, 3, v3
	v_cmp_eq_u32_e64 s3, 0, v4
	v_cndmask_b32_e64 v4, v6, v5, s4
	v_and_b32_e32 v6, 1, v5
	v_cmp_eq_u32_e64 s4, v7, v0
	s_waitcnt lgkmcnt(0)
	s_and_b32 s2, s2, 0xffff
	v_lshlrev_b32_e32 v4, 2, v4
	s_mul_i32 s15, s15, s2
	v_cmp_lt_u32_e64 s2, 7, v3
	v_add_lshl_u32 v1, s15, v0, 2
	v_lshrrev_b32_e32 v3, 5, v0
	global_load_b32 v2, v1, s[8:9]
	v_cmp_eq_u32_e64 s8, 0, v0
	v_cmp_eq_u32_e64 s9, 0, v6
	v_add_nc_u32_e32 v5, -1, v3
	s_branch .LBB182_2
.LBB182_1:                              ;   in Loop: Header=BB182_2 Depth=1
	s_or_b32 exec_lo, exec_lo, s14
	s_delay_alu instid0(VALU_DEP_1) | instskip(SKIP_1) | instid1(SALU_CYCLE_1)
	v_add_nc_u16 v8, v9, v8
	s_add_i32 s13, s13, -1
	s_cmp_lg_u32 s13, 0
	s_delay_alu instid0(VALU_DEP_1) | instskip(SKIP_3) | instid1(VALU_DEP_1)
	v_and_b32_e32 v8, 0xff, v8
	ds_bpermute_b32 v8, v4, v8
	s_waitcnt lgkmcnt(0)
	v_cndmask_b32_e64 v8, v8, v9, s7
	v_cndmask_b32_e64 v8, v8, s12, s8
	s_delay_alu instid0(VALU_DEP_1) | instskip(SKIP_1) | instid1(VALU_DEP_2)
	v_add_nc_u16 v2, v8, v2
	v_and_b32_e32 v8, 0xff, v8
	v_add_nc_u16 v7, v2, v7
	v_lshlrev_b16 v2, 8, v2
	s_delay_alu instid0(VALU_DEP_2) | instskip(SKIP_1) | instid1(VALU_DEP_3)
	v_add_nc_u16 v6, v7, v6
	v_and_b32_e32 v7, 0xff, v7
	v_or_b32_e32 v2, v8, v2
	s_delay_alu instid0(VALU_DEP_3) | instskip(NEXT) | instid1(VALU_DEP_1)
	v_lshlrev_b16 v6, 8, v6
	v_or_b32_e32 v7, v7, v6
	s_delay_alu instid0(VALU_DEP_3) | instskip(NEXT) | instid1(VALU_DEP_2)
	v_and_b32_e32 v6, 0xffff, v2
	v_lshlrev_b32_e32 v7, 16, v7
	s_delay_alu instid0(VALU_DEP_1)
	v_or_b32_e32 v2, v6, v7
	s_cbranch_scc0 .LBB182_8
.LBB182_2:                              ; =>This Inner Loop Header: Depth=1
	s_waitcnt vmcnt(0)
	s_delay_alu instid0(VALU_DEP_1) | instskip(SKIP_2) | instid1(VALU_DEP_3)
	v_lshrrev_b32_e32 v7, 8, v2
	v_lshrrev_b32_e32 v6, 16, v2
	;; [unrolled: 1-line block ×3, first 2 shown]
	v_add_nc_u16 v8, v7, v2
	s_delay_alu instid0(VALU_DEP_1) | instskip(NEXT) | instid1(VALU_DEP_1)
	v_add_nc_u16 v8, v8, v6
	v_add_nc_u16 v8, v8, v9
	s_delay_alu instid0(VALU_DEP_1) | instskip(NEXT) | instid1(VALU_DEP_1)
	v_and_b32_e32 v9, 0xff, v8
	v_mov_b32_dpp v9, v9 row_shr:1 row_mask:0xf bank_mask:0xf
	s_delay_alu instid0(VALU_DEP_1) | instskip(NEXT) | instid1(VALU_DEP_1)
	v_cndmask_b32_e64 v9, v9, 0, vcc_lo
	v_add_nc_u16 v8, v8, v9
	s_delay_alu instid0(VALU_DEP_1) | instskip(NEXT) | instid1(VALU_DEP_1)
	v_and_b32_e32 v9, 0xff, v8
	v_mov_b32_dpp v9, v9 row_shr:2 row_mask:0xf bank_mask:0xf
	s_delay_alu instid0(VALU_DEP_1) | instskip(NEXT) | instid1(VALU_DEP_1)
	v_cndmask_b32_e64 v9, 0, v9, s0
	v_add_nc_u16 v8, v8, v9
	s_delay_alu instid0(VALU_DEP_1) | instskip(NEXT) | instid1(VALU_DEP_1)
	v_and_b32_e32 v9, 0xff, v8
	v_mov_b32_dpp v9, v9 row_shr:4 row_mask:0xf bank_mask:0xf
	s_delay_alu instid0(VALU_DEP_1) | instskip(NEXT) | instid1(VALU_DEP_1)
	v_cndmask_b32_e64 v9, 0, v9, s1
	;; [unrolled: 6-line block ×3, first 2 shown]
	v_add_nc_u16 v8, v8, v9
	s_delay_alu instid0(VALU_DEP_1) | instskip(SKIP_3) | instid1(VALU_DEP_1)
	v_and_b32_e32 v9, 0xff, v8
	ds_swizzle_b32 v9, v9 offset:swizzle(BROADCAST,32,15)
	s_waitcnt lgkmcnt(0)
	v_cndmask_b32_e64 v9, v9, 0, s3
	v_add_nc_u16 v8, v8, v9
	s_and_saveexec_b32 s14, s4
	s_cbranch_execz .LBB182_4
; %bb.3:                                ;   in Loop: Header=BB182_2 Depth=1
	ds_store_b8 v3, v8
.LBB182_4:                              ;   in Loop: Header=BB182_2 Depth=1
	s_or_b32 exec_lo, exec_lo, s14
	s_waitcnt lgkmcnt(0)
	s_barrier
	buffer_gl0_inv
	s_and_saveexec_b32 s14, s5
	s_cbranch_execz .LBB182_6
; %bb.5:                                ;   in Loop: Header=BB182_2 Depth=1
	ds_load_u8 v9, v0
	s_waitcnt lgkmcnt(0)
	v_and_b32_e32 v10, 0xff, v9
	s_delay_alu instid0(VALU_DEP_1) | instskip(NEXT) | instid1(VALU_DEP_1)
	v_mov_b32_dpp v10, v10 row_shr:1 row_mask:0xf bank_mask:0xf
	v_cndmask_b32_e64 v10, v10, 0, s9
	s_delay_alu instid0(VALU_DEP_1)
	v_add_nc_u16 v9, v10, v9
	ds_store_b8 v0, v9
.LBB182_6:                              ;   in Loop: Header=BB182_2 Depth=1
	s_or_b32 exec_lo, exec_lo, s14
	v_mov_b32_e32 v9, s12
	s_waitcnt lgkmcnt(0)
	s_barrier
	buffer_gl0_inv
	s_and_saveexec_b32 s14, s6
	s_cbranch_execz .LBB182_1
; %bb.7:                                ;   in Loop: Header=BB182_2 Depth=1
	ds_load_u8 v9, v5
	s_waitcnt lgkmcnt(0)
	v_add_nc_u16 v9, v9, s12
	s_branch .LBB182_1
.LBB182_8:
	v_add_co_u32 v0, s0, s10, v1
	s_delay_alu instid0(VALU_DEP_1)
	v_add_co_ci_u32_e64 v1, null, s11, 0, s0
	v_or_b32_e32 v2, v6, v7
	global_store_b32 v[0:1], v2, off
	s_nop 0
	s_sendmsg sendmsg(MSG_DEALLOC_VGPRS)
	s_endpgm
	.section	.rodata,"a",@progbits
	.p2align	6, 0x0
	.amdhsa_kernel _Z6kernelI14exclusive_scanILN6hipcub18BlockScanAlgorithmE0EEhLj64ELj4ELj100EEvPKT0_PS4_S4_
		.amdhsa_group_segment_fixed_size 2
		.amdhsa_private_segment_fixed_size 0
		.amdhsa_kernarg_size 280
		.amdhsa_user_sgpr_count 15
		.amdhsa_user_sgpr_dispatch_ptr 0
		.amdhsa_user_sgpr_queue_ptr 0
		.amdhsa_user_sgpr_kernarg_segment_ptr 1
		.amdhsa_user_sgpr_dispatch_id 0
		.amdhsa_user_sgpr_private_segment_size 0
		.amdhsa_wavefront_size32 1
		.amdhsa_uses_dynamic_stack 0
		.amdhsa_enable_private_segment 0
		.amdhsa_system_sgpr_workgroup_id_x 1
		.amdhsa_system_sgpr_workgroup_id_y 0
		.amdhsa_system_sgpr_workgroup_id_z 0
		.amdhsa_system_sgpr_workgroup_info 0
		.amdhsa_system_vgpr_workitem_id 0
		.amdhsa_next_free_vgpr 11
		.amdhsa_next_free_sgpr 16
		.amdhsa_reserve_vcc 1
		.amdhsa_float_round_mode_32 0
		.amdhsa_float_round_mode_16_64 0
		.amdhsa_float_denorm_mode_32 3
		.amdhsa_float_denorm_mode_16_64 3
		.amdhsa_dx10_clamp 1
		.amdhsa_ieee_mode 1
		.amdhsa_fp16_overflow 0
		.amdhsa_workgroup_processor_mode 1
		.amdhsa_memory_ordered 1
		.amdhsa_forward_progress 0
		.amdhsa_shared_vgpr_count 0
		.amdhsa_exception_fp_ieee_invalid_op 0
		.amdhsa_exception_fp_denorm_src 0
		.amdhsa_exception_fp_ieee_div_zero 0
		.amdhsa_exception_fp_ieee_overflow 0
		.amdhsa_exception_fp_ieee_underflow 0
		.amdhsa_exception_fp_ieee_inexact 0
		.amdhsa_exception_int_div_zero 0
	.end_amdhsa_kernel
	.section	.text._Z6kernelI14exclusive_scanILN6hipcub18BlockScanAlgorithmE0EEhLj64ELj4ELj100EEvPKT0_PS4_S4_,"axG",@progbits,_Z6kernelI14exclusive_scanILN6hipcub18BlockScanAlgorithmE0EEhLj64ELj4ELj100EEvPKT0_PS4_S4_,comdat
.Lfunc_end182:
	.size	_Z6kernelI14exclusive_scanILN6hipcub18BlockScanAlgorithmE0EEhLj64ELj4ELj100EEvPKT0_PS4_S4_, .Lfunc_end182-_Z6kernelI14exclusive_scanILN6hipcub18BlockScanAlgorithmE0EEhLj64ELj4ELj100EEvPKT0_PS4_S4_
                                        ; -- End function
	.section	.AMDGPU.csdata,"",@progbits
; Kernel info:
; codeLenInByte = 828
; NumSgprs: 18
; NumVgprs: 11
; ScratchSize: 0
; MemoryBound: 0
; FloatMode: 240
; IeeeMode: 1
; LDSByteSize: 2 bytes/workgroup (compile time only)
; SGPRBlocks: 2
; VGPRBlocks: 1
; NumSGPRsForWavesPerEU: 18
; NumVGPRsForWavesPerEU: 11
; Occupancy: 16
; WaveLimiterHint : 0
; COMPUTE_PGM_RSRC2:SCRATCH_EN: 0
; COMPUTE_PGM_RSRC2:USER_SGPR: 15
; COMPUTE_PGM_RSRC2:TRAP_HANDLER: 0
; COMPUTE_PGM_RSRC2:TGID_X_EN: 1
; COMPUTE_PGM_RSRC2:TGID_Y_EN: 0
; COMPUTE_PGM_RSRC2:TGID_Z_EN: 0
; COMPUTE_PGM_RSRC2:TIDIG_COMP_CNT: 0
	.section	.text._Z6kernelI14exclusive_scanILN6hipcub18BlockScanAlgorithmE0EEhLj64ELj8ELj100EEvPKT0_PS4_S4_,"axG",@progbits,_Z6kernelI14exclusive_scanILN6hipcub18BlockScanAlgorithmE0EEhLj64ELj8ELj100EEvPKT0_PS4_S4_,comdat
	.protected	_Z6kernelI14exclusive_scanILN6hipcub18BlockScanAlgorithmE0EEhLj64ELj8ELj100EEvPKT0_PS4_S4_ ; -- Begin function _Z6kernelI14exclusive_scanILN6hipcub18BlockScanAlgorithmE0EEhLj64ELj8ELj100EEvPKT0_PS4_S4_
	.globl	_Z6kernelI14exclusive_scanILN6hipcub18BlockScanAlgorithmE0EEhLj64ELj8ELj100EEvPKT0_PS4_S4_
	.p2align	8
	.type	_Z6kernelI14exclusive_scanILN6hipcub18BlockScanAlgorithmE0EEhLj64ELj8ELj100EEvPKT0_PS4_S4_,@function
_Z6kernelI14exclusive_scanILN6hipcub18BlockScanAlgorithmE0EEhLj64ELj8ELj100EEvPKT0_PS4_S4_: ; @_Z6kernelI14exclusive_scanILN6hipcub18BlockScanAlgorithmE0EEhLj64ELj8ELj100EEvPKT0_PS4_S4_
; %bb.0:
	s_clause 0x1
	s_load_b32 s2, s[0:1], 0x24
	s_load_b128 s[8:11], s[0:1], 0x0
	v_mbcnt_lo_u32_b32 v6, -1, 0
	s_load_b32 s12, s[0:1], 0x10
	v_or_b32_e32 v8, 31, v0
	v_cmp_gt_u32_e64 s5, 2, v0
	v_cmp_lt_u32_e64 s6, 31, v0
	v_add_nc_u32_e32 v7, -1, v6
	v_and_b32_e32 v4, 15, v6
	v_and_b32_e32 v5, 16, v6
	v_cmp_eq_u32_e64 s7, 0, v6
	s_movk_i32 s13, 0x64
	v_cmp_gt_i32_e64 s4, 0, v7
	v_cmp_eq_u32_e32 vcc_lo, 0, v4
	v_cmp_lt_u32_e64 s0, 1, v4
	v_cmp_lt_u32_e64 s1, 3, v4
	v_cmp_eq_u32_e64 s3, 0, v5
	v_cndmask_b32_e64 v5, v7, v6, s4
	v_and_b32_e32 v7, 1, v6
	v_cmp_eq_u32_e64 s4, v8, v0
	s_waitcnt lgkmcnt(0)
	s_and_b32 s2, s2, 0xffff
	v_lshlrev_b32_e32 v5, 2, v5
	s_mul_i32 s15, s15, s2
	v_cmp_lt_u32_e64 s2, 7, v4
	v_add_lshl_u32 v3, s15, v0, 3
	v_lshrrev_b32_e32 v4, 5, v0
	global_load_b64 v[1:2], v3, s[8:9]
	v_cmp_eq_u32_e64 s8, 0, v0
	v_cmp_eq_u32_e64 s9, 0, v7
	v_add_nc_u32_e32 v6, -1, v4
	s_branch .LBB183_2
.LBB183_1:                              ;   in Loop: Header=BB183_2 Depth=1
	s_or_b32 exec_lo, exec_lo, s14
	s_delay_alu instid0(VALU_DEP_1) | instskip(SKIP_1) | instid1(SALU_CYCLE_1)
	v_add_nc_u16 v12, v13, v12
	s_add_i32 s13, s13, -1
	s_cmp_lg_u32 s13, 0
	s_delay_alu instid0(VALU_DEP_1) | instskip(SKIP_3) | instid1(VALU_DEP_1)
	v_and_b32_e32 v12, 0xff, v12
	ds_bpermute_b32 v12, v5, v12
	s_waitcnt lgkmcnt(0)
	v_cndmask_b32_e64 v12, v12, v13, s7
	v_cndmask_b32_e64 v12, v12, s12, s8
	s_delay_alu instid0(VALU_DEP_1) | instskip(SKIP_1) | instid1(VALU_DEP_2)
	v_add_nc_u16 v1, v12, v1
	v_and_b32_e32 v12, 0xff, v12
	v_add_nc_u16 v8, v1, v8
	v_lshlrev_b16 v1, 8, v1
	s_delay_alu instid0(VALU_DEP_2) | instskip(SKIP_1) | instid1(VALU_DEP_3)
	v_add_nc_u16 v9, v8, v9
	v_and_b32_e32 v8, 0xff, v8
	v_or_b32_e32 v1, v12, v1
	s_delay_alu instid0(VALU_DEP_3) | instskip(SKIP_1) | instid1(VALU_DEP_2)
	v_add_nc_u16 v10, v9, v10
	v_lshlrev_b16 v9, 8, v9
	v_add_nc_u16 v2, v10, v2
	v_and_b32_e32 v10, 0xff, v10
	s_delay_alu instid0(VALU_DEP_3) | instskip(NEXT) | instid1(VALU_DEP_3)
	v_or_b32_e32 v8, v8, v9
	v_add_nc_u16 v11, v2, v11
	v_lshlrev_b16 v2, 8, v2
	s_delay_alu instid0(VALU_DEP_3) | instskip(NEXT) | instid1(VALU_DEP_3)
	v_lshlrev_b32_e32 v8, 16, v8
	v_add_nc_u16 v7, v11, v7
	v_and_b32_e32 v11, 0xff, v11
	s_delay_alu instid0(VALU_DEP_4) | instskip(NEXT) | instid1(VALU_DEP_3)
	v_or_b32_e32 v2, v10, v2
	v_lshlrev_b16 v7, 8, v7
	s_delay_alu instid0(VALU_DEP_2) | instskip(NEXT) | instid1(VALU_DEP_2)
	v_and_b32_e32 v9, 0xffff, v2
	v_or_b32_e32 v10, v11, v7
	v_and_b32_e32 v7, 0xffff, v1
	s_delay_alu instid0(VALU_DEP_2) | instskip(NEXT) | instid1(VALU_DEP_2)
	v_lshlrev_b32_e32 v10, 16, v10
	v_or_b32_e32 v1, v7, v8
	s_delay_alu instid0(VALU_DEP_2)
	v_or_b32_e32 v2, v9, v10
	s_cbranch_scc0 .LBB183_8
.LBB183_2:                              ; =>This Inner Loop Header: Depth=1
	s_waitcnt vmcnt(0)
	s_delay_alu instid0(VALU_DEP_2)
	v_lshrrev_b32_e32 v8, 8, v1
	v_lshrrev_b32_e32 v9, 16, v1
	;; [unrolled: 1-line block ×5, first 2 shown]
	v_add_nc_u16 v7, v8, v1
	s_delay_alu instid0(VALU_DEP_1) | instskip(NEXT) | instid1(VALU_DEP_1)
	v_add_nc_u16 v7, v7, v9
	v_add_nc_u16 v7, v7, v10
	s_delay_alu instid0(VALU_DEP_1) | instskip(SKIP_1) | instid1(VALU_DEP_2)
	v_add_nc_u16 v12, v7, v2
	v_lshrrev_b32_e32 v7, 16, v2
	v_add_nc_u16 v12, v12, v11
	s_delay_alu instid0(VALU_DEP_1) | instskip(NEXT) | instid1(VALU_DEP_1)
	v_add_nc_u16 v12, v12, v7
	v_add_nc_u16 v12, v12, v13
	s_delay_alu instid0(VALU_DEP_1) | instskip(NEXT) | instid1(VALU_DEP_1)
	v_and_b32_e32 v13, 0xff, v12
	v_mov_b32_dpp v13, v13 row_shr:1 row_mask:0xf bank_mask:0xf
	s_delay_alu instid0(VALU_DEP_1) | instskip(NEXT) | instid1(VALU_DEP_1)
	v_cndmask_b32_e64 v13, v13, 0, vcc_lo
	v_add_nc_u16 v12, v12, v13
	s_delay_alu instid0(VALU_DEP_1) | instskip(NEXT) | instid1(VALU_DEP_1)
	v_and_b32_e32 v13, 0xff, v12
	v_mov_b32_dpp v13, v13 row_shr:2 row_mask:0xf bank_mask:0xf
	s_delay_alu instid0(VALU_DEP_1) | instskip(NEXT) | instid1(VALU_DEP_1)
	v_cndmask_b32_e64 v13, 0, v13, s0
	v_add_nc_u16 v12, v12, v13
	s_delay_alu instid0(VALU_DEP_1) | instskip(NEXT) | instid1(VALU_DEP_1)
	v_and_b32_e32 v13, 0xff, v12
	v_mov_b32_dpp v13, v13 row_shr:4 row_mask:0xf bank_mask:0xf
	s_delay_alu instid0(VALU_DEP_1) | instskip(NEXT) | instid1(VALU_DEP_1)
	v_cndmask_b32_e64 v13, 0, v13, s1
	;; [unrolled: 6-line block ×3, first 2 shown]
	v_add_nc_u16 v12, v12, v13
	s_delay_alu instid0(VALU_DEP_1) | instskip(SKIP_3) | instid1(VALU_DEP_1)
	v_and_b32_e32 v13, 0xff, v12
	ds_swizzle_b32 v13, v13 offset:swizzle(BROADCAST,32,15)
	s_waitcnt lgkmcnt(0)
	v_cndmask_b32_e64 v13, v13, 0, s3
	v_add_nc_u16 v12, v12, v13
	s_and_saveexec_b32 s14, s4
	s_cbranch_execz .LBB183_4
; %bb.3:                                ;   in Loop: Header=BB183_2 Depth=1
	ds_store_b8 v4, v12
.LBB183_4:                              ;   in Loop: Header=BB183_2 Depth=1
	s_or_b32 exec_lo, exec_lo, s14
	s_waitcnt lgkmcnt(0)
	s_barrier
	buffer_gl0_inv
	s_and_saveexec_b32 s14, s5
	s_cbranch_execz .LBB183_6
; %bb.5:                                ;   in Loop: Header=BB183_2 Depth=1
	ds_load_u8 v13, v0
	s_waitcnt lgkmcnt(0)
	v_and_b32_e32 v14, 0xff, v13
	s_delay_alu instid0(VALU_DEP_1) | instskip(NEXT) | instid1(VALU_DEP_1)
	v_mov_b32_dpp v14, v14 row_shr:1 row_mask:0xf bank_mask:0xf
	v_cndmask_b32_e64 v14, v14, 0, s9
	s_delay_alu instid0(VALU_DEP_1)
	v_add_nc_u16 v13, v14, v13
	ds_store_b8 v0, v13
.LBB183_6:                              ;   in Loop: Header=BB183_2 Depth=1
	s_or_b32 exec_lo, exec_lo, s14
	v_mov_b32_e32 v13, s12
	s_waitcnt lgkmcnt(0)
	s_barrier
	buffer_gl0_inv
	s_and_saveexec_b32 s14, s6
	s_cbranch_execz .LBB183_1
; %bb.7:                                ;   in Loop: Header=BB183_2 Depth=1
	ds_load_u8 v13, v6
	s_waitcnt lgkmcnt(0)
	v_add_nc_u16 v13, v13, s12
	s_branch .LBB183_1
.LBB183_8:
	v_add_co_u32 v0, s0, s10, v3
	s_delay_alu instid0(VALU_DEP_1)
	v_add_co_ci_u32_e64 v1, null, s11, 0, s0
	v_or_b32_e32 v3, v9, v10
	v_or_b32_e32 v2, v7, v8
	global_store_b64 v[0:1], v[2:3], off
	s_nop 0
	s_sendmsg sendmsg(MSG_DEALLOC_VGPRS)
	s_endpgm
	.section	.rodata,"a",@progbits
	.p2align	6, 0x0
	.amdhsa_kernel _Z6kernelI14exclusive_scanILN6hipcub18BlockScanAlgorithmE0EEhLj64ELj8ELj100EEvPKT0_PS4_S4_
		.amdhsa_group_segment_fixed_size 2
		.amdhsa_private_segment_fixed_size 0
		.amdhsa_kernarg_size 280
		.amdhsa_user_sgpr_count 15
		.amdhsa_user_sgpr_dispatch_ptr 0
		.amdhsa_user_sgpr_queue_ptr 0
		.amdhsa_user_sgpr_kernarg_segment_ptr 1
		.amdhsa_user_sgpr_dispatch_id 0
		.amdhsa_user_sgpr_private_segment_size 0
		.amdhsa_wavefront_size32 1
		.amdhsa_uses_dynamic_stack 0
		.amdhsa_enable_private_segment 0
		.amdhsa_system_sgpr_workgroup_id_x 1
		.amdhsa_system_sgpr_workgroup_id_y 0
		.amdhsa_system_sgpr_workgroup_id_z 0
		.amdhsa_system_sgpr_workgroup_info 0
		.amdhsa_system_vgpr_workitem_id 0
		.amdhsa_next_free_vgpr 15
		.amdhsa_next_free_sgpr 16
		.amdhsa_reserve_vcc 1
		.amdhsa_float_round_mode_32 0
		.amdhsa_float_round_mode_16_64 0
		.amdhsa_float_denorm_mode_32 3
		.amdhsa_float_denorm_mode_16_64 3
		.amdhsa_dx10_clamp 1
		.amdhsa_ieee_mode 1
		.amdhsa_fp16_overflow 0
		.amdhsa_workgroup_processor_mode 1
		.amdhsa_memory_ordered 1
		.amdhsa_forward_progress 0
		.amdhsa_shared_vgpr_count 0
		.amdhsa_exception_fp_ieee_invalid_op 0
		.amdhsa_exception_fp_denorm_src 0
		.amdhsa_exception_fp_ieee_div_zero 0
		.amdhsa_exception_fp_ieee_overflow 0
		.amdhsa_exception_fp_ieee_underflow 0
		.amdhsa_exception_fp_ieee_inexact 0
		.amdhsa_exception_int_div_zero 0
	.end_amdhsa_kernel
	.section	.text._Z6kernelI14exclusive_scanILN6hipcub18BlockScanAlgorithmE0EEhLj64ELj8ELj100EEvPKT0_PS4_S4_,"axG",@progbits,_Z6kernelI14exclusive_scanILN6hipcub18BlockScanAlgorithmE0EEhLj64ELj8ELj100EEvPKT0_PS4_S4_,comdat
.Lfunc_end183:
	.size	_Z6kernelI14exclusive_scanILN6hipcub18BlockScanAlgorithmE0EEhLj64ELj8ELj100EEvPKT0_PS4_S4_, .Lfunc_end183-_Z6kernelI14exclusive_scanILN6hipcub18BlockScanAlgorithmE0EEhLj64ELj8ELj100EEvPKT0_PS4_S4_
                                        ; -- End function
	.section	.AMDGPU.csdata,"",@progbits
; Kernel info:
; codeLenInByte = 988
; NumSgprs: 18
; NumVgprs: 15
; ScratchSize: 0
; MemoryBound: 0
; FloatMode: 240
; IeeeMode: 1
; LDSByteSize: 2 bytes/workgroup (compile time only)
; SGPRBlocks: 2
; VGPRBlocks: 1
; NumSGPRsForWavesPerEU: 18
; NumVGPRsForWavesPerEU: 15
; Occupancy: 16
; WaveLimiterHint : 0
; COMPUTE_PGM_RSRC2:SCRATCH_EN: 0
; COMPUTE_PGM_RSRC2:USER_SGPR: 15
; COMPUTE_PGM_RSRC2:TRAP_HANDLER: 0
; COMPUTE_PGM_RSRC2:TGID_X_EN: 1
; COMPUTE_PGM_RSRC2:TGID_Y_EN: 0
; COMPUTE_PGM_RSRC2:TGID_Z_EN: 0
; COMPUTE_PGM_RSRC2:TIDIG_COMP_CNT: 0
	.section	.text._Z6kernelI14exclusive_scanILN6hipcub18BlockScanAlgorithmE0EEhLj64ELj11ELj100EEvPKT0_PS4_S4_,"axG",@progbits,_Z6kernelI14exclusive_scanILN6hipcub18BlockScanAlgorithmE0EEhLj64ELj11ELj100EEvPKT0_PS4_S4_,comdat
	.protected	_Z6kernelI14exclusive_scanILN6hipcub18BlockScanAlgorithmE0EEhLj64ELj11ELj100EEvPKT0_PS4_S4_ ; -- Begin function _Z6kernelI14exclusive_scanILN6hipcub18BlockScanAlgorithmE0EEhLj64ELj11ELj100EEvPKT0_PS4_S4_
	.globl	_Z6kernelI14exclusive_scanILN6hipcub18BlockScanAlgorithmE0EEhLj64ELj11ELj100EEvPKT0_PS4_S4_
	.p2align	8
	.type	_Z6kernelI14exclusive_scanILN6hipcub18BlockScanAlgorithmE0EEhLj64ELj11ELj100EEvPKT0_PS4_S4_,@function
_Z6kernelI14exclusive_scanILN6hipcub18BlockScanAlgorithmE0EEhLj64ELj11ELj100EEvPKT0_PS4_S4_: ; @_Z6kernelI14exclusive_scanILN6hipcub18BlockScanAlgorithmE0EEhLj64ELj11ELj100EEvPKT0_PS4_S4_
; %bb.0:
	s_clause 0x2
	s_load_b32 s2, s[0:1], 0x24
	s_load_b32 s12, s[0:1], 0x10
	s_load_b128 s[8:11], s[0:1], 0x0
	v_mbcnt_lo_u32_b32 v24, -1, 0
	v_lshrrev_b32_e32 v13, 5, v0
	v_or_b32_e32 v27, 31, v0
	v_cmp_gt_u32_e32 vcc_lo, 2, v0
	v_cmp_lt_u32_e64 s0, 31, v0
	v_add_nc_u32_e32 v28, -1, v24
	v_and_b32_e32 v25, 15, v24
	v_and_b32_e32 v26, 16, v24
	;; [unrolled: 1-line block ×3, first 2 shown]
	v_cmp_eq_u32_e64 s1, 0, v24
	s_movk_i32 s13, 0x64
	v_cmp_eq_u32_e64 s3, 0, v25
	v_cmp_lt_u32_e64 s4, 1, v25
	v_cmp_lt_u32_e64 s5, 3, v25
	v_cmp_lt_u32_e64 s6, 7, v25
	v_cmp_eq_u32_e64 s7, 0, v26
	s_waitcnt lgkmcnt(0)
	s_and_b32 s2, s2, 0xffff
	s_delay_alu instid0(SALU_CYCLE_1) | instskip(SKIP_1) | instid1(VALU_DEP_2)
	v_mad_u64_u32 v[1:2], null, s15, s2, v[0:1]
	v_cmp_eq_u32_e64 s2, 0, v0
	v_mul_lo_u32 v11, v1, 11
	s_delay_alu instid0(VALU_DEP_1)
	v_add_nc_u32_e32 v10, 1, v11
	v_add_nc_u32_e32 v8, 3, v11
	;; [unrolled: 1-line block ×7, first 2 shown]
	s_clause 0x7
	global_load_u8 v16, v10, s[8:9]
	global_load_u8 v17, v8, s[8:9]
	;; [unrolled: 1-line block ×8, first 2 shown]
	v_add_nc_u32_e32 v5, 8, v11
	v_add_nc_u32_e32 v3, 9, v11
	;; [unrolled: 1-line block ×3, first 2 shown]
	s_clause 0x2
	global_load_u8 v14, v5, s[8:9]
	global_load_u8 v12, v3, s[8:9]
	;; [unrolled: 1-line block ×3, first 2 shown]
	v_cmp_gt_i32_e64 s9, 0, v28
	v_cmp_eq_u32_e64 s8, v27, v0
	s_waitcnt vmcnt(10)
	v_lshlrev_b16 v16, 8, v16
	s_waitcnt vmcnt(9)
	v_lshlrev_b16 v17, 8, v17
	;; [unrolled: 2-line block ×4, first 2 shown]
	s_waitcnt vmcnt(6)
	v_or_b32_e32 v16, v20, v16
	s_waitcnt vmcnt(5)
	v_or_b32_e32 v17, v21, v17
	;; [unrolled: 2-line block ×4, first 2 shown]
	v_cndmask_b32_e64 v20, v28, v24, s9
	v_and_b32_e32 v21, 0xffff, v16
	v_lshlrev_b32_e32 v22, 16, v17
	v_and_b32_e32 v18, 0xffff, v18
	v_lshlrev_b32_e32 v23, 16, v19
	v_cmp_eq_u32_e64 s9, 0, v29
	v_add_nc_u32_e32 v16, -1, v13
	v_lshlrev_b32_e32 v17, 2, v20
	v_or_b32_e32 v19, v21, v22
	v_or_b32_e32 v18, v18, v23
.LBB184_1:                              ; =>This Inner Loop Header: Depth=1
	s_delay_alu instid0(VALU_DEP_2) | instskip(SKIP_2) | instid1(VALU_DEP_4)
	v_lshrrev_b32_e32 v23, 8, v19
	v_lshrrev_b32_e32 v24, 16, v19
	v_lshrrev_b32_e32 v25, 24, v19
	v_lshrrev_b32_e32 v27, 8, v18
	v_lshrrev_b32_e32 v28, 16, v18
	v_add_nc_u16 v20, v23, v19
	s_delay_alu instid0(VALU_DEP_1) | instskip(NEXT) | instid1(VALU_DEP_1)
	v_add_nc_u16 v20, v20, v24
	v_add_nc_u16 v20, v20, v25
	s_delay_alu instid0(VALU_DEP_1) | instskip(NEXT) | instid1(VALU_DEP_1)
	v_add_nc_u16 v20, v20, v18
	v_add_nc_u16 v20, v20, v27
	s_delay_alu instid0(VALU_DEP_1) | instskip(SKIP_1) | instid1(VALU_DEP_1)
	v_add_nc_u16 v21, v20, v28
	v_lshrrev_b32_e32 v20, 24, v18
	v_add_nc_u16 v21, v21, v20
	s_waitcnt vmcnt(2)
	s_delay_alu instid0(VALU_DEP_1) | instskip(SKIP_1) | instid1(VALU_DEP_1)
	v_add_nc_u16 v21, v21, v14
	s_waitcnt vmcnt(1)
	v_add_nc_u16 v21, v21, v12
	s_waitcnt vmcnt(0)
	s_delay_alu instid0(VALU_DEP_1) | instskip(NEXT) | instid1(VALU_DEP_1)
	v_add_nc_u16 v15, v21, v15
	v_and_b32_e32 v21, 0xff, v15
	s_delay_alu instid0(VALU_DEP_1) | instskip(NEXT) | instid1(VALU_DEP_1)
	v_mov_b32_dpp v21, v21 row_shr:1 row_mask:0xf bank_mask:0xf
	v_cndmask_b32_e64 v21, v21, 0, s3
	s_delay_alu instid0(VALU_DEP_1) | instskip(NEXT) | instid1(VALU_DEP_1)
	v_add_nc_u16 v15, v15, v21
	v_and_b32_e32 v21, 0xff, v15
	s_delay_alu instid0(VALU_DEP_1) | instskip(NEXT) | instid1(VALU_DEP_1)
	v_mov_b32_dpp v21, v21 row_shr:2 row_mask:0xf bank_mask:0xf
	v_cndmask_b32_e64 v21, 0, v21, s4
	;; [unrolled: 6-line block ×4, first 2 shown]
	s_delay_alu instid0(VALU_DEP_1) | instskip(NEXT) | instid1(VALU_DEP_1)
	v_add_nc_u16 v15, v15, v21
	v_and_b32_e32 v21, 0xff, v15
	ds_swizzle_b32 v21, v21 offset:swizzle(BROADCAST,32,15)
	s_waitcnt lgkmcnt(0)
	v_cndmask_b32_e64 v21, v21, 0, s7
	s_delay_alu instid0(VALU_DEP_1)
	v_add_nc_u16 v15, v15, v21
	s_and_saveexec_b32 s14, s8
	s_cbranch_execz .LBB184_3
; %bb.2:                                ;   in Loop: Header=BB184_1 Depth=1
	ds_store_b8 v13, v15
.LBB184_3:                              ;   in Loop: Header=BB184_1 Depth=1
	s_or_b32 exec_lo, exec_lo, s14
	s_waitcnt lgkmcnt(0)
	s_barrier
	buffer_gl0_inv
	s_and_saveexec_b32 s14, vcc_lo
	s_cbranch_execz .LBB184_5
; %bb.4:                                ;   in Loop: Header=BB184_1 Depth=1
	ds_load_u8 v21, v0
	s_waitcnt lgkmcnt(0)
	v_and_b32_e32 v22, 0xff, v21
	s_delay_alu instid0(VALU_DEP_1) | instskip(NEXT) | instid1(VALU_DEP_1)
	v_mov_b32_dpp v22, v22 row_shr:1 row_mask:0xf bank_mask:0xf
	v_cndmask_b32_e64 v22, v22, 0, s9
	s_delay_alu instid0(VALU_DEP_1)
	v_add_nc_u16 v21, v22, v21
	ds_store_b8 v0, v21
.LBB184_5:                              ;   in Loop: Header=BB184_1 Depth=1
	s_or_b32 exec_lo, exec_lo, s14
	v_mov_b32_e32 v21, s12
	s_waitcnt lgkmcnt(0)
	s_barrier
	buffer_gl0_inv
	s_and_saveexec_b32 s14, s0
	s_cbranch_execz .LBB184_7
; %bb.6:                                ;   in Loop: Header=BB184_1 Depth=1
	ds_load_u8 v21, v16
	s_waitcnt lgkmcnt(0)
	v_add_nc_u16 v21, v21, s12
.LBB184_7:                              ;   in Loop: Header=BB184_1 Depth=1
	s_or_b32 exec_lo, exec_lo, s14
	s_delay_alu instid0(VALU_DEP_1) | instskip(SKIP_1) | instid1(SALU_CYCLE_1)
	v_add_nc_u16 v15, v21, v15
	s_add_i32 s13, s13, -1
	s_cmp_lg_u32 s13, 0
	s_delay_alu instid0(VALU_DEP_1) | instskip(SKIP_3) | instid1(VALU_DEP_1)
	v_and_b32_e32 v15, 0xff, v15
	ds_bpermute_b32 v15, v17, v15
	s_waitcnt lgkmcnt(0)
	v_cndmask_b32_e64 v15, v15, v21, s1
	v_cndmask_b32_e64 v21, v15, s12, s2
	s_delay_alu instid0(VALU_DEP_1) | instskip(SKIP_1) | instid1(VALU_DEP_2)
	v_add_nc_u16 v22, v21, v19
	v_and_b32_e32 v15, 0xff, v21
	v_add_nc_u16 v23, v22, v23
	s_delay_alu instid0(VALU_DEP_1) | instskip(SKIP_1) | instid1(VALU_DEP_2)
	v_add_nc_u16 v24, v23, v24
	v_and_b32_e32 v19, 0xff, v23
	v_add_nc_u16 v25, v24, v25
	v_lshlrev_b16 v29, 8, v24
	s_delay_alu instid0(VALU_DEP_2) | instskip(SKIP_2) | instid1(VALU_DEP_3)
	v_add_nc_u16 v26, v25, v18
	v_lshlrev_b16 v18, 8, v22
	v_and_b32_e32 v30, 0xff, v25
	v_add_nc_u16 v27, v26, v27
	v_lshlrev_b16 v31, 8, v26
	s_delay_alu instid0(VALU_DEP_4) | instskip(SKIP_1) | instid1(VALU_DEP_4)
	v_or_b32_e32 v15, v15, v18
	v_or_b32_e32 v18, v19, v29
	v_add_nc_u16 v28, v27, v28
	v_and_b32_e32 v32, 0xff, v27
	v_or_b32_e32 v19, v30, v31
	v_and_b32_e32 v15, 0xffff, v15
	v_lshlrev_b32_e32 v18, 16, v18
	v_lshlrev_b16 v33, 8, v28
	v_add_nc_u16 v20, v28, v20
	v_and_b32_e32 v31, 0xffff, v19
	s_delay_alu instid0(VALU_DEP_4) | instskip(NEXT) | instid1(VALU_DEP_4)
	v_or_b32_e32 v19, v15, v18
	v_or_b32_e32 v30, v32, v33
	s_delay_alu instid0(VALU_DEP_4) | instskip(NEXT) | instid1(VALU_DEP_2)
	v_add_nc_u16 v29, v20, v14
	v_lshlrev_b32_e32 v14, 16, v30
	s_delay_alu instid0(VALU_DEP_2) | instskip(NEXT) | instid1(VALU_DEP_2)
	v_add_nc_u16 v15, v29, v12
	v_or_b32_e32 v18, v31, v14
	s_cbranch_scc0 .LBB184_9
; %bb.8:                                ;   in Loop: Header=BB184_1 Depth=1
	v_mov_b32_e32 v14, v20
	v_mov_b32_e32 v12, v29
	s_branch .LBB184_1
.LBB184_9:
	v_add_co_u32 v11, s0, s10, v11
	s_delay_alu instid0(VALU_DEP_1) | instskip(SKIP_1) | instid1(VALU_DEP_1)
	v_add_co_ci_u32_e64 v12, null, s11, 0, s0
	v_add_co_u32 v13, s0, s10, v10
	v_add_co_ci_u32_e64 v14, null, s11, 0, s0
	v_add_co_u32 v9, s0, s10, v9
	s_delay_alu instid0(VALU_DEP_1) | instskip(SKIP_1) | instid1(VALU_DEP_1)
	v_add_co_ci_u32_e64 v10, null, s11, 0, s0
	v_add_co_u32 v16, s0, s10, v8
	v_add_co_ci_u32_e64 v17, null, s11, 0, s0
	;; [unrolled: 5-line block ×5, first 2 shown]
	v_add_co_u32 v2, s0, s10, v2
	s_delay_alu instid0(VALU_DEP_1)
	v_add_co_ci_u32_e64 v3, null, s11, 0, s0
	s_clause 0xa
	global_store_b8 v[11:12], v21, off
	global_store_b8 v[13:14], v22, off
	;; [unrolled: 1-line block ×11, first 2 shown]
	s_nop 0
	s_sendmsg sendmsg(MSG_DEALLOC_VGPRS)
	s_endpgm
	.section	.rodata,"a",@progbits
	.p2align	6, 0x0
	.amdhsa_kernel _Z6kernelI14exclusive_scanILN6hipcub18BlockScanAlgorithmE0EEhLj64ELj11ELj100EEvPKT0_PS4_S4_
		.amdhsa_group_segment_fixed_size 2
		.amdhsa_private_segment_fixed_size 0
		.amdhsa_kernarg_size 280
		.amdhsa_user_sgpr_count 15
		.amdhsa_user_sgpr_dispatch_ptr 0
		.amdhsa_user_sgpr_queue_ptr 0
		.amdhsa_user_sgpr_kernarg_segment_ptr 1
		.amdhsa_user_sgpr_dispatch_id 0
		.amdhsa_user_sgpr_private_segment_size 0
		.amdhsa_wavefront_size32 1
		.amdhsa_uses_dynamic_stack 0
		.amdhsa_enable_private_segment 0
		.amdhsa_system_sgpr_workgroup_id_x 1
		.amdhsa_system_sgpr_workgroup_id_y 0
		.amdhsa_system_sgpr_workgroup_id_z 0
		.amdhsa_system_sgpr_workgroup_info 0
		.amdhsa_system_vgpr_workitem_id 0
		.amdhsa_next_free_vgpr 34
		.amdhsa_next_free_sgpr 16
		.amdhsa_reserve_vcc 1
		.amdhsa_float_round_mode_32 0
		.amdhsa_float_round_mode_16_64 0
		.amdhsa_float_denorm_mode_32 3
		.amdhsa_float_denorm_mode_16_64 3
		.amdhsa_dx10_clamp 1
		.amdhsa_ieee_mode 1
		.amdhsa_fp16_overflow 0
		.amdhsa_workgroup_processor_mode 1
		.amdhsa_memory_ordered 1
		.amdhsa_forward_progress 0
		.amdhsa_shared_vgpr_count 0
		.amdhsa_exception_fp_ieee_invalid_op 0
		.amdhsa_exception_fp_denorm_src 0
		.amdhsa_exception_fp_ieee_div_zero 0
		.amdhsa_exception_fp_ieee_overflow 0
		.amdhsa_exception_fp_ieee_underflow 0
		.amdhsa_exception_fp_ieee_inexact 0
		.amdhsa_exception_int_div_zero 0
	.end_amdhsa_kernel
	.section	.text._Z6kernelI14exclusive_scanILN6hipcub18BlockScanAlgorithmE0EEhLj64ELj11ELj100EEvPKT0_PS4_S4_,"axG",@progbits,_Z6kernelI14exclusive_scanILN6hipcub18BlockScanAlgorithmE0EEhLj64ELj11ELj100EEvPKT0_PS4_S4_,comdat
.Lfunc_end184:
	.size	_Z6kernelI14exclusive_scanILN6hipcub18BlockScanAlgorithmE0EEhLj64ELj11ELj100EEvPKT0_PS4_S4_, .Lfunc_end184-_Z6kernelI14exclusive_scanILN6hipcub18BlockScanAlgorithmE0EEhLj64ELj11ELj100EEvPKT0_PS4_S4_
                                        ; -- End function
	.section	.AMDGPU.csdata,"",@progbits
; Kernel info:
; codeLenInByte = 1556
; NumSgprs: 18
; NumVgprs: 34
; ScratchSize: 0
; MemoryBound: 0
; FloatMode: 240
; IeeeMode: 1
; LDSByteSize: 2 bytes/workgroup (compile time only)
; SGPRBlocks: 2
; VGPRBlocks: 4
; NumSGPRsForWavesPerEU: 18
; NumVGPRsForWavesPerEU: 34
; Occupancy: 16
; WaveLimiterHint : 0
; COMPUTE_PGM_RSRC2:SCRATCH_EN: 0
; COMPUTE_PGM_RSRC2:USER_SGPR: 15
; COMPUTE_PGM_RSRC2:TRAP_HANDLER: 0
; COMPUTE_PGM_RSRC2:TGID_X_EN: 1
; COMPUTE_PGM_RSRC2:TGID_Y_EN: 0
; COMPUTE_PGM_RSRC2:TGID_Z_EN: 0
; COMPUTE_PGM_RSRC2:TIDIG_COMP_CNT: 0
	.section	.text._Z6kernelI14exclusive_scanILN6hipcub18BlockScanAlgorithmE0EEhLj64ELj16ELj100EEvPKT0_PS4_S4_,"axG",@progbits,_Z6kernelI14exclusive_scanILN6hipcub18BlockScanAlgorithmE0EEhLj64ELj16ELj100EEvPKT0_PS4_S4_,comdat
	.protected	_Z6kernelI14exclusive_scanILN6hipcub18BlockScanAlgorithmE0EEhLj64ELj16ELj100EEvPKT0_PS4_S4_ ; -- Begin function _Z6kernelI14exclusive_scanILN6hipcub18BlockScanAlgorithmE0EEhLj64ELj16ELj100EEvPKT0_PS4_S4_
	.globl	_Z6kernelI14exclusive_scanILN6hipcub18BlockScanAlgorithmE0EEhLj64ELj16ELj100EEvPKT0_PS4_S4_
	.p2align	8
	.type	_Z6kernelI14exclusive_scanILN6hipcub18BlockScanAlgorithmE0EEhLj64ELj16ELj100EEvPKT0_PS4_S4_,@function
_Z6kernelI14exclusive_scanILN6hipcub18BlockScanAlgorithmE0EEhLj64ELj16ELj100EEvPKT0_PS4_S4_: ; @_Z6kernelI14exclusive_scanILN6hipcub18BlockScanAlgorithmE0EEhLj64ELj16ELj100EEvPKT0_PS4_S4_
; %bb.0:
	s_clause 0x1
	s_load_b32 s2, s[0:1], 0x24
	s_load_b128 s[8:11], s[0:1], 0x0
	v_mbcnt_lo_u32_b32 v8, -1, 0
	s_load_b32 s12, s[0:1], 0x10
	v_or_b32_e32 v10, 31, v0
	v_cmp_gt_u32_e64 s5, 2, v0
	v_cmp_lt_u32_e64 s6, 31, v0
	v_add_nc_u32_e32 v9, -1, v8
	v_and_b32_e32 v6, 15, v8
	v_and_b32_e32 v7, 16, v8
	v_cmp_eq_u32_e64 s7, 0, v8
	s_movk_i32 s13, 0x64
	v_cmp_gt_i32_e64 s4, 0, v9
	v_cmp_eq_u32_e32 vcc_lo, 0, v6
	v_cmp_lt_u32_e64 s0, 1, v6
	v_cmp_lt_u32_e64 s1, 3, v6
	v_cmp_eq_u32_e64 s3, 0, v7
	v_cndmask_b32_e64 v7, v9, v8, s4
	v_and_b32_e32 v9, 1, v8
	v_cmp_eq_u32_e64 s4, v10, v0
	s_waitcnt lgkmcnt(0)
	s_and_b32 s2, s2, 0xffff
	v_lshlrev_b32_e32 v7, 2, v7
	s_mul_i32 s15, s15, s2
	v_cmp_lt_u32_e64 s2, 7, v6
	v_add_lshl_u32 v5, s15, v0, 4
	v_lshrrev_b32_e32 v6, 5, v0
	global_load_b128 v[1:4], v5, s[8:9]
	v_cmp_eq_u32_e64 s8, 0, v0
	v_cmp_eq_u32_e64 s9, 0, v9
	v_add_nc_u32_e32 v8, -1, v6
	s_branch .LBB185_2
.LBB185_1:                              ;   in Loop: Header=BB185_2 Depth=1
	s_or_b32 exec_lo, exec_lo, s14
	s_delay_alu instid0(VALU_DEP_1) | instskip(SKIP_1) | instid1(SALU_CYCLE_1)
	v_add_nc_u16 v20, v21, v20
	s_add_i32 s13, s13, -1
	s_cmp_lg_u32 s13, 0
	s_delay_alu instid0(VALU_DEP_1) | instskip(SKIP_3) | instid1(VALU_DEP_1)
	v_and_b32_e32 v20, 0xff, v20
	ds_bpermute_b32 v20, v7, v20
	s_waitcnt lgkmcnt(0)
	v_cndmask_b32_e64 v20, v20, v21, s7
	v_cndmask_b32_e64 v20, v20, s12, s8
	s_delay_alu instid0(VALU_DEP_1) | instskip(SKIP_1) | instid1(VALU_DEP_2)
	v_add_nc_u16 v1, v20, v1
	v_and_b32_e32 v20, 0xff, v20
	v_add_nc_u16 v12, v1, v12
	v_lshlrev_b16 v1, 8, v1
	s_delay_alu instid0(VALU_DEP_2) | instskip(SKIP_1) | instid1(VALU_DEP_3)
	v_add_nc_u16 v13, v12, v13
	v_and_b32_e32 v12, 0xff, v12
	v_or_b32_e32 v1, v20, v1
	s_delay_alu instid0(VALU_DEP_3) | instskip(SKIP_1) | instid1(VALU_DEP_2)
	v_add_nc_u16 v14, v13, v14
	v_lshlrev_b16 v13, 8, v13
	v_add_nc_u16 v2, v14, v2
	v_and_b32_e32 v14, 0xff, v14
	s_delay_alu instid0(VALU_DEP_3) | instskip(NEXT) | instid1(VALU_DEP_3)
	v_or_b32_e32 v12, v12, v13
	v_add_nc_u16 v15, v2, v15
	v_lshlrev_b16 v2, 8, v2
	s_delay_alu instid0(VALU_DEP_3) | instskip(NEXT) | instid1(VALU_DEP_3)
	v_lshlrev_b32_e32 v12, 16, v12
	v_add_nc_u16 v17, v15, v17
	s_delay_alu instid0(VALU_DEP_3) | instskip(NEXT) | instid1(VALU_DEP_2)
	v_or_b32_e32 v2, v14, v2
	v_add_nc_u16 v18, v17, v18
	s_delay_alu instid0(VALU_DEP_2) | instskip(NEXT) | instid1(VALU_DEP_2)
	v_and_b32_e32 v13, 0xffff, v2
	v_add_nc_u16 v3, v18, v3
	v_and_b32_e32 v14, 0xff, v18
	s_delay_alu instid0(VALU_DEP_2) | instskip(SKIP_1) | instid1(VALU_DEP_2)
	v_add_nc_u16 v19, v3, v19
	v_lshlrev_b16 v3, 8, v3
	v_add_nc_u16 v16, v19, v16
	s_delay_alu instid0(VALU_DEP_2) | instskip(NEXT) | instid1(VALU_DEP_2)
	v_or_b32_e32 v3, v14, v3
	v_add_nc_u16 v21, v16, v11
	v_and_b32_e32 v11, 0xffff, v1
	v_and_b32_e32 v1, 0xff, v15
	;; [unrolled: 1-line block ×3, first 2 shown]
	v_lshlrev_b16 v16, 8, v16
	v_add_nc_u16 v4, v21, v4
	s_delay_alu instid0(VALU_DEP_2) | instskip(NEXT) | instid1(VALU_DEP_2)
	v_or_b32_e32 v14, v15, v16
	v_add_nc_u16 v2, v4, v10
	v_lshlrev_b16 v10, 8, v17
	v_and_b32_e32 v17, 0xff, v21
	v_lshlrev_b16 v4, 8, v4
	v_lshlrev_b32_e32 v14, 16, v14
	v_add_nc_u16 v9, v2, v9
	v_and_b32_e32 v2, 0xff, v2
	v_or_b32_e32 v1, v1, v10
	v_or_b32_e32 v4, v17, v4
	v_and_b32_e32 v10, 0xffff, v3
	v_lshlrev_b16 v9, 8, v9
	s_delay_alu instid0(VALU_DEP_3) | instskip(NEXT) | instid1(VALU_DEP_3)
	v_and_b32_e32 v15, 0xffff, v4
	v_or_b32_e32 v3, v10, v14
	s_delay_alu instid0(VALU_DEP_3) | instskip(SKIP_2) | instid1(VALU_DEP_3)
	v_or_b32_e32 v2, v2, v9
	v_lshlrev_b32_e32 v9, 16, v1
	v_or_b32_e32 v1, v11, v12
	v_lshlrev_b32_e32 v16, 16, v2
	s_delay_alu instid0(VALU_DEP_3) | instskip(NEXT) | instid1(VALU_DEP_2)
	v_or_b32_e32 v2, v13, v9
	v_or_b32_e32 v4, v15, v16
	s_cbranch_scc0 .LBB185_8
.LBB185_2:                              ; =>This Inner Loop Header: Depth=1
	s_waitcnt vmcnt(0)
	v_lshrrev_b32_e32 v12, 8, v1
	v_lshrrev_b32_e32 v13, 16, v1
	;; [unrolled: 1-line block ×5, first 2 shown]
	v_add_nc_u16 v9, v12, v1
	v_lshrrev_b32_e32 v18, 24, v2
	v_lshrrev_b32_e32 v19, 8, v3
	;; [unrolled: 1-line block ×4, first 2 shown]
	v_add_nc_u16 v9, v9, v13
	v_lshrrev_b32_e32 v10, 8, v4
	v_lshrrev_b32_e32 v21, 24, v4
	s_delay_alu instid0(VALU_DEP_3) | instskip(NEXT) | instid1(VALU_DEP_1)
	v_add_nc_u16 v9, v9, v14
	v_add_nc_u16 v9, v9, v2
	s_delay_alu instid0(VALU_DEP_1) | instskip(NEXT) | instid1(VALU_DEP_1)
	v_add_nc_u16 v9, v9, v15
	v_add_nc_u16 v9, v9, v17
	s_delay_alu instid0(VALU_DEP_1) | instskip(NEXT) | instid1(VALU_DEP_1)
	v_add_nc_u16 v9, v9, v18
	v_add_nc_u16 v9, v9, v3
	s_delay_alu instid0(VALU_DEP_1) | instskip(NEXT) | instid1(VALU_DEP_1)
	v_add_nc_u16 v9, v9, v19
	v_add_nc_u16 v9, v9, v16
	s_delay_alu instid0(VALU_DEP_1) | instskip(NEXT) | instid1(VALU_DEP_1)
	v_add_nc_u16 v9, v9, v11
	v_add_nc_u16 v20, v9, v4
	v_lshrrev_b32_e32 v9, 16, v4
	s_delay_alu instid0(VALU_DEP_2) | instskip(NEXT) | instid1(VALU_DEP_1)
	v_add_nc_u16 v20, v20, v10
	v_add_nc_u16 v20, v20, v9
	s_delay_alu instid0(VALU_DEP_1) | instskip(NEXT) | instid1(VALU_DEP_1)
	v_add_nc_u16 v20, v20, v21
	v_and_b32_e32 v21, 0xff, v20
	s_delay_alu instid0(VALU_DEP_1) | instskip(NEXT) | instid1(VALU_DEP_1)
	v_mov_b32_dpp v21, v21 row_shr:1 row_mask:0xf bank_mask:0xf
	v_cndmask_b32_e64 v21, v21, 0, vcc_lo
	s_delay_alu instid0(VALU_DEP_1) | instskip(NEXT) | instid1(VALU_DEP_1)
	v_add_nc_u16 v20, v20, v21
	v_and_b32_e32 v21, 0xff, v20
	s_delay_alu instid0(VALU_DEP_1) | instskip(NEXT) | instid1(VALU_DEP_1)
	v_mov_b32_dpp v21, v21 row_shr:2 row_mask:0xf bank_mask:0xf
	v_cndmask_b32_e64 v21, 0, v21, s0
	s_delay_alu instid0(VALU_DEP_1) | instskip(NEXT) | instid1(VALU_DEP_1)
	v_add_nc_u16 v20, v20, v21
	v_and_b32_e32 v21, 0xff, v20
	s_delay_alu instid0(VALU_DEP_1) | instskip(NEXT) | instid1(VALU_DEP_1)
	v_mov_b32_dpp v21, v21 row_shr:4 row_mask:0xf bank_mask:0xf
	v_cndmask_b32_e64 v21, 0, v21, s1
	;; [unrolled: 6-line block ×3, first 2 shown]
	s_delay_alu instid0(VALU_DEP_1) | instskip(NEXT) | instid1(VALU_DEP_1)
	v_add_nc_u16 v20, v20, v21
	v_and_b32_e32 v21, 0xff, v20
	ds_swizzle_b32 v21, v21 offset:swizzle(BROADCAST,32,15)
	s_waitcnt lgkmcnt(0)
	v_cndmask_b32_e64 v21, v21, 0, s3
	s_delay_alu instid0(VALU_DEP_1)
	v_add_nc_u16 v20, v20, v21
	s_and_saveexec_b32 s14, s4
	s_cbranch_execz .LBB185_4
; %bb.3:                                ;   in Loop: Header=BB185_2 Depth=1
	ds_store_b8 v6, v20
.LBB185_4:                              ;   in Loop: Header=BB185_2 Depth=1
	s_or_b32 exec_lo, exec_lo, s14
	s_waitcnt lgkmcnt(0)
	s_barrier
	buffer_gl0_inv
	s_and_saveexec_b32 s14, s5
	s_cbranch_execz .LBB185_6
; %bb.5:                                ;   in Loop: Header=BB185_2 Depth=1
	ds_load_u8 v21, v0
	s_waitcnt lgkmcnt(0)
	v_and_b32_e32 v22, 0xff, v21
	s_delay_alu instid0(VALU_DEP_1) | instskip(NEXT) | instid1(VALU_DEP_1)
	v_mov_b32_dpp v22, v22 row_shr:1 row_mask:0xf bank_mask:0xf
	v_cndmask_b32_e64 v22, v22, 0, s9
	s_delay_alu instid0(VALU_DEP_1)
	v_add_nc_u16 v21, v22, v21
	ds_store_b8 v0, v21
.LBB185_6:                              ;   in Loop: Header=BB185_2 Depth=1
	s_or_b32 exec_lo, exec_lo, s14
	v_mov_b32_e32 v21, s12
	s_waitcnt lgkmcnt(0)
	s_barrier
	buffer_gl0_inv
	s_and_saveexec_b32 s14, s6
	s_cbranch_execz .LBB185_1
; %bb.7:                                ;   in Loop: Header=BB185_2 Depth=1
	ds_load_u8 v21, v8
	s_waitcnt lgkmcnt(0)
	v_add_nc_u16 v21, v21, s12
	s_branch .LBB185_1
.LBB185_8:
	v_add_co_u32 v4, s0, s10, v5
	s_delay_alu instid0(VALU_DEP_1)
	v_add_co_ci_u32_e64 v5, null, s11, 0, s0
	v_or_b32_e32 v3, v15, v16
	v_or_b32_e32 v2, v10, v14
	;; [unrolled: 1-line block ×4, first 2 shown]
	global_store_b128 v[4:5], v[0:3], off
	s_nop 0
	s_sendmsg sendmsg(MSG_DEALLOC_VGPRS)
	s_endpgm
	.section	.rodata,"a",@progbits
	.p2align	6, 0x0
	.amdhsa_kernel _Z6kernelI14exclusive_scanILN6hipcub18BlockScanAlgorithmE0EEhLj64ELj16ELj100EEvPKT0_PS4_S4_
		.amdhsa_group_segment_fixed_size 2
		.amdhsa_private_segment_fixed_size 0
		.amdhsa_kernarg_size 280
		.amdhsa_user_sgpr_count 15
		.amdhsa_user_sgpr_dispatch_ptr 0
		.amdhsa_user_sgpr_queue_ptr 0
		.amdhsa_user_sgpr_kernarg_segment_ptr 1
		.amdhsa_user_sgpr_dispatch_id 0
		.amdhsa_user_sgpr_private_segment_size 0
		.amdhsa_wavefront_size32 1
		.amdhsa_uses_dynamic_stack 0
		.amdhsa_enable_private_segment 0
		.amdhsa_system_sgpr_workgroup_id_x 1
		.amdhsa_system_sgpr_workgroup_id_y 0
		.amdhsa_system_sgpr_workgroup_id_z 0
		.amdhsa_system_sgpr_workgroup_info 0
		.amdhsa_system_vgpr_workitem_id 0
		.amdhsa_next_free_vgpr 23
		.amdhsa_next_free_sgpr 16
		.amdhsa_reserve_vcc 1
		.amdhsa_float_round_mode_32 0
		.amdhsa_float_round_mode_16_64 0
		.amdhsa_float_denorm_mode_32 3
		.amdhsa_float_denorm_mode_16_64 3
		.amdhsa_dx10_clamp 1
		.amdhsa_ieee_mode 1
		.amdhsa_fp16_overflow 0
		.amdhsa_workgroup_processor_mode 1
		.amdhsa_memory_ordered 1
		.amdhsa_forward_progress 0
		.amdhsa_shared_vgpr_count 0
		.amdhsa_exception_fp_ieee_invalid_op 0
		.amdhsa_exception_fp_denorm_src 0
		.amdhsa_exception_fp_ieee_div_zero 0
		.amdhsa_exception_fp_ieee_overflow 0
		.amdhsa_exception_fp_ieee_underflow 0
		.amdhsa_exception_fp_ieee_inexact 0
		.amdhsa_exception_int_div_zero 0
	.end_amdhsa_kernel
	.section	.text._Z6kernelI14exclusive_scanILN6hipcub18BlockScanAlgorithmE0EEhLj64ELj16ELj100EEvPKT0_PS4_S4_,"axG",@progbits,_Z6kernelI14exclusive_scanILN6hipcub18BlockScanAlgorithmE0EEhLj64ELj16ELj100EEvPKT0_PS4_S4_,comdat
.Lfunc_end185:
	.size	_Z6kernelI14exclusive_scanILN6hipcub18BlockScanAlgorithmE0EEhLj64ELj16ELj100EEvPKT0_PS4_S4_, .Lfunc_end185-_Z6kernelI14exclusive_scanILN6hipcub18BlockScanAlgorithmE0EEhLj64ELj16ELj100EEvPKT0_PS4_S4_
                                        ; -- End function
	.section	.AMDGPU.csdata,"",@progbits
; Kernel info:
; codeLenInByte = 1288
; NumSgprs: 18
; NumVgprs: 23
; ScratchSize: 0
; MemoryBound: 0
; FloatMode: 240
; IeeeMode: 1
; LDSByteSize: 2 bytes/workgroup (compile time only)
; SGPRBlocks: 2
; VGPRBlocks: 2
; NumSGPRsForWavesPerEU: 18
; NumVGPRsForWavesPerEU: 23
; Occupancy: 16
; WaveLimiterHint : 0
; COMPUTE_PGM_RSRC2:SCRATCH_EN: 0
; COMPUTE_PGM_RSRC2:USER_SGPR: 15
; COMPUTE_PGM_RSRC2:TRAP_HANDLER: 0
; COMPUTE_PGM_RSRC2:TGID_X_EN: 1
; COMPUTE_PGM_RSRC2:TGID_Y_EN: 0
; COMPUTE_PGM_RSRC2:TGID_Z_EN: 0
; COMPUTE_PGM_RSRC2:TIDIG_COMP_CNT: 0
	.section	.text._Z6kernelI14exclusive_scanILN6hipcub18BlockScanAlgorithmE0EEiLj256ELj1ELj100EEvPKT0_PS4_S4_,"axG",@progbits,_Z6kernelI14exclusive_scanILN6hipcub18BlockScanAlgorithmE0EEiLj256ELj1ELj100EEvPKT0_PS4_S4_,comdat
	.protected	_Z6kernelI14exclusive_scanILN6hipcub18BlockScanAlgorithmE0EEiLj256ELj1ELj100EEvPKT0_PS4_S4_ ; -- Begin function _Z6kernelI14exclusive_scanILN6hipcub18BlockScanAlgorithmE0EEiLj256ELj1ELj100EEvPKT0_PS4_S4_
	.globl	_Z6kernelI14exclusive_scanILN6hipcub18BlockScanAlgorithmE0EEiLj256ELj1ELj100EEvPKT0_PS4_S4_
	.p2align	8
	.type	_Z6kernelI14exclusive_scanILN6hipcub18BlockScanAlgorithmE0EEiLj256ELj1ELj100EEvPKT0_PS4_S4_,@function
_Z6kernelI14exclusive_scanILN6hipcub18BlockScanAlgorithmE0EEiLj256ELj1ELj100EEvPKT0_PS4_S4_: ; @_Z6kernelI14exclusive_scanILN6hipcub18BlockScanAlgorithmE0EEiLj256ELj1ELj100EEvPKT0_PS4_S4_
; %bb.0:
	s_clause 0x2
	s_load_b32 s2, s[0:1], 0x24
	s_load_b128 s[16:19], s[0:1], 0x0
	s_load_b32 s11, s[0:1], 0x10
	v_or_b32_e32 v7, 31, v0
	v_cmp_lt_u32_e64 s6, 31, v0
	s_movk_i32 s12, 0x64
	s_delay_alu instid0(VALU_DEP_2) | instskip(SKIP_2) | instid1(SALU_CYCLE_1)
	v_cmp_eq_u32_e64 s4, v7, v0
	s_waitcnt lgkmcnt(0)
	s_and_b32 s2, s2, 0xffff
	v_mad_u64_u32 v[1:2], null, s15, s2, v[0:1]
	v_mov_b32_e32 v2, 0
	s_delay_alu instid0(VALU_DEP_1) | instskip(NEXT) | instid1(VALU_DEP_1)
	v_lshlrev_b64 v[1:2], 2, v[1:2]
	v_add_co_u32 v3, vcc_lo, s16, v1
	s_delay_alu instid0(VALU_DEP_2) | instskip(SKIP_2) | instid1(VALU_DEP_1)
	v_add_co_ci_u32_e32 v4, vcc_lo, s17, v2, vcc_lo
	global_load_b32 v6, v[3:4], off
	v_mbcnt_lo_u32_b32 v4, -1, 0
	v_and_b32_e32 v3, 15, v4
	v_and_b32_e32 v5, 16, v4
	v_add_nc_u32_e32 v8, -1, v4
	v_and_b32_e32 v7, 7, v4
	v_cmp_eq_u32_e64 s7, 0, v4
	v_cmp_eq_u32_e32 vcc_lo, 0, v3
	v_cmp_eq_u32_e64 s3, 0, v5
	v_cmp_gt_i32_e64 s5, 0, v8
	v_lshrrev_b32_e32 v5, 3, v0
	v_cmp_lt_u32_e64 s0, 1, v3
	v_cmp_lt_u32_e64 s1, 3, v3
	v_cmp_lt_u32_e64 s2, 7, v3
	v_cndmask_b32_e64 v3, v8, v4, s5
	v_and_b32_e32 v4, 28, v5
	v_cmp_gt_u32_e64 s5, 8, v0
	v_lshlrev_b32_e32 v0, 2, v0
	v_cmp_eq_u32_e64 s8, 0, v7
	v_lshlrev_b32_e32 v3, 2, v3
	v_cmp_lt_u32_e64 s9, 1, v7
	v_cmp_lt_u32_e64 s10, 3, v7
	v_add_nc_u32_e32 v5, -4, v4
	s_branch .LBB186_2
.LBB186_1:                              ;   in Loop: Header=BB186_2 Depth=1
	s_or_b32 exec_lo, exec_lo, s13
	s_delay_alu instid0(VALU_DEP_1) | instskip(SKIP_1) | instid1(SALU_CYCLE_1)
	v_add_nc_u32_e32 v6, v7, v6
	s_add_i32 s12, s12, -1
	s_cmp_lg_u32 s12, 0
	ds_bpermute_b32 v6, v3, v6
	s_waitcnt lgkmcnt(0)
	v_cndmask_b32_e64 v6, v6, v7, s7
	s_cbranch_scc0 .LBB186_8
.LBB186_2:                              ; =>This Inner Loop Header: Depth=1
	s_waitcnt vmcnt(0)
	s_delay_alu instid0(VALU_DEP_1) | instskip(NEXT) | instid1(VALU_DEP_1)
	v_mov_b32_dpp v7, v6 row_shr:1 row_mask:0xf bank_mask:0xf
	v_cndmask_b32_e64 v7, v7, 0, vcc_lo
	s_delay_alu instid0(VALU_DEP_1) | instskip(NEXT) | instid1(VALU_DEP_1)
	v_add_nc_u32_e32 v6, v7, v6
	v_mov_b32_dpp v7, v6 row_shr:2 row_mask:0xf bank_mask:0xf
	s_delay_alu instid0(VALU_DEP_1) | instskip(NEXT) | instid1(VALU_DEP_1)
	v_cndmask_b32_e64 v7, 0, v7, s0
	v_add_nc_u32_e32 v6, v6, v7
	s_delay_alu instid0(VALU_DEP_1) | instskip(NEXT) | instid1(VALU_DEP_1)
	v_mov_b32_dpp v7, v6 row_shr:4 row_mask:0xf bank_mask:0xf
	v_cndmask_b32_e64 v7, 0, v7, s1
	s_delay_alu instid0(VALU_DEP_1) | instskip(NEXT) | instid1(VALU_DEP_1)
	v_add_nc_u32_e32 v6, v6, v7
	v_mov_b32_dpp v7, v6 row_shr:8 row_mask:0xf bank_mask:0xf
	s_delay_alu instid0(VALU_DEP_1) | instskip(NEXT) | instid1(VALU_DEP_1)
	v_cndmask_b32_e64 v7, 0, v7, s2
	v_add_nc_u32_e32 v6, v6, v7
	ds_swizzle_b32 v7, v6 offset:swizzle(BROADCAST,32,15)
	s_waitcnt lgkmcnt(0)
	v_cndmask_b32_e64 v7, v7, 0, s3
	s_delay_alu instid0(VALU_DEP_1)
	v_add_nc_u32_e32 v6, v6, v7
	s_and_saveexec_b32 s13, s4
	s_cbranch_execz .LBB186_4
; %bb.3:                                ;   in Loop: Header=BB186_2 Depth=1
	ds_store_b32 v4, v6
.LBB186_4:                              ;   in Loop: Header=BB186_2 Depth=1
	s_or_b32 exec_lo, exec_lo, s13
	s_waitcnt lgkmcnt(0)
	s_barrier
	buffer_gl0_inv
	s_and_saveexec_b32 s13, s5
	s_cbranch_execz .LBB186_6
; %bb.5:                                ;   in Loop: Header=BB186_2 Depth=1
	ds_load_b32 v7, v0
	s_waitcnt lgkmcnt(0)
	v_mov_b32_dpp v8, v7 row_shr:1 row_mask:0xf bank_mask:0xf
	s_delay_alu instid0(VALU_DEP_1) | instskip(NEXT) | instid1(VALU_DEP_1)
	v_cndmask_b32_e64 v8, v8, 0, s8
	v_add_nc_u32_e32 v7, v8, v7
	s_delay_alu instid0(VALU_DEP_1) | instskip(NEXT) | instid1(VALU_DEP_1)
	v_mov_b32_dpp v8, v7 row_shr:2 row_mask:0xf bank_mask:0xf
	v_cndmask_b32_e64 v8, 0, v8, s9
	s_delay_alu instid0(VALU_DEP_1) | instskip(NEXT) | instid1(VALU_DEP_1)
	v_add_nc_u32_e32 v7, v7, v8
	v_mov_b32_dpp v8, v7 row_shr:4 row_mask:0xf bank_mask:0xf
	s_delay_alu instid0(VALU_DEP_1) | instskip(NEXT) | instid1(VALU_DEP_1)
	v_cndmask_b32_e64 v8, 0, v8, s10
	v_add_nc_u32_e32 v7, v7, v8
	ds_store_b32 v0, v7
.LBB186_6:                              ;   in Loop: Header=BB186_2 Depth=1
	s_or_b32 exec_lo, exec_lo, s13
	v_mov_b32_e32 v7, s11
	s_waitcnt lgkmcnt(0)
	s_barrier
	buffer_gl0_inv
	s_and_saveexec_b32 s13, s6
	s_cbranch_execz .LBB186_1
; %bb.7:                                ;   in Loop: Header=BB186_2 Depth=1
	ds_load_b32 v7, v5
	s_waitcnt lgkmcnt(0)
	v_add_nc_u32_e32 v7, s11, v7
	s_branch .LBB186_1
.LBB186_8:
	v_add_co_u32 v0, vcc_lo, s18, v1
	v_add_co_ci_u32_e32 v1, vcc_lo, s19, v2, vcc_lo
	global_store_b32 v[0:1], v6, off
	s_nop 0
	s_sendmsg sendmsg(MSG_DEALLOC_VGPRS)
	s_endpgm
	.section	.rodata,"a",@progbits
	.p2align	6, 0x0
	.amdhsa_kernel _Z6kernelI14exclusive_scanILN6hipcub18BlockScanAlgorithmE0EEiLj256ELj1ELj100EEvPKT0_PS4_S4_
		.amdhsa_group_segment_fixed_size 32
		.amdhsa_private_segment_fixed_size 0
		.amdhsa_kernarg_size 280
		.amdhsa_user_sgpr_count 15
		.amdhsa_user_sgpr_dispatch_ptr 0
		.amdhsa_user_sgpr_queue_ptr 0
		.amdhsa_user_sgpr_kernarg_segment_ptr 1
		.amdhsa_user_sgpr_dispatch_id 0
		.amdhsa_user_sgpr_private_segment_size 0
		.amdhsa_wavefront_size32 1
		.amdhsa_uses_dynamic_stack 0
		.amdhsa_enable_private_segment 0
		.amdhsa_system_sgpr_workgroup_id_x 1
		.amdhsa_system_sgpr_workgroup_id_y 0
		.amdhsa_system_sgpr_workgroup_id_z 0
		.amdhsa_system_sgpr_workgroup_info 0
		.amdhsa_system_vgpr_workitem_id 0
		.amdhsa_next_free_vgpr 9
		.amdhsa_next_free_sgpr 20
		.amdhsa_reserve_vcc 1
		.amdhsa_float_round_mode_32 0
		.amdhsa_float_round_mode_16_64 0
		.amdhsa_float_denorm_mode_32 3
		.amdhsa_float_denorm_mode_16_64 3
		.amdhsa_dx10_clamp 1
		.amdhsa_ieee_mode 1
		.amdhsa_fp16_overflow 0
		.amdhsa_workgroup_processor_mode 1
		.amdhsa_memory_ordered 1
		.amdhsa_forward_progress 0
		.amdhsa_shared_vgpr_count 0
		.amdhsa_exception_fp_ieee_invalid_op 0
		.amdhsa_exception_fp_denorm_src 0
		.amdhsa_exception_fp_ieee_div_zero 0
		.amdhsa_exception_fp_ieee_overflow 0
		.amdhsa_exception_fp_ieee_underflow 0
		.amdhsa_exception_fp_ieee_inexact 0
		.amdhsa_exception_int_div_zero 0
	.end_amdhsa_kernel
	.section	.text._Z6kernelI14exclusive_scanILN6hipcub18BlockScanAlgorithmE0EEiLj256ELj1ELj100EEvPKT0_PS4_S4_,"axG",@progbits,_Z6kernelI14exclusive_scanILN6hipcub18BlockScanAlgorithmE0EEiLj256ELj1ELj100EEvPKT0_PS4_S4_,comdat
.Lfunc_end186:
	.size	_Z6kernelI14exclusive_scanILN6hipcub18BlockScanAlgorithmE0EEiLj256ELj1ELj100EEvPKT0_PS4_S4_, .Lfunc_end186-_Z6kernelI14exclusive_scanILN6hipcub18BlockScanAlgorithmE0EEiLj256ELj1ELj100EEvPKT0_PS4_S4_
                                        ; -- End function
	.section	.AMDGPU.csdata,"",@progbits
; Kernel info:
; codeLenInByte = 660
; NumSgprs: 22
; NumVgprs: 9
; ScratchSize: 0
; MemoryBound: 0
; FloatMode: 240
; IeeeMode: 1
; LDSByteSize: 32 bytes/workgroup (compile time only)
; SGPRBlocks: 2
; VGPRBlocks: 1
; NumSGPRsForWavesPerEU: 22
; NumVGPRsForWavesPerEU: 9
; Occupancy: 16
; WaveLimiterHint : 0
; COMPUTE_PGM_RSRC2:SCRATCH_EN: 0
; COMPUTE_PGM_RSRC2:USER_SGPR: 15
; COMPUTE_PGM_RSRC2:TRAP_HANDLER: 0
; COMPUTE_PGM_RSRC2:TGID_X_EN: 1
; COMPUTE_PGM_RSRC2:TGID_Y_EN: 0
; COMPUTE_PGM_RSRC2:TGID_Z_EN: 0
; COMPUTE_PGM_RSRC2:TIDIG_COMP_CNT: 0
	.section	.text._Z6kernelI14exclusive_scanILN6hipcub18BlockScanAlgorithmE0EEiLj256ELj3ELj100EEvPKT0_PS4_S4_,"axG",@progbits,_Z6kernelI14exclusive_scanILN6hipcub18BlockScanAlgorithmE0EEiLj256ELj3ELj100EEvPKT0_PS4_S4_,comdat
	.protected	_Z6kernelI14exclusive_scanILN6hipcub18BlockScanAlgorithmE0EEiLj256ELj3ELj100EEvPKT0_PS4_S4_ ; -- Begin function _Z6kernelI14exclusive_scanILN6hipcub18BlockScanAlgorithmE0EEiLj256ELj3ELj100EEvPKT0_PS4_S4_
	.globl	_Z6kernelI14exclusive_scanILN6hipcub18BlockScanAlgorithmE0EEiLj256ELj3ELj100EEvPKT0_PS4_S4_
	.p2align	8
	.type	_Z6kernelI14exclusive_scanILN6hipcub18BlockScanAlgorithmE0EEiLj256ELj3ELj100EEvPKT0_PS4_S4_,@function
_Z6kernelI14exclusive_scanILN6hipcub18BlockScanAlgorithmE0EEiLj256ELj3ELj100EEvPKT0_PS4_S4_: ; @_Z6kernelI14exclusive_scanILN6hipcub18BlockScanAlgorithmE0EEiLj256ELj3ELj100EEvPKT0_PS4_S4_
; %bb.0:
	s_load_b32 s2, s[0:1], 0x24
	v_or_b32_e32 v14, 31, v0
	v_cmp_gt_u32_e64 s5, 8, v0
	v_cmp_lt_u32_e64 s6, 31, v0
	v_cmp_eq_u32_e64 s8, 0, v0
	s_load_b32 s16, s[0:1], 0x10
	s_waitcnt lgkmcnt(0)
	s_and_b32 s2, s2, 0xffff
	s_delay_alu instid0(SALU_CYCLE_1) | instskip(SKIP_1) | instid1(VALU_DEP_1)
	v_mad_u64_u32 v[1:2], null, s15, s2, v[0:1]
	s_load_b128 s[12:15], s[0:1], 0x0
	v_lshl_add_u32 v3, v1, 1, v1
	s_delay_alu instid0(VALU_DEP_1) | instskip(NEXT) | instid1(VALU_DEP_1)
	v_dual_mov_b32 v4, 0 :: v_dual_add_nc_u32 v5, 1, v3
	v_mov_b32_e32 v6, v4
	v_lshlrev_b64 v[1:2], 2, v[3:4]
	v_add_nc_u32_e32 v3, 2, v3
	s_delay_alu instid0(VALU_DEP_3) | instskip(NEXT) | instid1(VALU_DEP_2)
	v_lshlrev_b64 v[5:6], 2, v[5:6]
	v_lshlrev_b64 v[3:4], 2, v[3:4]
	s_waitcnt lgkmcnt(0)
	s_delay_alu instid0(VALU_DEP_4) | instskip(SKIP_1) | instid1(VALU_DEP_4)
	v_add_co_u32 v7, vcc_lo, s12, v1
	v_add_co_ci_u32_e32 v8, vcc_lo, s13, v2, vcc_lo
	v_add_co_u32 v9, vcc_lo, s12, v5
	v_add_co_ci_u32_e32 v10, vcc_lo, s13, v6, vcc_lo
	;; [unrolled: 2-line block ×3, first 2 shown]
	s_clause 0x2
	global_load_b32 v7, v[7:8], off
	global_load_b32 v8, v[9:10], off
	;; [unrolled: 1-line block ×3, first 2 shown]
	v_mbcnt_lo_u32_b32 v10, -1, 0
	s_movk_i32 s12, 0x64
	s_delay_alu instid0(VALU_DEP_1) | instskip(SKIP_3) | instid1(VALU_DEP_4)
	v_and_b32_e32 v11, 16, v10
	v_add_nc_u32_e32 v13, -1, v10
	v_and_b32_e32 v9, 15, v10
	v_cmp_eq_u32_e64 s7, 0, v10
	v_cmp_eq_u32_e64 s3, 0, v11
	s_delay_alu instid0(VALU_DEP_4)
	v_cmp_gt_i32_e64 s4, 0, v13
	v_lshrrev_b32_e32 v11, 3, v0
	v_cmp_eq_u32_e32 vcc_lo, 0, v9
	v_cmp_lt_u32_e64 s0, 1, v9
	v_cmp_lt_u32_e64 s1, 3, v9
	;; [unrolled: 1-line block ×3, first 2 shown]
	v_cndmask_b32_e64 v9, v13, v10, s4
	v_and_b32_e32 v13, 7, v10
	v_and_b32_e32 v10, 28, v11
	v_cmp_eq_u32_e64 s4, v14, v0
	v_lshlrev_b32_e32 v0, 2, v0
	v_lshlrev_b32_e32 v9, 2, v9
	v_cmp_eq_u32_e64 s9, 0, v13
	v_cmp_lt_u32_e64 s10, 1, v13
	v_cmp_lt_u32_e64 s11, 3, v13
	v_add_nc_u32_e32 v11, -4, v10
.LBB187_1:                              ; =>This Inner Loop Header: Depth=1
	s_waitcnt vmcnt(0)
	s_delay_alu instid0(VALU_DEP_1) | instskip(NEXT) | instid1(VALU_DEP_1)
	v_add3_u32 v12, v8, v7, v12
	v_mov_b32_dpp v13, v12 row_shr:1 row_mask:0xf bank_mask:0xf
	s_delay_alu instid0(VALU_DEP_1) | instskip(NEXT) | instid1(VALU_DEP_1)
	v_cndmask_b32_e64 v13, v13, 0, vcc_lo
	v_add_nc_u32_e32 v12, v12, v13
	s_delay_alu instid0(VALU_DEP_1) | instskip(NEXT) | instid1(VALU_DEP_1)
	v_mov_b32_dpp v13, v12 row_shr:2 row_mask:0xf bank_mask:0xf
	v_cndmask_b32_e64 v13, 0, v13, s0
	s_delay_alu instid0(VALU_DEP_1) | instskip(NEXT) | instid1(VALU_DEP_1)
	v_add_nc_u32_e32 v12, v12, v13
	v_mov_b32_dpp v13, v12 row_shr:4 row_mask:0xf bank_mask:0xf
	s_delay_alu instid0(VALU_DEP_1) | instskip(NEXT) | instid1(VALU_DEP_1)
	v_cndmask_b32_e64 v13, 0, v13, s1
	v_add_nc_u32_e32 v12, v12, v13
	s_delay_alu instid0(VALU_DEP_1) | instskip(NEXT) | instid1(VALU_DEP_1)
	v_mov_b32_dpp v13, v12 row_shr:8 row_mask:0xf bank_mask:0xf
	v_cndmask_b32_e64 v13, 0, v13, s2
	s_delay_alu instid0(VALU_DEP_1) | instskip(SKIP_3) | instid1(VALU_DEP_1)
	v_add_nc_u32_e32 v12, v12, v13
	ds_swizzle_b32 v13, v12 offset:swizzle(BROADCAST,32,15)
	s_waitcnt lgkmcnt(0)
	v_cndmask_b32_e64 v13, v13, 0, s3
	v_add_nc_u32_e32 v12, v12, v13
	s_and_saveexec_b32 s13, s4
	s_cbranch_execz .LBB187_3
; %bb.2:                                ;   in Loop: Header=BB187_1 Depth=1
	ds_store_b32 v10, v12
.LBB187_3:                              ;   in Loop: Header=BB187_1 Depth=1
	s_or_b32 exec_lo, exec_lo, s13
	s_waitcnt lgkmcnt(0)
	s_barrier
	buffer_gl0_inv
	s_and_saveexec_b32 s13, s5
	s_cbranch_execz .LBB187_5
; %bb.4:                                ;   in Loop: Header=BB187_1 Depth=1
	ds_load_b32 v13, v0
	s_waitcnt lgkmcnt(0)
	v_mov_b32_dpp v14, v13 row_shr:1 row_mask:0xf bank_mask:0xf
	s_delay_alu instid0(VALU_DEP_1) | instskip(NEXT) | instid1(VALU_DEP_1)
	v_cndmask_b32_e64 v14, v14, 0, s9
	v_add_nc_u32_e32 v13, v14, v13
	s_delay_alu instid0(VALU_DEP_1) | instskip(NEXT) | instid1(VALU_DEP_1)
	v_mov_b32_dpp v14, v13 row_shr:2 row_mask:0xf bank_mask:0xf
	v_cndmask_b32_e64 v14, 0, v14, s10
	s_delay_alu instid0(VALU_DEP_1) | instskip(NEXT) | instid1(VALU_DEP_1)
	v_add_nc_u32_e32 v13, v13, v14
	v_mov_b32_dpp v14, v13 row_shr:4 row_mask:0xf bank_mask:0xf
	s_delay_alu instid0(VALU_DEP_1) | instskip(NEXT) | instid1(VALU_DEP_1)
	v_cndmask_b32_e64 v14, 0, v14, s11
	v_add_nc_u32_e32 v13, v13, v14
	ds_store_b32 v0, v13
.LBB187_5:                              ;   in Loop: Header=BB187_1 Depth=1
	s_or_b32 exec_lo, exec_lo, s13
	v_mov_b32_e32 v13, s16
	s_waitcnt lgkmcnt(0)
	s_barrier
	buffer_gl0_inv
	s_and_saveexec_b32 s13, s6
	s_cbranch_execz .LBB187_7
; %bb.6:                                ;   in Loop: Header=BB187_1 Depth=1
	ds_load_b32 v13, v11
	s_waitcnt lgkmcnt(0)
	v_add_nc_u32_e32 v13, s16, v13
.LBB187_7:                              ;   in Loop: Header=BB187_1 Depth=1
	s_or_b32 exec_lo, exec_lo, s13
	s_delay_alu instid0(VALU_DEP_1) | instskip(SKIP_1) | instid1(SALU_CYCLE_1)
	v_add_nc_u32_e32 v12, v13, v12
	s_add_i32 s12, s12, -1
	s_cmp_lg_u32 s12, 0
	ds_bpermute_b32 v12, v9, v12
	s_waitcnt lgkmcnt(0)
	v_cndmask_b32_e64 v12, v12, v13, s7
	s_delay_alu instid0(VALU_DEP_1) | instskip(NEXT) | instid1(VALU_DEP_1)
	v_cndmask_b32_e64 v14, v12, s16, s8
	v_add_nc_u32_e32 v13, v14, v7
	s_delay_alu instid0(VALU_DEP_1)
	v_add_nc_u32_e32 v12, v13, v8
	s_cbranch_scc0 .LBB187_9
; %bb.8:                                ;   in Loop: Header=BB187_1 Depth=1
	v_dual_mov_b32 v7, v14 :: v_dual_mov_b32 v8, v13
	s_branch .LBB187_1
.LBB187_9:
	v_add_co_u32 v0, vcc_lo, s14, v1
	v_add_co_ci_u32_e32 v1, vcc_lo, s15, v2, vcc_lo
	v_add_co_u32 v5, vcc_lo, s14, v5
	v_add_co_ci_u32_e32 v6, vcc_lo, s15, v6, vcc_lo
	v_add_co_u32 v2, vcc_lo, s14, v3
	v_add_co_ci_u32_e32 v3, vcc_lo, s15, v4, vcc_lo
	s_clause 0x2
	global_store_b32 v[0:1], v14, off
	global_store_b32 v[5:6], v13, off
	;; [unrolled: 1-line block ×3, first 2 shown]
	s_nop 0
	s_sendmsg sendmsg(MSG_DEALLOC_VGPRS)
	s_endpgm
	.section	.rodata,"a",@progbits
	.p2align	6, 0x0
	.amdhsa_kernel _Z6kernelI14exclusive_scanILN6hipcub18BlockScanAlgorithmE0EEiLj256ELj3ELj100EEvPKT0_PS4_S4_
		.amdhsa_group_segment_fixed_size 32
		.amdhsa_private_segment_fixed_size 0
		.amdhsa_kernarg_size 280
		.amdhsa_user_sgpr_count 15
		.amdhsa_user_sgpr_dispatch_ptr 0
		.amdhsa_user_sgpr_queue_ptr 0
		.amdhsa_user_sgpr_kernarg_segment_ptr 1
		.amdhsa_user_sgpr_dispatch_id 0
		.amdhsa_user_sgpr_private_segment_size 0
		.amdhsa_wavefront_size32 1
		.amdhsa_uses_dynamic_stack 0
		.amdhsa_enable_private_segment 0
		.amdhsa_system_sgpr_workgroup_id_x 1
		.amdhsa_system_sgpr_workgroup_id_y 0
		.amdhsa_system_sgpr_workgroup_id_z 0
		.amdhsa_system_sgpr_workgroup_info 0
		.amdhsa_system_vgpr_workitem_id 0
		.amdhsa_next_free_vgpr 15
		.amdhsa_next_free_sgpr 17
		.amdhsa_reserve_vcc 1
		.amdhsa_float_round_mode_32 0
		.amdhsa_float_round_mode_16_64 0
		.amdhsa_float_denorm_mode_32 3
		.amdhsa_float_denorm_mode_16_64 3
		.amdhsa_dx10_clamp 1
		.amdhsa_ieee_mode 1
		.amdhsa_fp16_overflow 0
		.amdhsa_workgroup_processor_mode 1
		.amdhsa_memory_ordered 1
		.amdhsa_forward_progress 0
		.amdhsa_shared_vgpr_count 0
		.amdhsa_exception_fp_ieee_invalid_op 0
		.amdhsa_exception_fp_denorm_src 0
		.amdhsa_exception_fp_ieee_div_zero 0
		.amdhsa_exception_fp_ieee_overflow 0
		.amdhsa_exception_fp_ieee_underflow 0
		.amdhsa_exception_fp_ieee_inexact 0
		.amdhsa_exception_int_div_zero 0
	.end_amdhsa_kernel
	.section	.text._Z6kernelI14exclusive_scanILN6hipcub18BlockScanAlgorithmE0EEiLj256ELj3ELj100EEvPKT0_PS4_S4_,"axG",@progbits,_Z6kernelI14exclusive_scanILN6hipcub18BlockScanAlgorithmE0EEiLj256ELj3ELj100EEvPKT0_PS4_S4_,comdat
.Lfunc_end187:
	.size	_Z6kernelI14exclusive_scanILN6hipcub18BlockScanAlgorithmE0EEiLj256ELj3ELj100EEvPKT0_PS4_S4_, .Lfunc_end187-_Z6kernelI14exclusive_scanILN6hipcub18BlockScanAlgorithmE0EEiLj256ELj3ELj100EEvPKT0_PS4_S4_
                                        ; -- End function
	.section	.AMDGPU.csdata,"",@progbits
; Kernel info:
; codeLenInByte = 840
; NumSgprs: 19
; NumVgprs: 15
; ScratchSize: 0
; MemoryBound: 0
; FloatMode: 240
; IeeeMode: 1
; LDSByteSize: 32 bytes/workgroup (compile time only)
; SGPRBlocks: 2
; VGPRBlocks: 1
; NumSGPRsForWavesPerEU: 19
; NumVGPRsForWavesPerEU: 15
; Occupancy: 16
; WaveLimiterHint : 0
; COMPUTE_PGM_RSRC2:SCRATCH_EN: 0
; COMPUTE_PGM_RSRC2:USER_SGPR: 15
; COMPUTE_PGM_RSRC2:TRAP_HANDLER: 0
; COMPUTE_PGM_RSRC2:TGID_X_EN: 1
; COMPUTE_PGM_RSRC2:TGID_Y_EN: 0
; COMPUTE_PGM_RSRC2:TGID_Z_EN: 0
; COMPUTE_PGM_RSRC2:TIDIG_COMP_CNT: 0
	.section	.text._Z6kernelI14exclusive_scanILN6hipcub18BlockScanAlgorithmE0EEiLj256ELj4ELj100EEvPKT0_PS4_S4_,"axG",@progbits,_Z6kernelI14exclusive_scanILN6hipcub18BlockScanAlgorithmE0EEiLj256ELj4ELj100EEvPKT0_PS4_S4_,comdat
	.protected	_Z6kernelI14exclusive_scanILN6hipcub18BlockScanAlgorithmE0EEiLj256ELj4ELj100EEvPKT0_PS4_S4_ ; -- Begin function _Z6kernelI14exclusive_scanILN6hipcub18BlockScanAlgorithmE0EEiLj256ELj4ELj100EEvPKT0_PS4_S4_
	.globl	_Z6kernelI14exclusive_scanILN6hipcub18BlockScanAlgorithmE0EEiLj256ELj4ELj100EEvPKT0_PS4_S4_
	.p2align	8
	.type	_Z6kernelI14exclusive_scanILN6hipcub18BlockScanAlgorithmE0EEiLj256ELj4ELj100EEvPKT0_PS4_S4_,@function
_Z6kernelI14exclusive_scanILN6hipcub18BlockScanAlgorithmE0EEiLj256ELj4ELj100EEvPKT0_PS4_S4_: ; @_Z6kernelI14exclusive_scanILN6hipcub18BlockScanAlgorithmE0EEiLj256ELj4ELj100EEvPKT0_PS4_S4_
; %bb.0:
	s_clause 0x1
	s_load_b32 s2, s[0:1], 0x24
	s_load_b128 s[16:19], s[0:1], 0x0
	v_mbcnt_lo_u32_b32 v5, -1, 0
	v_mov_b32_e32 v2, 0
	s_load_b32 s12, s[0:1], 0x10
	v_or_b32_e32 v11, 31, v0
	v_cmp_gt_u32_e64 s5, 8, v0
	v_and_b32_e32 v7, 16, v5
	v_add_nc_u32_e32 v10, -1, v5
	v_and_b32_e32 v6, 15, v5
	v_cmp_lt_u32_e64 s6, 31, v0
	v_cmp_eq_u32_e64 s7, 0, v5
	v_cmp_eq_u32_e64 s3, 0, v7
	v_cmp_gt_i32_e64 s4, 0, v10
	v_cmp_lt_u32_e64 s0, 1, v6
	v_cmp_lt_u32_e64 s1, 3, v6
	v_lshrrev_b32_e32 v7, 3, v0
	v_cmp_eq_u32_e64 s8, 0, v0
	s_movk_i32 s13, 0x64
	s_waitcnt lgkmcnt(0)
	s_and_b32 s2, s2, 0xffff
	s_delay_alu instid0(SALU_CYCLE_1) | instskip(SKIP_2) | instid1(VALU_DEP_1)
	s_mul_i32 s15, s15, s2
	v_cmp_lt_u32_e64 s2, 7, v6
	v_add_lshl_u32 v1, s15, v0, 2
	v_lshlrev_b64 v[8:9], 2, v[1:2]
	s_delay_alu instid0(VALU_DEP_1) | instskip(NEXT) | instid1(VALU_DEP_2)
	v_add_co_u32 v1, vcc_lo, s16, v8
	v_add_co_ci_u32_e32 v2, vcc_lo, s17, v9, vcc_lo
	v_cmp_eq_u32_e32 vcc_lo, 0, v6
	v_cndmask_b32_e64 v6, v10, v5, s4
	v_cmp_eq_u32_e64 s4, v11, v0
	global_load_b128 v[1:4], v[1:2], off
	v_and_b32_e32 v11, 28, v7
	v_lshlrev_b32_e32 v0, 2, v0
	v_lshlrev_b32_e32 v10, 2, v6
	v_and_b32_e32 v6, 7, v5
	s_delay_alu instid0(VALU_DEP_4) | instskip(NEXT) | instid1(VALU_DEP_2)
	v_add_nc_u32_e32 v12, -4, v11
	v_cmp_eq_u32_e64 s9, 0, v6
	v_cmp_lt_u32_e64 s10, 1, v6
	v_cmp_lt_u32_e64 s11, 3, v6
.LBB188_1:                              ; =>This Inner Loop Header: Depth=1
	s_waitcnt vmcnt(0)
	s_delay_alu instid0(VALU_DEP_2) | instskip(NEXT) | instid1(VALU_DEP_1)
	v_add_nc_u32_e32 v5, v2, v1
	v_add3_u32 v4, v5, v3, v4
	s_delay_alu instid0(VALU_DEP_1) | instskip(NEXT) | instid1(VALU_DEP_1)
	v_mov_b32_dpp v5, v4 row_shr:1 row_mask:0xf bank_mask:0xf
	v_cndmask_b32_e64 v5, v5, 0, vcc_lo
	s_delay_alu instid0(VALU_DEP_1) | instskip(NEXT) | instid1(VALU_DEP_1)
	v_add_nc_u32_e32 v4, v4, v5
	v_mov_b32_dpp v5, v4 row_shr:2 row_mask:0xf bank_mask:0xf
	s_delay_alu instid0(VALU_DEP_1) | instskip(NEXT) | instid1(VALU_DEP_1)
	v_cndmask_b32_e64 v5, 0, v5, s0
	v_add_nc_u32_e32 v4, v4, v5
	s_delay_alu instid0(VALU_DEP_1) | instskip(NEXT) | instid1(VALU_DEP_1)
	v_mov_b32_dpp v5, v4 row_shr:4 row_mask:0xf bank_mask:0xf
	v_cndmask_b32_e64 v5, 0, v5, s1
	s_delay_alu instid0(VALU_DEP_1) | instskip(NEXT) | instid1(VALU_DEP_1)
	v_add_nc_u32_e32 v4, v4, v5
	v_mov_b32_dpp v5, v4 row_shr:8 row_mask:0xf bank_mask:0xf
	s_delay_alu instid0(VALU_DEP_1) | instskip(NEXT) | instid1(VALU_DEP_1)
	v_cndmask_b32_e64 v5, 0, v5, s2
	v_add_nc_u32_e32 v4, v4, v5
	ds_swizzle_b32 v5, v4 offset:swizzle(BROADCAST,32,15)
	s_waitcnt lgkmcnt(0)
	v_cndmask_b32_e64 v5, v5, 0, s3
	s_delay_alu instid0(VALU_DEP_1)
	v_add_nc_u32_e32 v4, v4, v5
	s_and_saveexec_b32 s14, s4
	s_cbranch_execz .LBB188_3
; %bb.2:                                ;   in Loop: Header=BB188_1 Depth=1
	ds_store_b32 v11, v4
.LBB188_3:                              ;   in Loop: Header=BB188_1 Depth=1
	s_or_b32 exec_lo, exec_lo, s14
	s_waitcnt lgkmcnt(0)
	s_barrier
	buffer_gl0_inv
	s_and_saveexec_b32 s14, s5
	s_cbranch_execz .LBB188_5
; %bb.4:                                ;   in Loop: Header=BB188_1 Depth=1
	ds_load_b32 v5, v0
	s_waitcnt lgkmcnt(0)
	v_mov_b32_dpp v6, v5 row_shr:1 row_mask:0xf bank_mask:0xf
	s_delay_alu instid0(VALU_DEP_1) | instskip(NEXT) | instid1(VALU_DEP_1)
	v_cndmask_b32_e64 v6, v6, 0, s9
	v_add_nc_u32_e32 v5, v6, v5
	s_delay_alu instid0(VALU_DEP_1) | instskip(NEXT) | instid1(VALU_DEP_1)
	v_mov_b32_dpp v6, v5 row_shr:2 row_mask:0xf bank_mask:0xf
	v_cndmask_b32_e64 v6, 0, v6, s10
	s_delay_alu instid0(VALU_DEP_1) | instskip(NEXT) | instid1(VALU_DEP_1)
	v_add_nc_u32_e32 v5, v5, v6
	v_mov_b32_dpp v6, v5 row_shr:4 row_mask:0xf bank_mask:0xf
	s_delay_alu instid0(VALU_DEP_1) | instskip(NEXT) | instid1(VALU_DEP_1)
	v_cndmask_b32_e64 v6, 0, v6, s11
	v_add_nc_u32_e32 v5, v5, v6
	ds_store_b32 v0, v5
.LBB188_5:                              ;   in Loop: Header=BB188_1 Depth=1
	s_or_b32 exec_lo, exec_lo, s14
	v_mov_b32_e32 v5, s12
	s_waitcnt lgkmcnt(0)
	s_barrier
	buffer_gl0_inv
	s_and_saveexec_b32 s14, s6
	s_cbranch_execz .LBB188_7
; %bb.6:                                ;   in Loop: Header=BB188_1 Depth=1
	ds_load_b32 v5, v12
	s_waitcnt lgkmcnt(0)
	v_add_nc_u32_e32 v5, s12, v5
.LBB188_7:                              ;   in Loop: Header=BB188_1 Depth=1
	s_or_b32 exec_lo, exec_lo, s14
	s_delay_alu instid0(VALU_DEP_1) | instskip(SKIP_1) | instid1(SALU_CYCLE_1)
	v_add_nc_u32_e32 v4, v5, v4
	s_add_i32 s13, s13, -1
	s_cmp_lg_u32 s13, 0
	ds_bpermute_b32 v4, v10, v4
	s_waitcnt lgkmcnt(0)
	v_cndmask_b32_e64 v4, v4, v5, s7
	s_delay_alu instid0(VALU_DEP_1) | instskip(NEXT) | instid1(VALU_DEP_1)
	v_cndmask_b32_e64 v5, v4, s12, s8
	v_add_nc_u32_e32 v6, v5, v1
	s_delay_alu instid0(VALU_DEP_1) | instskip(NEXT) | instid1(VALU_DEP_1)
	v_add_nc_u32_e32 v7, v6, v2
	v_add_nc_u32_e32 v4, v7, v3
	s_cbranch_scc0 .LBB188_9
; %bb.8:                                ;   in Loop: Header=BB188_1 Depth=1
	v_dual_mov_b32 v1, v5 :: v_dual_mov_b32 v2, v6
	v_mov_b32_e32 v3, v7
	s_branch .LBB188_1
.LBB188_9:
	v_add_co_u32 v0, vcc_lo, s18, v8
	v_add_co_ci_u32_e32 v1, vcc_lo, s19, v9, vcc_lo
	s_delay_alu instid0(VALU_DEP_3)
	v_mov_b32_e32 v8, v4
	global_store_b128 v[0:1], v[5:8], off
	s_nop 0
	s_sendmsg sendmsg(MSG_DEALLOC_VGPRS)
	s_endpgm
	.section	.rodata,"a",@progbits
	.p2align	6, 0x0
	.amdhsa_kernel _Z6kernelI14exclusive_scanILN6hipcub18BlockScanAlgorithmE0EEiLj256ELj4ELj100EEvPKT0_PS4_S4_
		.amdhsa_group_segment_fixed_size 32
		.amdhsa_private_segment_fixed_size 0
		.amdhsa_kernarg_size 280
		.amdhsa_user_sgpr_count 15
		.amdhsa_user_sgpr_dispatch_ptr 0
		.amdhsa_user_sgpr_queue_ptr 0
		.amdhsa_user_sgpr_kernarg_segment_ptr 1
		.amdhsa_user_sgpr_dispatch_id 0
		.amdhsa_user_sgpr_private_segment_size 0
		.amdhsa_wavefront_size32 1
		.amdhsa_uses_dynamic_stack 0
		.amdhsa_enable_private_segment 0
		.amdhsa_system_sgpr_workgroup_id_x 1
		.amdhsa_system_sgpr_workgroup_id_y 0
		.amdhsa_system_sgpr_workgroup_id_z 0
		.amdhsa_system_sgpr_workgroup_info 0
		.amdhsa_system_vgpr_workitem_id 0
		.amdhsa_next_free_vgpr 13
		.amdhsa_next_free_sgpr 20
		.amdhsa_reserve_vcc 1
		.amdhsa_float_round_mode_32 0
		.amdhsa_float_round_mode_16_64 0
		.amdhsa_float_denorm_mode_32 3
		.amdhsa_float_denorm_mode_16_64 3
		.amdhsa_dx10_clamp 1
		.amdhsa_ieee_mode 1
		.amdhsa_fp16_overflow 0
		.amdhsa_workgroup_processor_mode 1
		.amdhsa_memory_ordered 1
		.amdhsa_forward_progress 0
		.amdhsa_shared_vgpr_count 0
		.amdhsa_exception_fp_ieee_invalid_op 0
		.amdhsa_exception_fp_denorm_src 0
		.amdhsa_exception_fp_ieee_div_zero 0
		.amdhsa_exception_fp_ieee_overflow 0
		.amdhsa_exception_fp_ieee_underflow 0
		.amdhsa_exception_fp_ieee_inexact 0
		.amdhsa_exception_int_div_zero 0
	.end_amdhsa_kernel
	.section	.text._Z6kernelI14exclusive_scanILN6hipcub18BlockScanAlgorithmE0EEiLj256ELj4ELj100EEvPKT0_PS4_S4_,"axG",@progbits,_Z6kernelI14exclusive_scanILN6hipcub18BlockScanAlgorithmE0EEiLj256ELj4ELj100EEvPKT0_PS4_S4_,comdat
.Lfunc_end188:
	.size	_Z6kernelI14exclusive_scanILN6hipcub18BlockScanAlgorithmE0EEiLj256ELj4ELj100EEvPKT0_PS4_S4_, .Lfunc_end188-_Z6kernelI14exclusive_scanILN6hipcub18BlockScanAlgorithmE0EEiLj256ELj4ELj100EEvPKT0_PS4_S4_
                                        ; -- End function
	.section	.AMDGPU.csdata,"",@progbits
; Kernel info:
; codeLenInByte = 732
; NumSgprs: 22
; NumVgprs: 13
; ScratchSize: 0
; MemoryBound: 0
; FloatMode: 240
; IeeeMode: 1
; LDSByteSize: 32 bytes/workgroup (compile time only)
; SGPRBlocks: 2
; VGPRBlocks: 1
; NumSGPRsForWavesPerEU: 22
; NumVGPRsForWavesPerEU: 13
; Occupancy: 16
; WaveLimiterHint : 0
; COMPUTE_PGM_RSRC2:SCRATCH_EN: 0
; COMPUTE_PGM_RSRC2:USER_SGPR: 15
; COMPUTE_PGM_RSRC2:TRAP_HANDLER: 0
; COMPUTE_PGM_RSRC2:TGID_X_EN: 1
; COMPUTE_PGM_RSRC2:TGID_Y_EN: 0
; COMPUTE_PGM_RSRC2:TGID_Z_EN: 0
; COMPUTE_PGM_RSRC2:TIDIG_COMP_CNT: 0
	.section	.text._Z6kernelI14exclusive_scanILN6hipcub18BlockScanAlgorithmE0EEiLj256ELj8ELj100EEvPKT0_PS4_S4_,"axG",@progbits,_Z6kernelI14exclusive_scanILN6hipcub18BlockScanAlgorithmE0EEiLj256ELj8ELj100EEvPKT0_PS4_S4_,comdat
	.protected	_Z6kernelI14exclusive_scanILN6hipcub18BlockScanAlgorithmE0EEiLj256ELj8ELj100EEvPKT0_PS4_S4_ ; -- Begin function _Z6kernelI14exclusive_scanILN6hipcub18BlockScanAlgorithmE0EEiLj256ELj8ELj100EEvPKT0_PS4_S4_
	.globl	_Z6kernelI14exclusive_scanILN6hipcub18BlockScanAlgorithmE0EEiLj256ELj8ELj100EEvPKT0_PS4_S4_
	.p2align	8
	.type	_Z6kernelI14exclusive_scanILN6hipcub18BlockScanAlgorithmE0EEiLj256ELj8ELj100EEvPKT0_PS4_S4_,@function
_Z6kernelI14exclusive_scanILN6hipcub18BlockScanAlgorithmE0EEiLj256ELj8ELj100EEvPKT0_PS4_S4_: ; @_Z6kernelI14exclusive_scanILN6hipcub18BlockScanAlgorithmE0EEiLj256ELj8ELj100EEvPKT0_PS4_S4_
; %bb.0:
	s_clause 0x1
	s_load_b32 s2, s[0:1], 0x24
	s_load_b128 s[16:19], s[0:1], 0x0
	v_mbcnt_lo_u32_b32 v9, -1, 0
	v_mov_b32_e32 v2, 0
	s_load_b32 s12, s[0:1], 0x10
	v_or_b32_e32 v13, 31, v0
	v_cmp_gt_u32_e64 s5, 8, v0
	v_and_b32_e32 v11, 16, v9
	v_add_nc_u32_e32 v12, -1, v9
	v_and_b32_e32 v10, 15, v9
	v_cmp_lt_u32_e64 s6, 31, v0
	v_cmp_eq_u32_e64 s7, 0, v9
	v_cmp_eq_u32_e64 s3, 0, v11
	v_cmp_gt_i32_e64 s4, 0, v12
	v_cmp_lt_u32_e64 s0, 1, v10
	v_cmp_lt_u32_e64 s1, 3, v10
	v_lshrrev_b32_e32 v11, 3, v0
	v_cmp_eq_u32_e64 s8, 0, v0
	s_movk_i32 s13, 0x64
	s_waitcnt lgkmcnt(0)
	s_and_b32 s2, s2, 0xffff
	v_and_b32_e32 v19, 28, v11
	s_mul_i32 s15, s15, s2
	v_cmp_lt_u32_e64 s2, 7, v10
	v_add_lshl_u32 v1, s15, v0, 3
	s_delay_alu instid0(VALU_DEP_3) | instskip(NEXT) | instid1(VALU_DEP_2)
	v_add_nc_u32_e32 v20, -4, v19
	v_lshlrev_b64 v[17:18], 2, v[1:2]
	s_delay_alu instid0(VALU_DEP_1) | instskip(NEXT) | instid1(VALU_DEP_2)
	v_add_co_u32 v1, vcc_lo, s16, v17
	v_add_co_ci_u32_e32 v2, vcc_lo, s17, v18, vcc_lo
	v_cmp_eq_u32_e32 vcc_lo, 0, v10
	v_cndmask_b32_e64 v10, v12, v9, s4
	v_cmp_eq_u32_e64 s4, v13, v0
	s_clause 0x1
	global_load_b128 v[5:8], v[1:2], off
	global_load_b128 v[1:4], v[1:2], off offset:16
	v_lshlrev_b32_e32 v0, 2, v0
	v_lshlrev_b32_e32 v12, 2, v10
	v_and_b32_e32 v10, 7, v9
	s_delay_alu instid0(VALU_DEP_1)
	v_cmp_eq_u32_e64 s9, 0, v10
	v_cmp_lt_u32_e64 s10, 1, v10
	v_cmp_lt_u32_e64 s11, 3, v10
.LBB189_1:                              ; =>This Inner Loop Header: Depth=1
	s_waitcnt vmcnt(1)
	v_add_nc_u32_e32 v9, v6, v5
	s_delay_alu instid0(VALU_DEP_1) | instskip(SKIP_1) | instid1(VALU_DEP_1)
	v_add3_u32 v9, v9, v7, v8
	s_waitcnt vmcnt(0)
	v_add3_u32 v9, v9, v1, v2
	s_delay_alu instid0(VALU_DEP_1) | instskip(NEXT) | instid1(VALU_DEP_1)
	v_add3_u32 v4, v9, v3, v4
	v_mov_b32_dpp v9, v4 row_shr:1 row_mask:0xf bank_mask:0xf
	s_delay_alu instid0(VALU_DEP_1) | instskip(NEXT) | instid1(VALU_DEP_1)
	v_cndmask_b32_e64 v9, v9, 0, vcc_lo
	v_add_nc_u32_e32 v4, v4, v9
	s_delay_alu instid0(VALU_DEP_1) | instskip(NEXT) | instid1(VALU_DEP_1)
	v_mov_b32_dpp v9, v4 row_shr:2 row_mask:0xf bank_mask:0xf
	v_cndmask_b32_e64 v9, 0, v9, s0
	s_delay_alu instid0(VALU_DEP_1) | instskip(NEXT) | instid1(VALU_DEP_1)
	v_add_nc_u32_e32 v4, v4, v9
	v_mov_b32_dpp v9, v4 row_shr:4 row_mask:0xf bank_mask:0xf
	s_delay_alu instid0(VALU_DEP_1) | instskip(NEXT) | instid1(VALU_DEP_1)
	v_cndmask_b32_e64 v9, 0, v9, s1
	v_add_nc_u32_e32 v4, v4, v9
	s_delay_alu instid0(VALU_DEP_1) | instskip(NEXT) | instid1(VALU_DEP_1)
	v_mov_b32_dpp v9, v4 row_shr:8 row_mask:0xf bank_mask:0xf
	v_cndmask_b32_e64 v9, 0, v9, s2
	s_delay_alu instid0(VALU_DEP_1) | instskip(SKIP_3) | instid1(VALU_DEP_1)
	v_add_nc_u32_e32 v4, v4, v9
	ds_swizzle_b32 v9, v4 offset:swizzle(BROADCAST,32,15)
	s_waitcnt lgkmcnt(0)
	v_cndmask_b32_e64 v9, v9, 0, s3
	v_add_nc_u32_e32 v4, v4, v9
	s_and_saveexec_b32 s14, s4
	s_cbranch_execz .LBB189_3
; %bb.2:                                ;   in Loop: Header=BB189_1 Depth=1
	ds_store_b32 v19, v4
.LBB189_3:                              ;   in Loop: Header=BB189_1 Depth=1
	s_or_b32 exec_lo, exec_lo, s14
	s_waitcnt lgkmcnt(0)
	s_barrier
	buffer_gl0_inv
	s_and_saveexec_b32 s14, s5
	s_cbranch_execz .LBB189_5
; %bb.4:                                ;   in Loop: Header=BB189_1 Depth=1
	ds_load_b32 v9, v0
	s_waitcnt lgkmcnt(0)
	v_mov_b32_dpp v10, v9 row_shr:1 row_mask:0xf bank_mask:0xf
	s_delay_alu instid0(VALU_DEP_1) | instskip(NEXT) | instid1(VALU_DEP_1)
	v_cndmask_b32_e64 v10, v10, 0, s9
	v_add_nc_u32_e32 v9, v10, v9
	s_delay_alu instid0(VALU_DEP_1) | instskip(NEXT) | instid1(VALU_DEP_1)
	v_mov_b32_dpp v10, v9 row_shr:2 row_mask:0xf bank_mask:0xf
	v_cndmask_b32_e64 v10, 0, v10, s10
	s_delay_alu instid0(VALU_DEP_1) | instskip(NEXT) | instid1(VALU_DEP_1)
	v_add_nc_u32_e32 v9, v9, v10
	v_mov_b32_dpp v10, v9 row_shr:4 row_mask:0xf bank_mask:0xf
	s_delay_alu instid0(VALU_DEP_1) | instskip(NEXT) | instid1(VALU_DEP_1)
	v_cndmask_b32_e64 v10, 0, v10, s11
	v_add_nc_u32_e32 v9, v9, v10
	ds_store_b32 v0, v9
.LBB189_5:                              ;   in Loop: Header=BB189_1 Depth=1
	s_or_b32 exec_lo, exec_lo, s14
	v_mov_b32_e32 v9, s12
	s_waitcnt lgkmcnt(0)
	s_barrier
	buffer_gl0_inv
	s_and_saveexec_b32 s14, s6
	s_cbranch_execz .LBB189_7
; %bb.6:                                ;   in Loop: Header=BB189_1 Depth=1
	ds_load_b32 v9, v20
	s_waitcnt lgkmcnt(0)
	v_add_nc_u32_e32 v9, s12, v9
.LBB189_7:                              ;   in Loop: Header=BB189_1 Depth=1
	s_or_b32 exec_lo, exec_lo, s14
	s_delay_alu instid0(VALU_DEP_1) | instskip(SKIP_1) | instid1(SALU_CYCLE_1)
	v_add_nc_u32_e32 v4, v9, v4
	s_add_i32 s13, s13, -1
	s_cmp_lg_u32 s13, 0
	ds_bpermute_b32 v4, v12, v4
	s_waitcnt lgkmcnt(0)
	v_cndmask_b32_e64 v4, v4, v9, s7
	s_delay_alu instid0(VALU_DEP_1) | instskip(NEXT) | instid1(VALU_DEP_1)
	v_cndmask_b32_e64 v13, v4, s12, s8
	v_add_nc_u32_e32 v14, v13, v5
	s_delay_alu instid0(VALU_DEP_1) | instskip(NEXT) | instid1(VALU_DEP_1)
	v_add_nc_u32_e32 v15, v14, v6
	v_add_nc_u32_e32 v16, v15, v7
	s_delay_alu instid0(VALU_DEP_1) | instskip(NEXT) | instid1(VALU_DEP_1)
	v_add_nc_u32_e32 v9, v16, v8
	;; [unrolled: 3-line block ×3, first 2 shown]
	v_add_nc_u32_e32 v4, v11, v3
	s_cbranch_scc0 .LBB189_9
; %bb.8:                                ;   in Loop: Header=BB189_1 Depth=1
	v_dual_mov_b32 v5, v13 :: v_dual_mov_b32 v6, v14
	v_dual_mov_b32 v7, v15 :: v_dual_mov_b32 v8, v16
	;; [unrolled: 1-line block ×3, first 2 shown]
	v_mov_b32_e32 v3, v11
	s_branch .LBB189_1
.LBB189_9:
	v_add_co_u32 v0, vcc_lo, s18, v17
	v_add_co_ci_u32_e32 v1, vcc_lo, s19, v18, vcc_lo
	s_delay_alu instid0(VALU_DEP_3)
	v_mov_b32_e32 v12, v4
	s_clause 0x1
	global_store_b128 v[0:1], v[13:16], off
	global_store_b128 v[0:1], v[9:12], off offset:16
	s_nop 0
	s_sendmsg sendmsg(MSG_DEALLOC_VGPRS)
	s_endpgm
	.section	.rodata,"a",@progbits
	.p2align	6, 0x0
	.amdhsa_kernel _Z6kernelI14exclusive_scanILN6hipcub18BlockScanAlgorithmE0EEiLj256ELj8ELj100EEvPKT0_PS4_S4_
		.amdhsa_group_segment_fixed_size 32
		.amdhsa_private_segment_fixed_size 0
		.amdhsa_kernarg_size 280
		.amdhsa_user_sgpr_count 15
		.amdhsa_user_sgpr_dispatch_ptr 0
		.amdhsa_user_sgpr_queue_ptr 0
		.amdhsa_user_sgpr_kernarg_segment_ptr 1
		.amdhsa_user_sgpr_dispatch_id 0
		.amdhsa_user_sgpr_private_segment_size 0
		.amdhsa_wavefront_size32 1
		.amdhsa_uses_dynamic_stack 0
		.amdhsa_enable_private_segment 0
		.amdhsa_system_sgpr_workgroup_id_x 1
		.amdhsa_system_sgpr_workgroup_id_y 0
		.amdhsa_system_sgpr_workgroup_id_z 0
		.amdhsa_system_sgpr_workgroup_info 0
		.amdhsa_system_vgpr_workitem_id 0
		.amdhsa_next_free_vgpr 21
		.amdhsa_next_free_sgpr 20
		.amdhsa_reserve_vcc 1
		.amdhsa_float_round_mode_32 0
		.amdhsa_float_round_mode_16_64 0
		.amdhsa_float_denorm_mode_32 3
		.amdhsa_float_denorm_mode_16_64 3
		.amdhsa_dx10_clamp 1
		.amdhsa_ieee_mode 1
		.amdhsa_fp16_overflow 0
		.amdhsa_workgroup_processor_mode 1
		.amdhsa_memory_ordered 1
		.amdhsa_forward_progress 0
		.amdhsa_shared_vgpr_count 0
		.amdhsa_exception_fp_ieee_invalid_op 0
		.amdhsa_exception_fp_denorm_src 0
		.amdhsa_exception_fp_ieee_div_zero 0
		.amdhsa_exception_fp_ieee_overflow 0
		.amdhsa_exception_fp_ieee_underflow 0
		.amdhsa_exception_fp_ieee_inexact 0
		.amdhsa_exception_int_div_zero 0
	.end_amdhsa_kernel
	.section	.text._Z6kernelI14exclusive_scanILN6hipcub18BlockScanAlgorithmE0EEiLj256ELj8ELj100EEvPKT0_PS4_S4_,"axG",@progbits,_Z6kernelI14exclusive_scanILN6hipcub18BlockScanAlgorithmE0EEiLj256ELj8ELj100EEvPKT0_PS4_S4_,comdat
.Lfunc_end189:
	.size	_Z6kernelI14exclusive_scanILN6hipcub18BlockScanAlgorithmE0EEiLj256ELj8ELj100EEvPKT0_PS4_S4_, .Lfunc_end189-_Z6kernelI14exclusive_scanILN6hipcub18BlockScanAlgorithmE0EEiLj256ELj8ELj100EEvPKT0_PS4_S4_
                                        ; -- End function
	.section	.AMDGPU.csdata,"",@progbits
; Kernel info:
; codeLenInByte = 816
; NumSgprs: 22
; NumVgprs: 21
; ScratchSize: 0
; MemoryBound: 0
; FloatMode: 240
; IeeeMode: 1
; LDSByteSize: 32 bytes/workgroup (compile time only)
; SGPRBlocks: 2
; VGPRBlocks: 2
; NumSGPRsForWavesPerEU: 22
; NumVGPRsForWavesPerEU: 21
; Occupancy: 16
; WaveLimiterHint : 0
; COMPUTE_PGM_RSRC2:SCRATCH_EN: 0
; COMPUTE_PGM_RSRC2:USER_SGPR: 15
; COMPUTE_PGM_RSRC2:TRAP_HANDLER: 0
; COMPUTE_PGM_RSRC2:TGID_X_EN: 1
; COMPUTE_PGM_RSRC2:TGID_Y_EN: 0
; COMPUTE_PGM_RSRC2:TGID_Z_EN: 0
; COMPUTE_PGM_RSRC2:TIDIG_COMP_CNT: 0
	.section	.text._Z6kernelI14exclusive_scanILN6hipcub18BlockScanAlgorithmE0EEiLj256ELj11ELj100EEvPKT0_PS4_S4_,"axG",@progbits,_Z6kernelI14exclusive_scanILN6hipcub18BlockScanAlgorithmE0EEiLj256ELj11ELj100EEvPKT0_PS4_S4_,comdat
	.protected	_Z6kernelI14exclusive_scanILN6hipcub18BlockScanAlgorithmE0EEiLj256ELj11ELj100EEvPKT0_PS4_S4_ ; -- Begin function _Z6kernelI14exclusive_scanILN6hipcub18BlockScanAlgorithmE0EEiLj256ELj11ELj100EEvPKT0_PS4_S4_
	.globl	_Z6kernelI14exclusive_scanILN6hipcub18BlockScanAlgorithmE0EEiLj256ELj11ELj100EEvPKT0_PS4_S4_
	.p2align	8
	.type	_Z6kernelI14exclusive_scanILN6hipcub18BlockScanAlgorithmE0EEiLj256ELj11ELj100EEvPKT0_PS4_S4_,@function
_Z6kernelI14exclusive_scanILN6hipcub18BlockScanAlgorithmE0EEiLj256ELj11ELj100EEvPKT0_PS4_S4_: ; @_Z6kernelI14exclusive_scanILN6hipcub18BlockScanAlgorithmE0EEiLj256ELj11ELj100EEvPKT0_PS4_S4_
; %bb.0:
	s_load_b32 s2, s[0:1], 0x24
	v_cmp_gt_u32_e64 s5, 8, v0
	v_cmp_lt_u32_e64 s6, 31, v0
	v_cmp_eq_u32_e64 s8, 0, v0
	s_waitcnt lgkmcnt(0)
	s_and_b32 s2, s2, 0xffff
	s_delay_alu instid0(SALU_CYCLE_1) | instskip(SKIP_3) | instid1(VALU_DEP_1)
	v_mad_u64_u32 v[1:2], null, s15, s2, v[0:1]
	s_clause 0x1
	s_load_b128 s[12:15], s[0:1], 0x0
	s_load_b32 s16, s[0:1], 0x10
	v_mul_lo_u32 v21, v1, 11
	s_delay_alu instid0(VALU_DEP_1) | instskip(NEXT) | instid1(VALU_DEP_1)
	v_dual_mov_b32 v22, 0 :: v_dual_add_nc_u32 v1, 1, v21
	v_dual_mov_b32 v2, v22 :: v_dual_add_nc_u32 v3, 2, v21
	v_lshlrev_b64 v[15:16], 2, v[21:22]
	v_dual_mov_b32 v4, v22 :: v_dual_add_nc_u32 v5, 3, v21
	s_delay_alu instid0(VALU_DEP_3) | instskip(SKIP_1) | instid1(VALU_DEP_3)
	v_lshlrev_b64 v[17:18], 2, v[1:2]
	v_dual_mov_b32 v6, v22 :: v_dual_add_nc_u32 v7, 4, v21
	v_lshlrev_b64 v[13:14], 2, v[3:4]
	s_waitcnt lgkmcnt(0)
	v_add_co_u32 v25, vcc_lo, s12, v15
	v_dual_mov_b32 v8, v22 :: v_dual_add_nc_u32 v11, 5, v21
	v_add_co_ci_u32_e32 v26, vcc_lo, s13, v16, vcc_lo
	v_lshlrev_b64 v[9:10], 2, v[5:6]
	v_add_co_u32 v27, vcc_lo, s12, v17
	v_dual_mov_b32 v12, v22 :: v_dual_add_nc_u32 v19, 6, v21
	v_add_co_ci_u32_e32 v28, vcc_lo, s13, v18, vcc_lo
	v_lshlrev_b64 v[5:6], 2, v[7:8]
	;; [unrolled: 4-line block ×4, first 2 shown]
	v_add_co_u32 v35, vcc_lo, s12, v5
	v_add_co_ci_u32_e32 v36, vcc_lo, s13, v6, vcc_lo
	v_add_co_u32 v37, vcc_lo, s12, v3
	v_lshlrev_b64 v[7:8], 2, v[23:24]
	v_add_nc_u32_e32 v19, 9, v21
	v_add_co_ci_u32_e32 v38, vcc_lo, s13, v4, vcc_lo
	v_add_co_u32 v23, vcc_lo, s12, v1
	v_lshlrev_b64 v[11:12], 2, v[11:12]
	v_add_nc_u32_e32 v21, 10, v21
	v_add_co_ci_u32_e32 v24, vcc_lo, s13, v2, vcc_lo
	v_add_co_u32 v39, vcc_lo, s12, v7
	v_lshlrev_b64 v[19:20], 2, v[19:20]
	v_add_co_ci_u32_e32 v40, vcc_lo, s13, v8, vcc_lo
	v_add_co_u32 v41, vcc_lo, s12, v11
	v_lshlrev_b64 v[21:22], 2, v[21:22]
	v_add_co_ci_u32_e32 v42, vcc_lo, s13, v12, vcc_lo
	v_add_co_u32 v43, vcc_lo, s12, v19
	v_add_co_ci_u32_e32 v44, vcc_lo, s13, v20, vcc_lo
	s_delay_alu instid0(VALU_DEP_4)
	v_add_co_u32 v45, vcc_lo, s12, v21
	v_add_co_ci_u32_e32 v46, vcc_lo, s13, v22, vcc_lo
	s_clause 0xa
	global_load_b32 v32, v[25:26], off
	global_load_b32 v31, v[27:28], off
	;; [unrolled: 1-line block ×11, first 2 shown]
	v_mbcnt_lo_u32_b32 v35, -1, 0
	v_or_b32_e32 v38, 31, v0
	s_movk_i32 s12, 0x64
	s_delay_alu instid0(VALU_DEP_2) | instskip(SKIP_3) | instid1(VALU_DEP_4)
	v_and_b32_e32 v36, 16, v35
	v_add_nc_u32_e32 v37, -1, v35
	v_and_b32_e32 v34, 15, v35
	v_cmp_eq_u32_e64 s7, 0, v35
	v_cmp_eq_u32_e64 s3, 0, v36
	s_delay_alu instid0(VALU_DEP_4)
	v_cmp_gt_i32_e64 s4, 0, v37
	v_lshrrev_b32_e32 v36, 3, v0
	v_cmp_eq_u32_e32 vcc_lo, 0, v34
	v_cmp_lt_u32_e64 s0, 1, v34
	v_cmp_lt_u32_e64 s1, 3, v34
	;; [unrolled: 1-line block ×3, first 2 shown]
	v_cndmask_b32_e64 v34, v37, v35, s4
	v_and_b32_e32 v37, 7, v35
	v_and_b32_e32 v35, 28, v36
	v_cmp_eq_u32_e64 s4, v38, v0
	v_lshlrev_b32_e32 v0, 2, v0
	v_lshlrev_b32_e32 v34, 2, v34
	v_cmp_eq_u32_e64 s9, 0, v37
	v_cmp_lt_u32_e64 s10, 1, v37
	v_cmp_lt_u32_e64 s11, 3, v37
	v_add_nc_u32_e32 v36, -4, v35
.LBB190_1:                              ; =>This Inner Loop Header: Depth=1
	s_waitcnt vmcnt(0)
	v_add3_u32 v33, v23, v33, v24
	s_delay_alu instid0(VALU_DEP_1) | instskip(NEXT) | instid1(VALU_DEP_1)
	v_add3_u32 v33, v33, v25, v26
	v_add3_u32 v33, v33, v27, v28
	s_delay_alu instid0(VALU_DEP_1) | instskip(NEXT) | instid1(VALU_DEP_1)
	v_add3_u32 v33, v33, v29, v30
	v_add3_u32 v33, v33, v31, v32
	s_delay_alu instid0(VALU_DEP_1) | instskip(NEXT) | instid1(VALU_DEP_1)
	v_mov_b32_dpp v37, v33 row_shr:1 row_mask:0xf bank_mask:0xf
	v_cndmask_b32_e64 v37, v37, 0, vcc_lo
	s_delay_alu instid0(VALU_DEP_1) | instskip(NEXT) | instid1(VALU_DEP_1)
	v_add_nc_u32_e32 v33, v33, v37
	v_mov_b32_dpp v37, v33 row_shr:2 row_mask:0xf bank_mask:0xf
	s_delay_alu instid0(VALU_DEP_1) | instskip(NEXT) | instid1(VALU_DEP_1)
	v_cndmask_b32_e64 v37, 0, v37, s0
	v_add_nc_u32_e32 v33, v33, v37
	s_delay_alu instid0(VALU_DEP_1) | instskip(NEXT) | instid1(VALU_DEP_1)
	v_mov_b32_dpp v37, v33 row_shr:4 row_mask:0xf bank_mask:0xf
	v_cndmask_b32_e64 v37, 0, v37, s1
	s_delay_alu instid0(VALU_DEP_1) | instskip(NEXT) | instid1(VALU_DEP_1)
	v_add_nc_u32_e32 v33, v33, v37
	v_mov_b32_dpp v37, v33 row_shr:8 row_mask:0xf bank_mask:0xf
	s_delay_alu instid0(VALU_DEP_1) | instskip(NEXT) | instid1(VALU_DEP_1)
	v_cndmask_b32_e64 v37, 0, v37, s2
	v_add_nc_u32_e32 v33, v33, v37
	ds_swizzle_b32 v37, v33 offset:swizzle(BROADCAST,32,15)
	s_waitcnt lgkmcnt(0)
	v_cndmask_b32_e64 v37, v37, 0, s3
	s_delay_alu instid0(VALU_DEP_1)
	v_add_nc_u32_e32 v33, v33, v37
	s_and_saveexec_b32 s13, s4
	s_cbranch_execz .LBB190_3
; %bb.2:                                ;   in Loop: Header=BB190_1 Depth=1
	ds_store_b32 v35, v33
.LBB190_3:                              ;   in Loop: Header=BB190_1 Depth=1
	s_or_b32 exec_lo, exec_lo, s13
	s_waitcnt lgkmcnt(0)
	s_barrier
	buffer_gl0_inv
	s_and_saveexec_b32 s13, s5
	s_cbranch_execz .LBB190_5
; %bb.4:                                ;   in Loop: Header=BB190_1 Depth=1
	ds_load_b32 v37, v0
	s_waitcnt lgkmcnt(0)
	v_mov_b32_dpp v38, v37 row_shr:1 row_mask:0xf bank_mask:0xf
	s_delay_alu instid0(VALU_DEP_1) | instskip(NEXT) | instid1(VALU_DEP_1)
	v_cndmask_b32_e64 v38, v38, 0, s9
	v_add_nc_u32_e32 v37, v38, v37
	s_delay_alu instid0(VALU_DEP_1) | instskip(NEXT) | instid1(VALU_DEP_1)
	v_mov_b32_dpp v38, v37 row_shr:2 row_mask:0xf bank_mask:0xf
	v_cndmask_b32_e64 v38, 0, v38, s10
	s_delay_alu instid0(VALU_DEP_1) | instskip(NEXT) | instid1(VALU_DEP_1)
	v_add_nc_u32_e32 v37, v37, v38
	v_mov_b32_dpp v38, v37 row_shr:4 row_mask:0xf bank_mask:0xf
	s_delay_alu instid0(VALU_DEP_1) | instskip(NEXT) | instid1(VALU_DEP_1)
	v_cndmask_b32_e64 v38, 0, v38, s11
	v_add_nc_u32_e32 v37, v37, v38
	ds_store_b32 v0, v37
.LBB190_5:                              ;   in Loop: Header=BB190_1 Depth=1
	s_or_b32 exec_lo, exec_lo, s13
	v_mov_b32_e32 v37, s16
	s_waitcnt lgkmcnt(0)
	s_barrier
	buffer_gl0_inv
	s_and_saveexec_b32 s13, s6
	s_cbranch_execz .LBB190_7
; %bb.6:                                ;   in Loop: Header=BB190_1 Depth=1
	ds_load_b32 v37, v36
	s_waitcnt lgkmcnt(0)
	v_add_nc_u32_e32 v37, s16, v37
.LBB190_7:                              ;   in Loop: Header=BB190_1 Depth=1
	s_or_b32 exec_lo, exec_lo, s13
	s_delay_alu instid0(VALU_DEP_1) | instskip(SKIP_1) | instid1(SALU_CYCLE_1)
	v_add_nc_u32_e32 v33, v37, v33
	s_add_i32 s12, s12, -1
	s_cmp_lg_u32 s12, 0
	ds_bpermute_b32 v33, v34, v33
	s_waitcnt lgkmcnt(0)
	v_cndmask_b32_e64 v33, v33, v37, s7
	s_delay_alu instid0(VALU_DEP_1) | instskip(NEXT) | instid1(VALU_DEP_1)
	v_cndmask_b32_e64 v37, v33, s16, s8
	v_add_nc_u32_e32 v32, v37, v32
	s_delay_alu instid0(VALU_DEP_1) | instskip(NEXT) | instid1(VALU_DEP_1)
	v_add_nc_u32_e32 v31, v32, v31
	v_add_nc_u32_e32 v30, v31, v30
	s_delay_alu instid0(VALU_DEP_1) | instskip(NEXT) | instid1(VALU_DEP_1)
	v_add_nc_u32_e32 v29, v30, v29
	;; [unrolled: 3-line block ×4, first 2 shown]
	v_add_nc_u32_e32 v24, v25, v24
	s_delay_alu instid0(VALU_DEP_1)
	v_add_nc_u32_e32 v33, v24, v23
	s_cbranch_scc0 .LBB190_9
; %bb.8:                                ;   in Loop: Header=BB190_1 Depth=1
	v_dual_mov_b32 v23, v24 :: v_dual_mov_b32 v24, v25
	v_dual_mov_b32 v25, v26 :: v_dual_mov_b32 v26, v27
	;; [unrolled: 1-line block ×5, first 2 shown]
	s_branch .LBB190_1
.LBB190_9:
	v_add_co_u32 v15, vcc_lo, s14, v15
	v_add_co_ci_u32_e32 v16, vcc_lo, s15, v16, vcc_lo
	v_add_co_u32 v17, vcc_lo, s14, v17
	v_add_co_ci_u32_e32 v18, vcc_lo, s15, v18, vcc_lo
	;; [unrolled: 2-line block ×11, first 2 shown]
	s_clause 0xa
	global_store_b32 v[15:16], v37, off
	global_store_b32 v[17:18], v32, off
	;; [unrolled: 1-line block ×11, first 2 shown]
	s_nop 0
	s_sendmsg sendmsg(MSG_DEALLOC_VGPRS)
	s_endpgm
	.section	.rodata,"a",@progbits
	.p2align	6, 0x0
	.amdhsa_kernel _Z6kernelI14exclusive_scanILN6hipcub18BlockScanAlgorithmE0EEiLj256ELj11ELj100EEvPKT0_PS4_S4_
		.amdhsa_group_segment_fixed_size 32
		.amdhsa_private_segment_fixed_size 0
		.amdhsa_kernarg_size 280
		.amdhsa_user_sgpr_count 15
		.amdhsa_user_sgpr_dispatch_ptr 0
		.amdhsa_user_sgpr_queue_ptr 0
		.amdhsa_user_sgpr_kernarg_segment_ptr 1
		.amdhsa_user_sgpr_dispatch_id 0
		.amdhsa_user_sgpr_private_segment_size 0
		.amdhsa_wavefront_size32 1
		.amdhsa_uses_dynamic_stack 0
		.amdhsa_enable_private_segment 0
		.amdhsa_system_sgpr_workgroup_id_x 1
		.amdhsa_system_sgpr_workgroup_id_y 0
		.amdhsa_system_sgpr_workgroup_id_z 0
		.amdhsa_system_sgpr_workgroup_info 0
		.amdhsa_system_vgpr_workitem_id 0
		.amdhsa_next_free_vgpr 47
		.amdhsa_next_free_sgpr 17
		.amdhsa_reserve_vcc 1
		.amdhsa_float_round_mode_32 0
		.amdhsa_float_round_mode_16_64 0
		.amdhsa_float_denorm_mode_32 3
		.amdhsa_float_denorm_mode_16_64 3
		.amdhsa_dx10_clamp 1
		.amdhsa_ieee_mode 1
		.amdhsa_fp16_overflow 0
		.amdhsa_workgroup_processor_mode 1
		.amdhsa_memory_ordered 1
		.amdhsa_forward_progress 0
		.amdhsa_shared_vgpr_count 0
		.amdhsa_exception_fp_ieee_invalid_op 0
		.amdhsa_exception_fp_denorm_src 0
		.amdhsa_exception_fp_ieee_div_zero 0
		.amdhsa_exception_fp_ieee_overflow 0
		.amdhsa_exception_fp_ieee_underflow 0
		.amdhsa_exception_fp_ieee_inexact 0
		.amdhsa_exception_int_div_zero 0
	.end_amdhsa_kernel
	.section	.text._Z6kernelI14exclusive_scanILN6hipcub18BlockScanAlgorithmE0EEiLj256ELj11ELj100EEvPKT0_PS4_S4_,"axG",@progbits,_Z6kernelI14exclusive_scanILN6hipcub18BlockScanAlgorithmE0EEiLj256ELj11ELj100EEvPKT0_PS4_S4_,comdat
.Lfunc_end190:
	.size	_Z6kernelI14exclusive_scanILN6hipcub18BlockScanAlgorithmE0EEiLj256ELj11ELj100EEvPKT0_PS4_S4_, .Lfunc_end190-_Z6kernelI14exclusive_scanILN6hipcub18BlockScanAlgorithmE0EEiLj256ELj11ELj100EEvPKT0_PS4_S4_
                                        ; -- End function
	.section	.AMDGPU.csdata,"",@progbits
; Kernel info:
; codeLenInByte = 1404
; NumSgprs: 19
; NumVgprs: 47
; ScratchSize: 0
; MemoryBound: 0
; FloatMode: 240
; IeeeMode: 1
; LDSByteSize: 32 bytes/workgroup (compile time only)
; SGPRBlocks: 2
; VGPRBlocks: 5
; NumSGPRsForWavesPerEU: 19
; NumVGPRsForWavesPerEU: 47
; Occupancy: 16
; WaveLimiterHint : 0
; COMPUTE_PGM_RSRC2:SCRATCH_EN: 0
; COMPUTE_PGM_RSRC2:USER_SGPR: 15
; COMPUTE_PGM_RSRC2:TRAP_HANDLER: 0
; COMPUTE_PGM_RSRC2:TGID_X_EN: 1
; COMPUTE_PGM_RSRC2:TGID_Y_EN: 0
; COMPUTE_PGM_RSRC2:TGID_Z_EN: 0
; COMPUTE_PGM_RSRC2:TIDIG_COMP_CNT: 0
	.section	.text._Z6kernelI14exclusive_scanILN6hipcub18BlockScanAlgorithmE0EEiLj256ELj16ELj100EEvPKT0_PS4_S4_,"axG",@progbits,_Z6kernelI14exclusive_scanILN6hipcub18BlockScanAlgorithmE0EEiLj256ELj16ELj100EEvPKT0_PS4_S4_,comdat
	.protected	_Z6kernelI14exclusive_scanILN6hipcub18BlockScanAlgorithmE0EEiLj256ELj16ELj100EEvPKT0_PS4_S4_ ; -- Begin function _Z6kernelI14exclusive_scanILN6hipcub18BlockScanAlgorithmE0EEiLj256ELj16ELj100EEvPKT0_PS4_S4_
	.globl	_Z6kernelI14exclusive_scanILN6hipcub18BlockScanAlgorithmE0EEiLj256ELj16ELj100EEvPKT0_PS4_S4_
	.p2align	8
	.type	_Z6kernelI14exclusive_scanILN6hipcub18BlockScanAlgorithmE0EEiLj256ELj16ELj100EEvPKT0_PS4_S4_,@function
_Z6kernelI14exclusive_scanILN6hipcub18BlockScanAlgorithmE0EEiLj256ELj16ELj100EEvPKT0_PS4_S4_: ; @_Z6kernelI14exclusive_scanILN6hipcub18BlockScanAlgorithmE0EEiLj256ELj16ELj100EEvPKT0_PS4_S4_
; %bb.0:
	s_clause 0x1
	s_load_b32 s2, s[0:1], 0x24
	s_load_b128 s[16:19], s[0:1], 0x0
	v_mbcnt_lo_u32_b32 v17, -1, 0
	v_mov_b32_e32 v2, 0
	s_load_b32 s12, s[0:1], 0x10
	v_or_b32_e32 v23, 31, v0
	v_cmp_gt_u32_e64 s5, 8, v0
	v_and_b32_e32 v19, 16, v17
	v_add_nc_u32_e32 v20, -1, v17
	v_and_b32_e32 v18, 15, v17
	v_cmp_lt_u32_e64 s6, 31, v0
	v_cmp_eq_u32_e64 s7, 0, v17
	v_cmp_eq_u32_e64 s3, 0, v19
	v_cmp_gt_i32_e64 s4, 0, v20
	v_cmp_lt_u32_e64 s0, 1, v18
	v_cmp_lt_u32_e64 s1, 3, v18
	v_lshrrev_b32_e32 v19, 3, v0
	v_cmp_eq_u32_e64 s8, 0, v0
	v_lshlrev_b32_e32 v25, 2, v0
	s_movk_i32 s13, 0x64
	s_waitcnt lgkmcnt(0)
	s_and_b32 s2, s2, 0xffff
	v_and_b32_e32 v24, 28, v19
	s_mul_i32 s15, s15, s2
	v_cmp_lt_u32_e64 s2, 7, v18
	v_add_lshl_u32 v1, s15, v0, 4
	s_delay_alu instid0(VALU_DEP_3) | instskip(NEXT) | instid1(VALU_DEP_2)
	v_add_nc_u32_e32 v26, -4, v24
	v_lshlrev_b64 v[21:22], 2, v[1:2]
	s_delay_alu instid0(VALU_DEP_1) | instskip(NEXT) | instid1(VALU_DEP_2)
	v_add_co_u32 v1, vcc_lo, s16, v21
	v_add_co_ci_u32_e32 v2, vcc_lo, s17, v22, vcc_lo
	v_cmp_eq_u32_e32 vcc_lo, 0, v18
	v_cndmask_b32_e64 v18, v20, v17, s4
	v_cmp_eq_u32_e64 s4, v23, v0
	s_clause 0x3
	global_load_b128 v[13:16], v[1:2], off
	global_load_b128 v[9:12], v[1:2], off offset:16
	global_load_b128 v[5:8], v[1:2], off offset:32
	;; [unrolled: 1-line block ×3, first 2 shown]
	v_lshlrev_b32_e32 v23, 2, v18
	v_and_b32_e32 v18, 7, v17
	s_delay_alu instid0(VALU_DEP_1)
	v_cmp_eq_u32_e64 s9, 0, v18
	v_cmp_lt_u32_e64 s10, 1, v18
	v_cmp_lt_u32_e64 s11, 3, v18
.LBB191_1:                              ; =>This Inner Loop Header: Depth=1
	s_waitcnt vmcnt(0)
	v_add_nc_u32_e32 v0, v3, v4
	s_delay_alu instid0(VALU_DEP_1) | instskip(NEXT) | instid1(VALU_DEP_1)
	v_add3_u32 v0, v0, v2, v1
	v_add3_u32 v0, v0, v8, v7
	s_delay_alu instid0(VALU_DEP_1) | instskip(NEXT) | instid1(VALU_DEP_1)
	v_add3_u32 v0, v0, v6, v5
	v_add3_u32 v0, v0, v12, v11
	;; [unrolled: 3-line block ×3, first 2 shown]
	s_delay_alu instid0(VALU_DEP_1) | instskip(NEXT) | instid1(VALU_DEP_1)
	v_add3_u32 v0, v0, v14, v13
	v_mov_b32_dpp v4, v0 row_shr:1 row_mask:0xf bank_mask:0xf
	s_delay_alu instid0(VALU_DEP_1) | instskip(NEXT) | instid1(VALU_DEP_1)
	v_cndmask_b32_e64 v4, v4, 0, vcc_lo
	v_add_nc_u32_e32 v0, v0, v4
	s_delay_alu instid0(VALU_DEP_1) | instskip(NEXT) | instid1(VALU_DEP_1)
	v_mov_b32_dpp v4, v0 row_shr:2 row_mask:0xf bank_mask:0xf
	v_cndmask_b32_e64 v4, 0, v4, s0
	s_delay_alu instid0(VALU_DEP_1) | instskip(NEXT) | instid1(VALU_DEP_1)
	v_add_nc_u32_e32 v0, v0, v4
	v_mov_b32_dpp v4, v0 row_shr:4 row_mask:0xf bank_mask:0xf
	s_delay_alu instid0(VALU_DEP_1) | instskip(NEXT) | instid1(VALU_DEP_1)
	v_cndmask_b32_e64 v4, 0, v4, s1
	v_add_nc_u32_e32 v0, v0, v4
	s_delay_alu instid0(VALU_DEP_1) | instskip(NEXT) | instid1(VALU_DEP_1)
	v_mov_b32_dpp v4, v0 row_shr:8 row_mask:0xf bank_mask:0xf
	v_cndmask_b32_e64 v4, 0, v4, s2
	s_delay_alu instid0(VALU_DEP_1) | instskip(SKIP_3) | instid1(VALU_DEP_1)
	v_add_nc_u32_e32 v0, v0, v4
	ds_swizzle_b32 v4, v0 offset:swizzle(BROADCAST,32,15)
	s_waitcnt lgkmcnt(0)
	v_cndmask_b32_e64 v4, v4, 0, s3
	v_add_nc_u32_e32 v0, v0, v4
	s_and_saveexec_b32 s14, s4
	s_cbranch_execz .LBB191_3
; %bb.2:                                ;   in Loop: Header=BB191_1 Depth=1
	ds_store_b32 v24, v0
.LBB191_3:                              ;   in Loop: Header=BB191_1 Depth=1
	s_or_b32 exec_lo, exec_lo, s14
	s_waitcnt lgkmcnt(0)
	s_barrier
	buffer_gl0_inv
	s_and_saveexec_b32 s14, s5
	s_cbranch_execz .LBB191_5
; %bb.4:                                ;   in Loop: Header=BB191_1 Depth=1
	ds_load_b32 v4, v25
	s_waitcnt lgkmcnt(0)
	v_mov_b32_dpp v17, v4 row_shr:1 row_mask:0xf bank_mask:0xf
	s_delay_alu instid0(VALU_DEP_1) | instskip(NEXT) | instid1(VALU_DEP_1)
	v_cndmask_b32_e64 v17, v17, 0, s9
	v_add_nc_u32_e32 v4, v17, v4
	s_delay_alu instid0(VALU_DEP_1) | instskip(NEXT) | instid1(VALU_DEP_1)
	v_mov_b32_dpp v17, v4 row_shr:2 row_mask:0xf bank_mask:0xf
	v_cndmask_b32_e64 v17, 0, v17, s10
	s_delay_alu instid0(VALU_DEP_1) | instskip(NEXT) | instid1(VALU_DEP_1)
	v_add_nc_u32_e32 v4, v4, v17
	v_mov_b32_dpp v17, v4 row_shr:4 row_mask:0xf bank_mask:0xf
	s_delay_alu instid0(VALU_DEP_1) | instskip(NEXT) | instid1(VALU_DEP_1)
	v_cndmask_b32_e64 v17, 0, v17, s11
	v_add_nc_u32_e32 v4, v4, v17
	ds_store_b32 v25, v4
.LBB191_5:                              ;   in Loop: Header=BB191_1 Depth=1
	s_or_b32 exec_lo, exec_lo, s14
	v_mov_b32_e32 v4, s12
	s_waitcnt lgkmcnt(0)
	s_barrier
	buffer_gl0_inv
	s_and_saveexec_b32 s14, s6
	s_cbranch_execz .LBB191_7
; %bb.6:                                ;   in Loop: Header=BB191_1 Depth=1
	ds_load_b32 v4, v26
	s_waitcnt lgkmcnt(0)
	v_add_nc_u32_e32 v4, s12, v4
.LBB191_7:                              ;   in Loop: Header=BB191_1 Depth=1
	s_or_b32 exec_lo, exec_lo, s14
	s_delay_alu instid0(VALU_DEP_1) | instskip(SKIP_1) | instid1(SALU_CYCLE_1)
	v_add_nc_u32_e32 v0, v4, v0
	s_add_i32 s13, s13, -1
	s_cmp_lg_u32 s13, 0
	ds_bpermute_b32 v0, v23, v0
	s_waitcnt lgkmcnt(0)
	v_cndmask_b32_e64 v0, v0, v4, s7
	s_delay_alu instid0(VALU_DEP_1) | instskip(NEXT) | instid1(VALU_DEP_1)
	v_cndmask_b32_e64 v17, v0, s12, s8
	v_add_nc_u32_e32 v18, v17, v13
	s_delay_alu instid0(VALU_DEP_1) | instskip(NEXT) | instid1(VALU_DEP_1)
	v_add_nc_u32_e32 v19, v18, v14
	v_add_nc_u32_e32 v20, v19, v15
	s_delay_alu instid0(VALU_DEP_1) | instskip(NEXT) | instid1(VALU_DEP_1)
	v_add_nc_u32_e32 v13, v20, v16
	;; [unrolled: 3-line block ×7, first 2 shown]
	v_add_nc_u32_e32 v4, v2, v3
	s_cbranch_scc0 .LBB191_9
; %bb.8:                                ;   in Loop: Header=BB191_1 Depth=1
	v_dual_mov_b32 v3, v2 :: v_dual_mov_b32 v2, v1
	v_dual_mov_b32 v1, v0 :: v_dual_mov_b32 v6, v10
	;; [unrolled: 1-line block ×7, first 2 shown]
	v_mov_b32_e32 v13, v17
	s_branch .LBB191_1
.LBB191_9:
	v_add_co_u32 v5, vcc_lo, s18, v21
	v_add_co_ci_u32_e32 v6, vcc_lo, s19, v22, vcc_lo
	s_delay_alu instid0(VALU_DEP_3)
	v_mov_b32_e32 v3, v4
	s_clause 0x3
	global_store_b128 v[5:6], v[17:20], off
	global_store_b128 v[5:6], v[13:16], off offset:16
	global_store_b128 v[5:6], v[9:12], off offset:32
	;; [unrolled: 1-line block ×3, first 2 shown]
	s_nop 0
	s_sendmsg sendmsg(MSG_DEALLOC_VGPRS)
	s_endpgm
	.section	.rodata,"a",@progbits
	.p2align	6, 0x0
	.amdhsa_kernel _Z6kernelI14exclusive_scanILN6hipcub18BlockScanAlgorithmE0EEiLj256ELj16ELj100EEvPKT0_PS4_S4_
		.amdhsa_group_segment_fixed_size 32
		.amdhsa_private_segment_fixed_size 0
		.amdhsa_kernarg_size 280
		.amdhsa_user_sgpr_count 15
		.amdhsa_user_sgpr_dispatch_ptr 0
		.amdhsa_user_sgpr_queue_ptr 0
		.amdhsa_user_sgpr_kernarg_segment_ptr 1
		.amdhsa_user_sgpr_dispatch_id 0
		.amdhsa_user_sgpr_private_segment_size 0
		.amdhsa_wavefront_size32 1
		.amdhsa_uses_dynamic_stack 0
		.amdhsa_enable_private_segment 0
		.amdhsa_system_sgpr_workgroup_id_x 1
		.amdhsa_system_sgpr_workgroup_id_y 0
		.amdhsa_system_sgpr_workgroup_id_z 0
		.amdhsa_system_sgpr_workgroup_info 0
		.amdhsa_system_vgpr_workitem_id 0
		.amdhsa_next_free_vgpr 27
		.amdhsa_next_free_sgpr 20
		.amdhsa_reserve_vcc 1
		.amdhsa_float_round_mode_32 0
		.amdhsa_float_round_mode_16_64 0
		.amdhsa_float_denorm_mode_32 3
		.amdhsa_float_denorm_mode_16_64 3
		.amdhsa_dx10_clamp 1
		.amdhsa_ieee_mode 1
		.amdhsa_fp16_overflow 0
		.amdhsa_workgroup_processor_mode 1
		.amdhsa_memory_ordered 1
		.amdhsa_forward_progress 0
		.amdhsa_shared_vgpr_count 0
		.amdhsa_exception_fp_ieee_invalid_op 0
		.amdhsa_exception_fp_denorm_src 0
		.amdhsa_exception_fp_ieee_div_zero 0
		.amdhsa_exception_fp_ieee_overflow 0
		.amdhsa_exception_fp_ieee_underflow 0
		.amdhsa_exception_fp_ieee_inexact 0
		.amdhsa_exception_int_div_zero 0
	.end_amdhsa_kernel
	.section	.text._Z6kernelI14exclusive_scanILN6hipcub18BlockScanAlgorithmE0EEiLj256ELj16ELj100EEvPKT0_PS4_S4_,"axG",@progbits,_Z6kernelI14exclusive_scanILN6hipcub18BlockScanAlgorithmE0EEiLj256ELj16ELj100EEvPKT0_PS4_S4_,comdat
.Lfunc_end191:
	.size	_Z6kernelI14exclusive_scanILN6hipcub18BlockScanAlgorithmE0EEiLj256ELj16ELj100EEvPKT0_PS4_S4_, .Lfunc_end191-_Z6kernelI14exclusive_scanILN6hipcub18BlockScanAlgorithmE0EEiLj256ELj16ELj100EEvPKT0_PS4_S4_
                                        ; -- End function
	.section	.AMDGPU.csdata,"",@progbits
; Kernel info:
; codeLenInByte = 964
; NumSgprs: 22
; NumVgprs: 27
; ScratchSize: 0
; MemoryBound: 0
; FloatMode: 240
; IeeeMode: 1
; LDSByteSize: 32 bytes/workgroup (compile time only)
; SGPRBlocks: 2
; VGPRBlocks: 3
; NumSGPRsForWavesPerEU: 22
; NumVGPRsForWavesPerEU: 27
; Occupancy: 16
; WaveLimiterHint : 0
; COMPUTE_PGM_RSRC2:SCRATCH_EN: 0
; COMPUTE_PGM_RSRC2:USER_SGPR: 15
; COMPUTE_PGM_RSRC2:TRAP_HANDLER: 0
; COMPUTE_PGM_RSRC2:TGID_X_EN: 1
; COMPUTE_PGM_RSRC2:TGID_Y_EN: 0
; COMPUTE_PGM_RSRC2:TGID_Z_EN: 0
; COMPUTE_PGM_RSRC2:TIDIG_COMP_CNT: 0
	.section	.text._Z6kernelI14exclusive_scanILN6hipcub18BlockScanAlgorithmE0EEfLj256ELj1ELj100EEvPKT0_PS4_S4_,"axG",@progbits,_Z6kernelI14exclusive_scanILN6hipcub18BlockScanAlgorithmE0EEfLj256ELj1ELj100EEvPKT0_PS4_S4_,comdat
	.protected	_Z6kernelI14exclusive_scanILN6hipcub18BlockScanAlgorithmE0EEfLj256ELj1ELj100EEvPKT0_PS4_S4_ ; -- Begin function _Z6kernelI14exclusive_scanILN6hipcub18BlockScanAlgorithmE0EEfLj256ELj1ELj100EEvPKT0_PS4_S4_
	.globl	_Z6kernelI14exclusive_scanILN6hipcub18BlockScanAlgorithmE0EEfLj256ELj1ELj100EEvPKT0_PS4_S4_
	.p2align	8
	.type	_Z6kernelI14exclusive_scanILN6hipcub18BlockScanAlgorithmE0EEfLj256ELj1ELj100EEvPKT0_PS4_S4_,@function
_Z6kernelI14exclusive_scanILN6hipcub18BlockScanAlgorithmE0EEfLj256ELj1ELj100EEvPKT0_PS4_S4_: ; @_Z6kernelI14exclusive_scanILN6hipcub18BlockScanAlgorithmE0EEfLj256ELj1ELj100EEvPKT0_PS4_S4_
; %bb.0:
	s_clause 0x2
	s_load_b32 s2, s[0:1], 0x24
	s_load_b128 s[16:19], s[0:1], 0x0
	s_load_b32 s11, s[0:1], 0x10
	v_or_b32_e32 v7, 31, v0
	v_cmp_lt_u32_e64 s6, 31, v0
	s_movk_i32 s12, 0x64
	s_delay_alu instid0(VALU_DEP_2) | instskip(SKIP_2) | instid1(SALU_CYCLE_1)
	v_cmp_eq_u32_e64 s4, v7, v0
	s_waitcnt lgkmcnt(0)
	s_and_b32 s2, s2, 0xffff
	v_mad_u64_u32 v[1:2], null, s15, s2, v[0:1]
	v_mov_b32_e32 v2, 0
	s_delay_alu instid0(VALU_DEP_1) | instskip(NEXT) | instid1(VALU_DEP_1)
	v_lshlrev_b64 v[1:2], 2, v[1:2]
	v_add_co_u32 v3, vcc_lo, s16, v1
	s_delay_alu instid0(VALU_DEP_2) | instskip(SKIP_2) | instid1(VALU_DEP_1)
	v_add_co_ci_u32_e32 v4, vcc_lo, s17, v2, vcc_lo
	global_load_b32 v6, v[3:4], off
	v_mbcnt_lo_u32_b32 v4, -1, 0
	v_and_b32_e32 v3, 15, v4
	v_and_b32_e32 v5, 16, v4
	v_add_nc_u32_e32 v8, -1, v4
	v_and_b32_e32 v7, 7, v4
	v_cmp_eq_u32_e64 s7, 0, v4
	v_cmp_eq_u32_e32 vcc_lo, 0, v3
	v_cmp_eq_u32_e64 s3, 0, v5
	v_cmp_gt_i32_e64 s5, 0, v8
	v_lshrrev_b32_e32 v5, 3, v0
	v_cmp_lt_u32_e64 s0, 1, v3
	v_cmp_lt_u32_e64 s1, 3, v3
	;; [unrolled: 1-line block ×3, first 2 shown]
	v_cndmask_b32_e64 v3, v8, v4, s5
	v_and_b32_e32 v4, 28, v5
	v_cmp_gt_u32_e64 s5, 8, v0
	v_lshlrev_b32_e32 v0, 2, v0
	v_cmp_eq_u32_e64 s8, 0, v7
	v_lshlrev_b32_e32 v3, 2, v3
	v_cmp_lt_u32_e64 s9, 1, v7
	v_cmp_lt_u32_e64 s10, 3, v7
	v_add_nc_u32_e32 v5, -4, v4
	s_branch .LBB192_2
.LBB192_1:                              ;   in Loop: Header=BB192_2 Depth=1
	s_or_b32 exec_lo, exec_lo, s13
	s_delay_alu instid0(VALU_DEP_1) | instskip(SKIP_1) | instid1(SALU_CYCLE_1)
	v_add_f32_e32 v6, v6, v7
	s_add_i32 s12, s12, -1
	s_cmp_lg_u32 s12, 0
	ds_bpermute_b32 v6, v3, v6
	s_waitcnt lgkmcnt(0)
	v_cndmask_b32_e64 v6, v6, v7, s7
	s_cbranch_scc0 .LBB192_8
.LBB192_2:                              ; =>This Inner Loop Header: Depth=1
	s_waitcnt vmcnt(0)
	s_delay_alu instid0(VALU_DEP_1) | instskip(NEXT) | instid1(VALU_DEP_1)
	v_mov_b32_dpp v7, v6 row_shr:1 row_mask:0xf bank_mask:0xf
	v_add_f32_e32 v7, v6, v7
	s_delay_alu instid0(VALU_DEP_1) | instskip(NEXT) | instid1(VALU_DEP_1)
	v_cndmask_b32_e32 v6, v7, v6, vcc_lo
	v_mov_b32_dpp v7, v6 row_shr:2 row_mask:0xf bank_mask:0xf
	s_delay_alu instid0(VALU_DEP_1) | instskip(NEXT) | instid1(VALU_DEP_1)
	v_add_f32_e32 v7, v6, v7
	v_cndmask_b32_e64 v6, v6, v7, s0
	s_delay_alu instid0(VALU_DEP_1) | instskip(NEXT) | instid1(VALU_DEP_1)
	v_mov_b32_dpp v7, v6 row_shr:4 row_mask:0xf bank_mask:0xf
	v_add_f32_e32 v7, v6, v7
	s_delay_alu instid0(VALU_DEP_1) | instskip(NEXT) | instid1(VALU_DEP_1)
	v_cndmask_b32_e64 v6, v6, v7, s1
	v_mov_b32_dpp v7, v6 row_shr:8 row_mask:0xf bank_mask:0xf
	s_delay_alu instid0(VALU_DEP_1) | instskip(NEXT) | instid1(VALU_DEP_1)
	v_add_f32_e32 v7, v6, v7
	v_cndmask_b32_e64 v6, v6, v7, s2
	ds_swizzle_b32 v7, v6 offset:swizzle(BROADCAST,32,15)
	s_waitcnt lgkmcnt(0)
	v_add_f32_e32 v7, v6, v7
	s_delay_alu instid0(VALU_DEP_1)
	v_cndmask_b32_e64 v6, v7, v6, s3
	s_and_saveexec_b32 s13, s4
	s_cbranch_execz .LBB192_4
; %bb.3:                                ;   in Loop: Header=BB192_2 Depth=1
	ds_store_b32 v4, v6
.LBB192_4:                              ;   in Loop: Header=BB192_2 Depth=1
	s_or_b32 exec_lo, exec_lo, s13
	s_waitcnt lgkmcnt(0)
	s_barrier
	buffer_gl0_inv
	s_and_saveexec_b32 s13, s5
	s_cbranch_execz .LBB192_6
; %bb.5:                                ;   in Loop: Header=BB192_2 Depth=1
	ds_load_b32 v7, v0
	s_waitcnt lgkmcnt(0)
	v_mov_b32_dpp v8, v7 row_shr:1 row_mask:0xf bank_mask:0xf
	s_delay_alu instid0(VALU_DEP_1) | instskip(NEXT) | instid1(VALU_DEP_1)
	v_add_f32_e32 v8, v7, v8
	v_cndmask_b32_e64 v7, v8, v7, s8
	s_delay_alu instid0(VALU_DEP_1) | instskip(NEXT) | instid1(VALU_DEP_1)
	v_mov_b32_dpp v8, v7 row_shr:2 row_mask:0xf bank_mask:0xf
	v_add_f32_e32 v8, v7, v8
	s_delay_alu instid0(VALU_DEP_1) | instskip(NEXT) | instid1(VALU_DEP_1)
	v_cndmask_b32_e64 v7, v7, v8, s9
	v_mov_b32_dpp v8, v7 row_shr:4 row_mask:0xf bank_mask:0xf
	s_delay_alu instid0(VALU_DEP_1) | instskip(NEXT) | instid1(VALU_DEP_1)
	v_add_f32_e32 v8, v7, v8
	v_cndmask_b32_e64 v7, v7, v8, s10
	ds_store_b32 v0, v7
.LBB192_6:                              ;   in Loop: Header=BB192_2 Depth=1
	s_or_b32 exec_lo, exec_lo, s13
	v_mov_b32_e32 v7, s11
	s_waitcnt lgkmcnt(0)
	s_barrier
	buffer_gl0_inv
	s_and_saveexec_b32 s13, s6
	s_cbranch_execz .LBB192_1
; %bb.7:                                ;   in Loop: Header=BB192_2 Depth=1
	ds_load_b32 v7, v5
	s_waitcnt lgkmcnt(0)
	v_add_f32_e32 v7, s11, v7
	s_branch .LBB192_1
.LBB192_8:
	v_add_co_u32 v0, vcc_lo, s18, v1
	v_add_co_ci_u32_e32 v1, vcc_lo, s19, v2, vcc_lo
	global_store_b32 v[0:1], v6, off
	s_nop 0
	s_sendmsg sendmsg(MSG_DEALLOC_VGPRS)
	s_endpgm
	.section	.rodata,"a",@progbits
	.p2align	6, 0x0
	.amdhsa_kernel _Z6kernelI14exclusive_scanILN6hipcub18BlockScanAlgorithmE0EEfLj256ELj1ELj100EEvPKT0_PS4_S4_
		.amdhsa_group_segment_fixed_size 32
		.amdhsa_private_segment_fixed_size 0
		.amdhsa_kernarg_size 280
		.amdhsa_user_sgpr_count 15
		.amdhsa_user_sgpr_dispatch_ptr 0
		.amdhsa_user_sgpr_queue_ptr 0
		.amdhsa_user_sgpr_kernarg_segment_ptr 1
		.amdhsa_user_sgpr_dispatch_id 0
		.amdhsa_user_sgpr_private_segment_size 0
		.amdhsa_wavefront_size32 1
		.amdhsa_uses_dynamic_stack 0
		.amdhsa_enable_private_segment 0
		.amdhsa_system_sgpr_workgroup_id_x 1
		.amdhsa_system_sgpr_workgroup_id_y 0
		.amdhsa_system_sgpr_workgroup_id_z 0
		.amdhsa_system_sgpr_workgroup_info 0
		.amdhsa_system_vgpr_workitem_id 0
		.amdhsa_next_free_vgpr 9
		.amdhsa_next_free_sgpr 20
		.amdhsa_reserve_vcc 1
		.amdhsa_float_round_mode_32 0
		.amdhsa_float_round_mode_16_64 0
		.amdhsa_float_denorm_mode_32 3
		.amdhsa_float_denorm_mode_16_64 3
		.amdhsa_dx10_clamp 1
		.amdhsa_ieee_mode 1
		.amdhsa_fp16_overflow 0
		.amdhsa_workgroup_processor_mode 1
		.amdhsa_memory_ordered 1
		.amdhsa_forward_progress 0
		.amdhsa_shared_vgpr_count 0
		.amdhsa_exception_fp_ieee_invalid_op 0
		.amdhsa_exception_fp_denorm_src 0
		.amdhsa_exception_fp_ieee_div_zero 0
		.amdhsa_exception_fp_ieee_overflow 0
		.amdhsa_exception_fp_ieee_underflow 0
		.amdhsa_exception_fp_ieee_inexact 0
		.amdhsa_exception_int_div_zero 0
	.end_amdhsa_kernel
	.section	.text._Z6kernelI14exclusive_scanILN6hipcub18BlockScanAlgorithmE0EEfLj256ELj1ELj100EEvPKT0_PS4_S4_,"axG",@progbits,_Z6kernelI14exclusive_scanILN6hipcub18BlockScanAlgorithmE0EEfLj256ELj1ELj100EEvPKT0_PS4_S4_,comdat
.Lfunc_end192:
	.size	_Z6kernelI14exclusive_scanILN6hipcub18BlockScanAlgorithmE0EEfLj256ELj1ELj100EEvPKT0_PS4_S4_, .Lfunc_end192-_Z6kernelI14exclusive_scanILN6hipcub18BlockScanAlgorithmE0EEfLj256ELj1ELj100EEvPKT0_PS4_S4_
                                        ; -- End function
	.section	.AMDGPU.csdata,"",@progbits
; Kernel info:
; codeLenInByte = 656
; NumSgprs: 22
; NumVgprs: 9
; ScratchSize: 0
; MemoryBound: 0
; FloatMode: 240
; IeeeMode: 1
; LDSByteSize: 32 bytes/workgroup (compile time only)
; SGPRBlocks: 2
; VGPRBlocks: 1
; NumSGPRsForWavesPerEU: 22
; NumVGPRsForWavesPerEU: 9
; Occupancy: 16
; WaveLimiterHint : 0
; COMPUTE_PGM_RSRC2:SCRATCH_EN: 0
; COMPUTE_PGM_RSRC2:USER_SGPR: 15
; COMPUTE_PGM_RSRC2:TRAP_HANDLER: 0
; COMPUTE_PGM_RSRC2:TGID_X_EN: 1
; COMPUTE_PGM_RSRC2:TGID_Y_EN: 0
; COMPUTE_PGM_RSRC2:TGID_Z_EN: 0
; COMPUTE_PGM_RSRC2:TIDIG_COMP_CNT: 0
	.section	.text._Z6kernelI14exclusive_scanILN6hipcub18BlockScanAlgorithmE0EEfLj256ELj3ELj100EEvPKT0_PS4_S4_,"axG",@progbits,_Z6kernelI14exclusive_scanILN6hipcub18BlockScanAlgorithmE0EEfLj256ELj3ELj100EEvPKT0_PS4_S4_,comdat
	.protected	_Z6kernelI14exclusive_scanILN6hipcub18BlockScanAlgorithmE0EEfLj256ELj3ELj100EEvPKT0_PS4_S4_ ; -- Begin function _Z6kernelI14exclusive_scanILN6hipcub18BlockScanAlgorithmE0EEfLj256ELj3ELj100EEvPKT0_PS4_S4_
	.globl	_Z6kernelI14exclusive_scanILN6hipcub18BlockScanAlgorithmE0EEfLj256ELj3ELj100EEvPKT0_PS4_S4_
	.p2align	8
	.type	_Z6kernelI14exclusive_scanILN6hipcub18BlockScanAlgorithmE0EEfLj256ELj3ELj100EEvPKT0_PS4_S4_,@function
_Z6kernelI14exclusive_scanILN6hipcub18BlockScanAlgorithmE0EEfLj256ELj3ELj100EEvPKT0_PS4_S4_: ; @_Z6kernelI14exclusive_scanILN6hipcub18BlockScanAlgorithmE0EEfLj256ELj3ELj100EEvPKT0_PS4_S4_
; %bb.0:
	s_load_b32 s2, s[0:1], 0x24
	v_or_b32_e32 v14, 31, v0
	v_cmp_gt_u32_e64 s5, 8, v0
	v_cmp_lt_u32_e64 s6, 31, v0
	v_cmp_eq_u32_e64 s8, 0, v0
	s_load_b32 s16, s[0:1], 0x10
	s_waitcnt lgkmcnt(0)
	s_and_b32 s2, s2, 0xffff
	s_delay_alu instid0(SALU_CYCLE_1) | instskip(SKIP_1) | instid1(VALU_DEP_1)
	v_mad_u64_u32 v[1:2], null, s15, s2, v[0:1]
	s_load_b128 s[12:15], s[0:1], 0x0
	v_lshl_add_u32 v3, v1, 1, v1
	s_delay_alu instid0(VALU_DEP_1) | instskip(NEXT) | instid1(VALU_DEP_1)
	v_dual_mov_b32 v4, 0 :: v_dual_add_nc_u32 v5, 1, v3
	v_mov_b32_e32 v6, v4
	v_lshlrev_b64 v[1:2], 2, v[3:4]
	v_add_nc_u32_e32 v3, 2, v3
	s_delay_alu instid0(VALU_DEP_3) | instskip(NEXT) | instid1(VALU_DEP_2)
	v_lshlrev_b64 v[5:6], 2, v[5:6]
	v_lshlrev_b64 v[3:4], 2, v[3:4]
	s_waitcnt lgkmcnt(0)
	s_delay_alu instid0(VALU_DEP_4) | instskip(SKIP_1) | instid1(VALU_DEP_4)
	v_add_co_u32 v7, vcc_lo, s12, v1
	v_add_co_ci_u32_e32 v8, vcc_lo, s13, v2, vcc_lo
	v_add_co_u32 v9, vcc_lo, s12, v5
	v_add_co_ci_u32_e32 v10, vcc_lo, s13, v6, vcc_lo
	;; [unrolled: 2-line block ×3, first 2 shown]
	s_clause 0x2
	global_load_b32 v7, v[7:8], off
	global_load_b32 v8, v[9:10], off
	;; [unrolled: 1-line block ×3, first 2 shown]
	v_mbcnt_lo_u32_b32 v10, -1, 0
	s_movk_i32 s12, 0x64
	s_delay_alu instid0(VALU_DEP_1) | instskip(SKIP_3) | instid1(VALU_DEP_4)
	v_and_b32_e32 v11, 16, v10
	v_add_nc_u32_e32 v13, -1, v10
	v_and_b32_e32 v9, 15, v10
	v_cmp_eq_u32_e64 s7, 0, v10
	v_cmp_eq_u32_e64 s3, 0, v11
	s_delay_alu instid0(VALU_DEP_4)
	v_cmp_gt_i32_e64 s4, 0, v13
	v_lshrrev_b32_e32 v11, 3, v0
	v_cmp_eq_u32_e32 vcc_lo, 0, v9
	v_cmp_lt_u32_e64 s0, 1, v9
	v_cmp_lt_u32_e64 s1, 3, v9
	;; [unrolled: 1-line block ×3, first 2 shown]
	v_cndmask_b32_e64 v9, v13, v10, s4
	v_and_b32_e32 v13, 7, v10
	v_and_b32_e32 v10, 28, v11
	v_cmp_eq_u32_e64 s4, v14, v0
	v_lshlrev_b32_e32 v0, 2, v0
	v_lshlrev_b32_e32 v9, 2, v9
	v_cmp_eq_u32_e64 s9, 0, v13
	v_cmp_lt_u32_e64 s10, 1, v13
	v_cmp_lt_u32_e64 s11, 3, v13
	v_add_nc_u32_e32 v11, -4, v10
.LBB193_1:                              ; =>This Inner Loop Header: Depth=1
	s_waitcnt vmcnt(1)
	s_delay_alu instid0(VALU_DEP_1) | instskip(SKIP_1) | instid1(VALU_DEP_1)
	v_add_f32_e32 v13, v7, v8
	s_waitcnt vmcnt(0)
	v_add_f32_e32 v12, v12, v13
	s_delay_alu instid0(VALU_DEP_1) | instskip(NEXT) | instid1(VALU_DEP_1)
	v_mov_b32_dpp v13, v12 row_shr:1 row_mask:0xf bank_mask:0xf
	v_add_f32_e32 v13, v12, v13
	s_delay_alu instid0(VALU_DEP_1) | instskip(NEXT) | instid1(VALU_DEP_1)
	v_cndmask_b32_e32 v12, v13, v12, vcc_lo
	v_mov_b32_dpp v13, v12 row_shr:2 row_mask:0xf bank_mask:0xf
	s_delay_alu instid0(VALU_DEP_1) | instskip(NEXT) | instid1(VALU_DEP_1)
	v_add_f32_e32 v13, v12, v13
	v_cndmask_b32_e64 v12, v12, v13, s0
	s_delay_alu instid0(VALU_DEP_1) | instskip(NEXT) | instid1(VALU_DEP_1)
	v_mov_b32_dpp v13, v12 row_shr:4 row_mask:0xf bank_mask:0xf
	v_add_f32_e32 v13, v12, v13
	s_delay_alu instid0(VALU_DEP_1) | instskip(NEXT) | instid1(VALU_DEP_1)
	v_cndmask_b32_e64 v12, v12, v13, s1
	v_mov_b32_dpp v13, v12 row_shr:8 row_mask:0xf bank_mask:0xf
	s_delay_alu instid0(VALU_DEP_1) | instskip(NEXT) | instid1(VALU_DEP_1)
	v_add_f32_e32 v13, v12, v13
	v_cndmask_b32_e64 v12, v12, v13, s2
	ds_swizzle_b32 v13, v12 offset:swizzle(BROADCAST,32,15)
	s_waitcnt lgkmcnt(0)
	v_add_f32_e32 v13, v12, v13
	s_delay_alu instid0(VALU_DEP_1)
	v_cndmask_b32_e64 v12, v13, v12, s3
	s_and_saveexec_b32 s13, s4
	s_cbranch_execz .LBB193_3
; %bb.2:                                ;   in Loop: Header=BB193_1 Depth=1
	ds_store_b32 v10, v12
.LBB193_3:                              ;   in Loop: Header=BB193_1 Depth=1
	s_or_b32 exec_lo, exec_lo, s13
	s_waitcnt lgkmcnt(0)
	s_barrier
	buffer_gl0_inv
	s_and_saveexec_b32 s13, s5
	s_cbranch_execz .LBB193_5
; %bb.4:                                ;   in Loop: Header=BB193_1 Depth=1
	ds_load_b32 v13, v0
	s_waitcnt lgkmcnt(0)
	v_mov_b32_dpp v14, v13 row_shr:1 row_mask:0xf bank_mask:0xf
	s_delay_alu instid0(VALU_DEP_1) | instskip(NEXT) | instid1(VALU_DEP_1)
	v_add_f32_e32 v14, v13, v14
	v_cndmask_b32_e64 v13, v14, v13, s9
	s_delay_alu instid0(VALU_DEP_1) | instskip(NEXT) | instid1(VALU_DEP_1)
	v_mov_b32_dpp v14, v13 row_shr:2 row_mask:0xf bank_mask:0xf
	v_add_f32_e32 v14, v13, v14
	s_delay_alu instid0(VALU_DEP_1) | instskip(NEXT) | instid1(VALU_DEP_1)
	v_cndmask_b32_e64 v13, v13, v14, s10
	v_mov_b32_dpp v14, v13 row_shr:4 row_mask:0xf bank_mask:0xf
	s_delay_alu instid0(VALU_DEP_1) | instskip(NEXT) | instid1(VALU_DEP_1)
	v_add_f32_e32 v14, v13, v14
	v_cndmask_b32_e64 v13, v13, v14, s11
	ds_store_b32 v0, v13
.LBB193_5:                              ;   in Loop: Header=BB193_1 Depth=1
	s_or_b32 exec_lo, exec_lo, s13
	v_mov_b32_e32 v13, s16
	s_waitcnt lgkmcnt(0)
	s_barrier
	buffer_gl0_inv
	s_and_saveexec_b32 s13, s6
	s_cbranch_execz .LBB193_7
; %bb.6:                                ;   in Loop: Header=BB193_1 Depth=1
	ds_load_b32 v13, v11
	s_waitcnt lgkmcnt(0)
	v_add_f32_e32 v13, s16, v13
.LBB193_7:                              ;   in Loop: Header=BB193_1 Depth=1
	s_or_b32 exec_lo, exec_lo, s13
	s_delay_alu instid0(VALU_DEP_1) | instskip(SKIP_1) | instid1(SALU_CYCLE_1)
	v_add_f32_e32 v12, v12, v13
	s_add_i32 s12, s12, -1
	s_cmp_lg_u32 s12, 0
	ds_bpermute_b32 v12, v9, v12
	s_waitcnt lgkmcnt(0)
	v_cndmask_b32_e64 v12, v12, v13, s7
	s_delay_alu instid0(VALU_DEP_1) | instskip(NEXT) | instid1(VALU_DEP_1)
	v_cndmask_b32_e64 v14, v12, s16, s8
	v_add_f32_e32 v13, v7, v14
	s_delay_alu instid0(VALU_DEP_1)
	v_add_f32_e32 v12, v8, v13
	s_cbranch_scc0 .LBB193_9
; %bb.8:                                ;   in Loop: Header=BB193_1 Depth=1
	v_dual_mov_b32 v7, v14 :: v_dual_mov_b32 v8, v13
	s_branch .LBB193_1
.LBB193_9:
	v_add_co_u32 v0, vcc_lo, s14, v1
	v_add_co_ci_u32_e32 v1, vcc_lo, s15, v2, vcc_lo
	v_add_co_u32 v5, vcc_lo, s14, v5
	v_add_co_ci_u32_e32 v6, vcc_lo, s15, v6, vcc_lo
	;; [unrolled: 2-line block ×3, first 2 shown]
	s_clause 0x2
	global_store_b32 v[0:1], v14, off
	global_store_b32 v[5:6], v13, off
	;; [unrolled: 1-line block ×3, first 2 shown]
	s_nop 0
	s_sendmsg sendmsg(MSG_DEALLOC_VGPRS)
	s_endpgm
	.section	.rodata,"a",@progbits
	.p2align	6, 0x0
	.amdhsa_kernel _Z6kernelI14exclusive_scanILN6hipcub18BlockScanAlgorithmE0EEfLj256ELj3ELj100EEvPKT0_PS4_S4_
		.amdhsa_group_segment_fixed_size 32
		.amdhsa_private_segment_fixed_size 0
		.amdhsa_kernarg_size 280
		.amdhsa_user_sgpr_count 15
		.amdhsa_user_sgpr_dispatch_ptr 0
		.amdhsa_user_sgpr_queue_ptr 0
		.amdhsa_user_sgpr_kernarg_segment_ptr 1
		.amdhsa_user_sgpr_dispatch_id 0
		.amdhsa_user_sgpr_private_segment_size 0
		.amdhsa_wavefront_size32 1
		.amdhsa_uses_dynamic_stack 0
		.amdhsa_enable_private_segment 0
		.amdhsa_system_sgpr_workgroup_id_x 1
		.amdhsa_system_sgpr_workgroup_id_y 0
		.amdhsa_system_sgpr_workgroup_id_z 0
		.amdhsa_system_sgpr_workgroup_info 0
		.amdhsa_system_vgpr_workitem_id 0
		.amdhsa_next_free_vgpr 15
		.amdhsa_next_free_sgpr 17
		.amdhsa_reserve_vcc 1
		.amdhsa_float_round_mode_32 0
		.amdhsa_float_round_mode_16_64 0
		.amdhsa_float_denorm_mode_32 3
		.amdhsa_float_denorm_mode_16_64 3
		.amdhsa_dx10_clamp 1
		.amdhsa_ieee_mode 1
		.amdhsa_fp16_overflow 0
		.amdhsa_workgroup_processor_mode 1
		.amdhsa_memory_ordered 1
		.amdhsa_forward_progress 0
		.amdhsa_shared_vgpr_count 0
		.amdhsa_exception_fp_ieee_invalid_op 0
		.amdhsa_exception_fp_denorm_src 0
		.amdhsa_exception_fp_ieee_div_zero 0
		.amdhsa_exception_fp_ieee_overflow 0
		.amdhsa_exception_fp_ieee_underflow 0
		.amdhsa_exception_fp_ieee_inexact 0
		.amdhsa_exception_int_div_zero 0
	.end_amdhsa_kernel
	.section	.text._Z6kernelI14exclusive_scanILN6hipcub18BlockScanAlgorithmE0EEfLj256ELj3ELj100EEvPKT0_PS4_S4_,"axG",@progbits,_Z6kernelI14exclusive_scanILN6hipcub18BlockScanAlgorithmE0EEfLj256ELj3ELj100EEvPKT0_PS4_S4_,comdat
.Lfunc_end193:
	.size	_Z6kernelI14exclusive_scanILN6hipcub18BlockScanAlgorithmE0EEfLj256ELj3ELj100EEvPKT0_PS4_S4_, .Lfunc_end193-_Z6kernelI14exclusive_scanILN6hipcub18BlockScanAlgorithmE0EEfLj256ELj3ELj100EEvPKT0_PS4_S4_
                                        ; -- End function
	.section	.AMDGPU.csdata,"",@progbits
; Kernel info:
; codeLenInByte = 844
; NumSgprs: 19
; NumVgprs: 15
; ScratchSize: 0
; MemoryBound: 0
; FloatMode: 240
; IeeeMode: 1
; LDSByteSize: 32 bytes/workgroup (compile time only)
; SGPRBlocks: 2
; VGPRBlocks: 1
; NumSGPRsForWavesPerEU: 19
; NumVGPRsForWavesPerEU: 15
; Occupancy: 16
; WaveLimiterHint : 0
; COMPUTE_PGM_RSRC2:SCRATCH_EN: 0
; COMPUTE_PGM_RSRC2:USER_SGPR: 15
; COMPUTE_PGM_RSRC2:TRAP_HANDLER: 0
; COMPUTE_PGM_RSRC2:TGID_X_EN: 1
; COMPUTE_PGM_RSRC2:TGID_Y_EN: 0
; COMPUTE_PGM_RSRC2:TGID_Z_EN: 0
; COMPUTE_PGM_RSRC2:TIDIG_COMP_CNT: 0
	.section	.text._Z6kernelI14exclusive_scanILN6hipcub18BlockScanAlgorithmE0EEfLj256ELj4ELj100EEvPKT0_PS4_S4_,"axG",@progbits,_Z6kernelI14exclusive_scanILN6hipcub18BlockScanAlgorithmE0EEfLj256ELj4ELj100EEvPKT0_PS4_S4_,comdat
	.protected	_Z6kernelI14exclusive_scanILN6hipcub18BlockScanAlgorithmE0EEfLj256ELj4ELj100EEvPKT0_PS4_S4_ ; -- Begin function _Z6kernelI14exclusive_scanILN6hipcub18BlockScanAlgorithmE0EEfLj256ELj4ELj100EEvPKT0_PS4_S4_
	.globl	_Z6kernelI14exclusive_scanILN6hipcub18BlockScanAlgorithmE0EEfLj256ELj4ELj100EEvPKT0_PS4_S4_
	.p2align	8
	.type	_Z6kernelI14exclusive_scanILN6hipcub18BlockScanAlgorithmE0EEfLj256ELj4ELj100EEvPKT0_PS4_S4_,@function
_Z6kernelI14exclusive_scanILN6hipcub18BlockScanAlgorithmE0EEfLj256ELj4ELj100EEvPKT0_PS4_S4_: ; @_Z6kernelI14exclusive_scanILN6hipcub18BlockScanAlgorithmE0EEfLj256ELj4ELj100EEvPKT0_PS4_S4_
; %bb.0:
	s_clause 0x1
	s_load_b32 s2, s[0:1], 0x24
	s_load_b128 s[16:19], s[0:1], 0x0
	v_mbcnt_lo_u32_b32 v5, -1, 0
	v_mov_b32_e32 v2, 0
	s_load_b32 s12, s[0:1], 0x10
	v_or_b32_e32 v11, 31, v0
	v_cmp_gt_u32_e64 s5, 8, v0
	v_and_b32_e32 v7, 16, v5
	v_add_nc_u32_e32 v10, -1, v5
	v_and_b32_e32 v6, 15, v5
	v_cmp_lt_u32_e64 s6, 31, v0
	v_cmp_eq_u32_e64 s7, 0, v5
	v_cmp_eq_u32_e64 s3, 0, v7
	v_cmp_gt_i32_e64 s4, 0, v10
	v_cmp_lt_u32_e64 s0, 1, v6
	v_cmp_lt_u32_e64 s1, 3, v6
	v_lshrrev_b32_e32 v7, 3, v0
	v_cmp_eq_u32_e64 s8, 0, v0
	s_movk_i32 s13, 0x64
	s_waitcnt lgkmcnt(0)
	s_and_b32 s2, s2, 0xffff
	s_delay_alu instid0(SALU_CYCLE_1) | instskip(SKIP_2) | instid1(VALU_DEP_1)
	s_mul_i32 s15, s15, s2
	v_cmp_lt_u32_e64 s2, 7, v6
	v_add_lshl_u32 v1, s15, v0, 2
	v_lshlrev_b64 v[8:9], 2, v[1:2]
	s_delay_alu instid0(VALU_DEP_1) | instskip(NEXT) | instid1(VALU_DEP_2)
	v_add_co_u32 v1, vcc_lo, s16, v8
	v_add_co_ci_u32_e32 v2, vcc_lo, s17, v9, vcc_lo
	v_cmp_eq_u32_e32 vcc_lo, 0, v6
	v_cndmask_b32_e64 v6, v10, v5, s4
	v_cmp_eq_u32_e64 s4, v11, v0
	global_load_b128 v[1:4], v[1:2], off
	v_and_b32_e32 v11, 28, v7
	v_lshlrev_b32_e32 v0, 2, v0
	v_lshlrev_b32_e32 v10, 2, v6
	v_and_b32_e32 v6, 7, v5
	s_delay_alu instid0(VALU_DEP_4) | instskip(NEXT) | instid1(VALU_DEP_2)
	v_add_nc_u32_e32 v12, -4, v11
	v_cmp_eq_u32_e64 s9, 0, v6
	v_cmp_lt_u32_e64 s10, 1, v6
	v_cmp_lt_u32_e64 s11, 3, v6
.LBB194_1:                              ; =>This Inner Loop Header: Depth=1
	s_waitcnt vmcnt(0)
	s_delay_alu instid0(VALU_DEP_2) | instskip(NEXT) | instid1(VALU_DEP_1)
	v_add_f32_e32 v5, v1, v2
	v_add_f32_e32 v5, v3, v5
	s_delay_alu instid0(VALU_DEP_1) | instskip(NEXT) | instid1(VALU_DEP_1)
	v_add_f32_e32 v4, v4, v5
	v_mov_b32_dpp v5, v4 row_shr:1 row_mask:0xf bank_mask:0xf
	s_delay_alu instid0(VALU_DEP_1) | instskip(NEXT) | instid1(VALU_DEP_1)
	v_add_f32_e32 v5, v4, v5
	v_cndmask_b32_e32 v4, v5, v4, vcc_lo
	s_delay_alu instid0(VALU_DEP_1) | instskip(NEXT) | instid1(VALU_DEP_1)
	v_mov_b32_dpp v5, v4 row_shr:2 row_mask:0xf bank_mask:0xf
	v_add_f32_e32 v5, v4, v5
	s_delay_alu instid0(VALU_DEP_1) | instskip(NEXT) | instid1(VALU_DEP_1)
	v_cndmask_b32_e64 v4, v4, v5, s0
	v_mov_b32_dpp v5, v4 row_shr:4 row_mask:0xf bank_mask:0xf
	s_delay_alu instid0(VALU_DEP_1) | instskip(NEXT) | instid1(VALU_DEP_1)
	v_add_f32_e32 v5, v4, v5
	v_cndmask_b32_e64 v4, v4, v5, s1
	s_delay_alu instid0(VALU_DEP_1) | instskip(NEXT) | instid1(VALU_DEP_1)
	v_mov_b32_dpp v5, v4 row_shr:8 row_mask:0xf bank_mask:0xf
	v_add_f32_e32 v5, v4, v5
	s_delay_alu instid0(VALU_DEP_1) | instskip(SKIP_3) | instid1(VALU_DEP_1)
	v_cndmask_b32_e64 v4, v4, v5, s2
	ds_swizzle_b32 v5, v4 offset:swizzle(BROADCAST,32,15)
	s_waitcnt lgkmcnt(0)
	v_add_f32_e32 v5, v4, v5
	v_cndmask_b32_e64 v4, v5, v4, s3
	s_and_saveexec_b32 s14, s4
	s_cbranch_execz .LBB194_3
; %bb.2:                                ;   in Loop: Header=BB194_1 Depth=1
	ds_store_b32 v11, v4
.LBB194_3:                              ;   in Loop: Header=BB194_1 Depth=1
	s_or_b32 exec_lo, exec_lo, s14
	s_waitcnt lgkmcnt(0)
	s_barrier
	buffer_gl0_inv
	s_and_saveexec_b32 s14, s5
	s_cbranch_execz .LBB194_5
; %bb.4:                                ;   in Loop: Header=BB194_1 Depth=1
	ds_load_b32 v5, v0
	s_waitcnt lgkmcnt(0)
	v_mov_b32_dpp v6, v5 row_shr:1 row_mask:0xf bank_mask:0xf
	s_delay_alu instid0(VALU_DEP_1) | instskip(NEXT) | instid1(VALU_DEP_1)
	v_add_f32_e32 v6, v5, v6
	v_cndmask_b32_e64 v5, v6, v5, s9
	s_delay_alu instid0(VALU_DEP_1) | instskip(NEXT) | instid1(VALU_DEP_1)
	v_mov_b32_dpp v6, v5 row_shr:2 row_mask:0xf bank_mask:0xf
	v_add_f32_e32 v6, v5, v6
	s_delay_alu instid0(VALU_DEP_1) | instskip(NEXT) | instid1(VALU_DEP_1)
	v_cndmask_b32_e64 v5, v5, v6, s10
	v_mov_b32_dpp v6, v5 row_shr:4 row_mask:0xf bank_mask:0xf
	s_delay_alu instid0(VALU_DEP_1) | instskip(NEXT) | instid1(VALU_DEP_1)
	v_add_f32_e32 v6, v5, v6
	v_cndmask_b32_e64 v5, v5, v6, s11
	ds_store_b32 v0, v5
.LBB194_5:                              ;   in Loop: Header=BB194_1 Depth=1
	s_or_b32 exec_lo, exec_lo, s14
	v_mov_b32_e32 v5, s12
	s_waitcnt lgkmcnt(0)
	s_barrier
	buffer_gl0_inv
	s_and_saveexec_b32 s14, s6
	s_cbranch_execz .LBB194_7
; %bb.6:                                ;   in Loop: Header=BB194_1 Depth=1
	ds_load_b32 v5, v12
	s_waitcnt lgkmcnt(0)
	v_add_f32_e32 v5, s12, v5
.LBB194_7:                              ;   in Loop: Header=BB194_1 Depth=1
	s_or_b32 exec_lo, exec_lo, s14
	s_delay_alu instid0(VALU_DEP_1) | instskip(SKIP_1) | instid1(SALU_CYCLE_1)
	v_add_f32_e32 v4, v4, v5
	s_add_i32 s13, s13, -1
	s_cmp_lg_u32 s13, 0
	ds_bpermute_b32 v4, v10, v4
	s_waitcnt lgkmcnt(0)
	v_cndmask_b32_e64 v4, v4, v5, s7
	s_delay_alu instid0(VALU_DEP_1) | instskip(NEXT) | instid1(VALU_DEP_1)
	v_cndmask_b32_e64 v5, v4, s12, s8
	v_add_f32_e32 v6, v1, v5
	s_delay_alu instid0(VALU_DEP_1) | instskip(NEXT) | instid1(VALU_DEP_1)
	v_add_f32_e32 v7, v2, v6
	v_add_f32_e32 v4, v3, v7
	s_cbranch_scc0 .LBB194_9
; %bb.8:                                ;   in Loop: Header=BB194_1 Depth=1
	v_dual_mov_b32 v1, v5 :: v_dual_mov_b32 v2, v6
	v_mov_b32_e32 v3, v7
	s_branch .LBB194_1
.LBB194_9:
	v_add_co_u32 v0, vcc_lo, s18, v8
	v_add_co_ci_u32_e32 v1, vcc_lo, s19, v9, vcc_lo
	s_delay_alu instid0(VALU_DEP_3)
	v_mov_b32_e32 v8, v4
	global_store_b128 v[0:1], v[5:8], off
	s_nop 0
	s_sendmsg sendmsg(MSG_DEALLOC_VGPRS)
	s_endpgm
	.section	.rodata,"a",@progbits
	.p2align	6, 0x0
	.amdhsa_kernel _Z6kernelI14exclusive_scanILN6hipcub18BlockScanAlgorithmE0EEfLj256ELj4ELj100EEvPKT0_PS4_S4_
		.amdhsa_group_segment_fixed_size 32
		.amdhsa_private_segment_fixed_size 0
		.amdhsa_kernarg_size 280
		.amdhsa_user_sgpr_count 15
		.amdhsa_user_sgpr_dispatch_ptr 0
		.amdhsa_user_sgpr_queue_ptr 0
		.amdhsa_user_sgpr_kernarg_segment_ptr 1
		.amdhsa_user_sgpr_dispatch_id 0
		.amdhsa_user_sgpr_private_segment_size 0
		.amdhsa_wavefront_size32 1
		.amdhsa_uses_dynamic_stack 0
		.amdhsa_enable_private_segment 0
		.amdhsa_system_sgpr_workgroup_id_x 1
		.amdhsa_system_sgpr_workgroup_id_y 0
		.amdhsa_system_sgpr_workgroup_id_z 0
		.amdhsa_system_sgpr_workgroup_info 0
		.amdhsa_system_vgpr_workitem_id 0
		.amdhsa_next_free_vgpr 13
		.amdhsa_next_free_sgpr 20
		.amdhsa_reserve_vcc 1
		.amdhsa_float_round_mode_32 0
		.amdhsa_float_round_mode_16_64 0
		.amdhsa_float_denorm_mode_32 3
		.amdhsa_float_denorm_mode_16_64 3
		.amdhsa_dx10_clamp 1
		.amdhsa_ieee_mode 1
		.amdhsa_fp16_overflow 0
		.amdhsa_workgroup_processor_mode 1
		.amdhsa_memory_ordered 1
		.amdhsa_forward_progress 0
		.amdhsa_shared_vgpr_count 0
		.amdhsa_exception_fp_ieee_invalid_op 0
		.amdhsa_exception_fp_denorm_src 0
		.amdhsa_exception_fp_ieee_div_zero 0
		.amdhsa_exception_fp_ieee_overflow 0
		.amdhsa_exception_fp_ieee_underflow 0
		.amdhsa_exception_fp_ieee_inexact 0
		.amdhsa_exception_int_div_zero 0
	.end_amdhsa_kernel
	.section	.text._Z6kernelI14exclusive_scanILN6hipcub18BlockScanAlgorithmE0EEfLj256ELj4ELj100EEvPKT0_PS4_S4_,"axG",@progbits,_Z6kernelI14exclusive_scanILN6hipcub18BlockScanAlgorithmE0EEfLj256ELj4ELj100EEvPKT0_PS4_S4_,comdat
.Lfunc_end194:
	.size	_Z6kernelI14exclusive_scanILN6hipcub18BlockScanAlgorithmE0EEfLj256ELj4ELj100EEvPKT0_PS4_S4_, .Lfunc_end194-_Z6kernelI14exclusive_scanILN6hipcub18BlockScanAlgorithmE0EEfLj256ELj4ELj100EEvPKT0_PS4_S4_
                                        ; -- End function
	.section	.AMDGPU.csdata,"",@progbits
; Kernel info:
; codeLenInByte = 728
; NumSgprs: 22
; NumVgprs: 13
; ScratchSize: 0
; MemoryBound: 0
; FloatMode: 240
; IeeeMode: 1
; LDSByteSize: 32 bytes/workgroup (compile time only)
; SGPRBlocks: 2
; VGPRBlocks: 1
; NumSGPRsForWavesPerEU: 22
; NumVGPRsForWavesPerEU: 13
; Occupancy: 16
; WaveLimiterHint : 0
; COMPUTE_PGM_RSRC2:SCRATCH_EN: 0
; COMPUTE_PGM_RSRC2:USER_SGPR: 15
; COMPUTE_PGM_RSRC2:TRAP_HANDLER: 0
; COMPUTE_PGM_RSRC2:TGID_X_EN: 1
; COMPUTE_PGM_RSRC2:TGID_Y_EN: 0
; COMPUTE_PGM_RSRC2:TGID_Z_EN: 0
; COMPUTE_PGM_RSRC2:TIDIG_COMP_CNT: 0
	.section	.text._Z6kernelI14exclusive_scanILN6hipcub18BlockScanAlgorithmE0EEfLj256ELj8ELj100EEvPKT0_PS4_S4_,"axG",@progbits,_Z6kernelI14exclusive_scanILN6hipcub18BlockScanAlgorithmE0EEfLj256ELj8ELj100EEvPKT0_PS4_S4_,comdat
	.protected	_Z6kernelI14exclusive_scanILN6hipcub18BlockScanAlgorithmE0EEfLj256ELj8ELj100EEvPKT0_PS4_S4_ ; -- Begin function _Z6kernelI14exclusive_scanILN6hipcub18BlockScanAlgorithmE0EEfLj256ELj8ELj100EEvPKT0_PS4_S4_
	.globl	_Z6kernelI14exclusive_scanILN6hipcub18BlockScanAlgorithmE0EEfLj256ELj8ELj100EEvPKT0_PS4_S4_
	.p2align	8
	.type	_Z6kernelI14exclusive_scanILN6hipcub18BlockScanAlgorithmE0EEfLj256ELj8ELj100EEvPKT0_PS4_S4_,@function
_Z6kernelI14exclusive_scanILN6hipcub18BlockScanAlgorithmE0EEfLj256ELj8ELj100EEvPKT0_PS4_S4_: ; @_Z6kernelI14exclusive_scanILN6hipcub18BlockScanAlgorithmE0EEfLj256ELj8ELj100EEvPKT0_PS4_S4_
; %bb.0:
	s_clause 0x1
	s_load_b32 s2, s[0:1], 0x24
	s_load_b128 s[16:19], s[0:1], 0x0
	v_mbcnt_lo_u32_b32 v9, -1, 0
	v_mov_b32_e32 v2, 0
	s_load_b32 s12, s[0:1], 0x10
	v_or_b32_e32 v13, 31, v0
	v_cmp_gt_u32_e64 s5, 8, v0
	v_and_b32_e32 v11, 16, v9
	v_add_nc_u32_e32 v12, -1, v9
	v_and_b32_e32 v10, 15, v9
	v_cmp_lt_u32_e64 s6, 31, v0
	v_cmp_eq_u32_e64 s7, 0, v9
	v_cmp_eq_u32_e64 s3, 0, v11
	v_cmp_gt_i32_e64 s4, 0, v12
	v_cmp_lt_u32_e64 s0, 1, v10
	v_cmp_lt_u32_e64 s1, 3, v10
	v_lshrrev_b32_e32 v11, 3, v0
	v_cmp_eq_u32_e64 s8, 0, v0
	s_movk_i32 s13, 0x64
	s_waitcnt lgkmcnt(0)
	s_and_b32 s2, s2, 0xffff
	v_and_b32_e32 v19, 28, v11
	s_mul_i32 s15, s15, s2
	v_cmp_lt_u32_e64 s2, 7, v10
	v_add_lshl_u32 v1, s15, v0, 3
	s_delay_alu instid0(VALU_DEP_3) | instskip(NEXT) | instid1(VALU_DEP_2)
	v_add_nc_u32_e32 v20, -4, v19
	v_lshlrev_b64 v[17:18], 2, v[1:2]
	s_delay_alu instid0(VALU_DEP_1) | instskip(NEXT) | instid1(VALU_DEP_2)
	v_add_co_u32 v1, vcc_lo, s16, v17
	v_add_co_ci_u32_e32 v2, vcc_lo, s17, v18, vcc_lo
	v_cmp_eq_u32_e32 vcc_lo, 0, v10
	v_cndmask_b32_e64 v10, v12, v9, s4
	v_cmp_eq_u32_e64 s4, v13, v0
	s_clause 0x1
	global_load_b128 v[5:8], v[1:2], off
	global_load_b128 v[1:4], v[1:2], off offset:16
	v_lshlrev_b32_e32 v0, 2, v0
	v_lshlrev_b32_e32 v12, 2, v10
	v_and_b32_e32 v10, 7, v9
	s_delay_alu instid0(VALU_DEP_1)
	v_cmp_eq_u32_e64 s9, 0, v10
	v_cmp_lt_u32_e64 s10, 1, v10
	v_cmp_lt_u32_e64 s11, 3, v10
.LBB195_1:                              ; =>This Inner Loop Header: Depth=1
	s_waitcnt vmcnt(1)
	v_add_f32_e32 v9, v5, v6
	s_delay_alu instid0(VALU_DEP_1) | instskip(NEXT) | instid1(VALU_DEP_1)
	v_add_f32_e32 v9, v7, v9
	v_add_f32_e32 v9, v8, v9
	s_waitcnt vmcnt(0)
	s_delay_alu instid0(VALU_DEP_1) | instskip(NEXT) | instid1(VALU_DEP_1)
	v_add_f32_e32 v9, v1, v9
	v_add_f32_e32 v9, v2, v9
	s_delay_alu instid0(VALU_DEP_1) | instskip(NEXT) | instid1(VALU_DEP_1)
	v_add_f32_e32 v9, v3, v9
	v_add_f32_e32 v4, v4, v9
	s_delay_alu instid0(VALU_DEP_1) | instskip(NEXT) | instid1(VALU_DEP_1)
	v_mov_b32_dpp v9, v4 row_shr:1 row_mask:0xf bank_mask:0xf
	v_add_f32_e32 v9, v4, v9
	s_delay_alu instid0(VALU_DEP_1) | instskip(NEXT) | instid1(VALU_DEP_1)
	v_cndmask_b32_e32 v4, v9, v4, vcc_lo
	v_mov_b32_dpp v9, v4 row_shr:2 row_mask:0xf bank_mask:0xf
	s_delay_alu instid0(VALU_DEP_1) | instskip(NEXT) | instid1(VALU_DEP_1)
	v_add_f32_e32 v9, v4, v9
	v_cndmask_b32_e64 v4, v4, v9, s0
	s_delay_alu instid0(VALU_DEP_1) | instskip(NEXT) | instid1(VALU_DEP_1)
	v_mov_b32_dpp v9, v4 row_shr:4 row_mask:0xf bank_mask:0xf
	v_add_f32_e32 v9, v4, v9
	s_delay_alu instid0(VALU_DEP_1) | instskip(NEXT) | instid1(VALU_DEP_1)
	v_cndmask_b32_e64 v4, v4, v9, s1
	v_mov_b32_dpp v9, v4 row_shr:8 row_mask:0xf bank_mask:0xf
	s_delay_alu instid0(VALU_DEP_1) | instskip(NEXT) | instid1(VALU_DEP_1)
	v_add_f32_e32 v9, v4, v9
	v_cndmask_b32_e64 v4, v4, v9, s2
	ds_swizzle_b32 v9, v4 offset:swizzle(BROADCAST,32,15)
	s_waitcnt lgkmcnt(0)
	v_add_f32_e32 v9, v4, v9
	s_delay_alu instid0(VALU_DEP_1)
	v_cndmask_b32_e64 v4, v9, v4, s3
	s_and_saveexec_b32 s14, s4
	s_cbranch_execz .LBB195_3
; %bb.2:                                ;   in Loop: Header=BB195_1 Depth=1
	ds_store_b32 v19, v4
.LBB195_3:                              ;   in Loop: Header=BB195_1 Depth=1
	s_or_b32 exec_lo, exec_lo, s14
	s_waitcnt lgkmcnt(0)
	s_barrier
	buffer_gl0_inv
	s_and_saveexec_b32 s14, s5
	s_cbranch_execz .LBB195_5
; %bb.4:                                ;   in Loop: Header=BB195_1 Depth=1
	ds_load_b32 v9, v0
	s_waitcnt lgkmcnt(0)
	v_mov_b32_dpp v10, v9 row_shr:1 row_mask:0xf bank_mask:0xf
	s_delay_alu instid0(VALU_DEP_1) | instskip(NEXT) | instid1(VALU_DEP_1)
	v_add_f32_e32 v10, v9, v10
	v_cndmask_b32_e64 v9, v10, v9, s9
	s_delay_alu instid0(VALU_DEP_1) | instskip(NEXT) | instid1(VALU_DEP_1)
	v_mov_b32_dpp v10, v9 row_shr:2 row_mask:0xf bank_mask:0xf
	v_add_f32_e32 v10, v9, v10
	s_delay_alu instid0(VALU_DEP_1) | instskip(NEXT) | instid1(VALU_DEP_1)
	v_cndmask_b32_e64 v9, v9, v10, s10
	v_mov_b32_dpp v10, v9 row_shr:4 row_mask:0xf bank_mask:0xf
	s_delay_alu instid0(VALU_DEP_1) | instskip(NEXT) | instid1(VALU_DEP_1)
	v_add_f32_e32 v10, v9, v10
	v_cndmask_b32_e64 v9, v9, v10, s11
	ds_store_b32 v0, v9
.LBB195_5:                              ;   in Loop: Header=BB195_1 Depth=1
	s_or_b32 exec_lo, exec_lo, s14
	v_mov_b32_e32 v9, s12
	s_waitcnt lgkmcnt(0)
	s_barrier
	buffer_gl0_inv
	s_and_saveexec_b32 s14, s6
	s_cbranch_execz .LBB195_7
; %bb.6:                                ;   in Loop: Header=BB195_1 Depth=1
	ds_load_b32 v9, v20
	s_waitcnt lgkmcnt(0)
	v_add_f32_e32 v9, s12, v9
.LBB195_7:                              ;   in Loop: Header=BB195_1 Depth=1
	s_or_b32 exec_lo, exec_lo, s14
	s_delay_alu instid0(VALU_DEP_1) | instskip(SKIP_1) | instid1(SALU_CYCLE_1)
	v_add_f32_e32 v4, v4, v9
	s_add_i32 s13, s13, -1
	s_cmp_lg_u32 s13, 0
	ds_bpermute_b32 v4, v12, v4
	s_waitcnt lgkmcnt(0)
	v_cndmask_b32_e64 v4, v4, v9, s7
	s_delay_alu instid0(VALU_DEP_1) | instskip(NEXT) | instid1(VALU_DEP_1)
	v_cndmask_b32_e64 v13, v4, s12, s8
	v_add_f32_e32 v14, v5, v13
	s_delay_alu instid0(VALU_DEP_1) | instskip(NEXT) | instid1(VALU_DEP_1)
	v_add_f32_e32 v15, v6, v14
	v_add_f32_e32 v16, v7, v15
	s_delay_alu instid0(VALU_DEP_1) | instskip(NEXT) | instid1(VALU_DEP_1)
	v_add_f32_e32 v9, v8, v16
	;; [unrolled: 3-line block ×3, first 2 shown]
	v_add_f32_e32 v4, v3, v11
	s_cbranch_scc0 .LBB195_9
; %bb.8:                                ;   in Loop: Header=BB195_1 Depth=1
	v_dual_mov_b32 v5, v13 :: v_dual_mov_b32 v6, v14
	v_dual_mov_b32 v7, v15 :: v_dual_mov_b32 v8, v16
	;; [unrolled: 1-line block ×3, first 2 shown]
	v_mov_b32_e32 v3, v11
	s_branch .LBB195_1
.LBB195_9:
	v_add_co_u32 v0, vcc_lo, s18, v17
	v_add_co_ci_u32_e32 v1, vcc_lo, s19, v18, vcc_lo
	s_delay_alu instid0(VALU_DEP_3)
	v_mov_b32_e32 v12, v4
	s_clause 0x1
	global_store_b128 v[0:1], v[13:16], off
	global_store_b128 v[0:1], v[9:12], off offset:16
	s_nop 0
	s_sendmsg sendmsg(MSG_DEALLOC_VGPRS)
	s_endpgm
	.section	.rodata,"a",@progbits
	.p2align	6, 0x0
	.amdhsa_kernel _Z6kernelI14exclusive_scanILN6hipcub18BlockScanAlgorithmE0EEfLj256ELj8ELj100EEvPKT0_PS4_S4_
		.amdhsa_group_segment_fixed_size 32
		.amdhsa_private_segment_fixed_size 0
		.amdhsa_kernarg_size 280
		.amdhsa_user_sgpr_count 15
		.amdhsa_user_sgpr_dispatch_ptr 0
		.amdhsa_user_sgpr_queue_ptr 0
		.amdhsa_user_sgpr_kernarg_segment_ptr 1
		.amdhsa_user_sgpr_dispatch_id 0
		.amdhsa_user_sgpr_private_segment_size 0
		.amdhsa_wavefront_size32 1
		.amdhsa_uses_dynamic_stack 0
		.amdhsa_enable_private_segment 0
		.amdhsa_system_sgpr_workgroup_id_x 1
		.amdhsa_system_sgpr_workgroup_id_y 0
		.amdhsa_system_sgpr_workgroup_id_z 0
		.amdhsa_system_sgpr_workgroup_info 0
		.amdhsa_system_vgpr_workitem_id 0
		.amdhsa_next_free_vgpr 21
		.amdhsa_next_free_sgpr 20
		.amdhsa_reserve_vcc 1
		.amdhsa_float_round_mode_32 0
		.amdhsa_float_round_mode_16_64 0
		.amdhsa_float_denorm_mode_32 3
		.amdhsa_float_denorm_mode_16_64 3
		.amdhsa_dx10_clamp 1
		.amdhsa_ieee_mode 1
		.amdhsa_fp16_overflow 0
		.amdhsa_workgroup_processor_mode 1
		.amdhsa_memory_ordered 1
		.amdhsa_forward_progress 0
		.amdhsa_shared_vgpr_count 0
		.amdhsa_exception_fp_ieee_invalid_op 0
		.amdhsa_exception_fp_denorm_src 0
		.amdhsa_exception_fp_ieee_div_zero 0
		.amdhsa_exception_fp_ieee_overflow 0
		.amdhsa_exception_fp_ieee_underflow 0
		.amdhsa_exception_fp_ieee_inexact 0
		.amdhsa_exception_int_div_zero 0
	.end_amdhsa_kernel
	.section	.text._Z6kernelI14exclusive_scanILN6hipcub18BlockScanAlgorithmE0EEfLj256ELj8ELj100EEvPKT0_PS4_S4_,"axG",@progbits,_Z6kernelI14exclusive_scanILN6hipcub18BlockScanAlgorithmE0EEfLj256ELj8ELj100EEvPKT0_PS4_S4_,comdat
.Lfunc_end195:
	.size	_Z6kernelI14exclusive_scanILN6hipcub18BlockScanAlgorithmE0EEfLj256ELj8ELj100EEvPKT0_PS4_S4_, .Lfunc_end195-_Z6kernelI14exclusive_scanILN6hipcub18BlockScanAlgorithmE0EEfLj256ELj8ELj100EEvPKT0_PS4_S4_
                                        ; -- End function
	.section	.AMDGPU.csdata,"",@progbits
; Kernel info:
; codeLenInByte = 820
; NumSgprs: 22
; NumVgprs: 21
; ScratchSize: 0
; MemoryBound: 0
; FloatMode: 240
; IeeeMode: 1
; LDSByteSize: 32 bytes/workgroup (compile time only)
; SGPRBlocks: 2
; VGPRBlocks: 2
; NumSGPRsForWavesPerEU: 22
; NumVGPRsForWavesPerEU: 21
; Occupancy: 16
; WaveLimiterHint : 0
; COMPUTE_PGM_RSRC2:SCRATCH_EN: 0
; COMPUTE_PGM_RSRC2:USER_SGPR: 15
; COMPUTE_PGM_RSRC2:TRAP_HANDLER: 0
; COMPUTE_PGM_RSRC2:TGID_X_EN: 1
; COMPUTE_PGM_RSRC2:TGID_Y_EN: 0
; COMPUTE_PGM_RSRC2:TGID_Z_EN: 0
; COMPUTE_PGM_RSRC2:TIDIG_COMP_CNT: 0
	.section	.text._Z6kernelI14exclusive_scanILN6hipcub18BlockScanAlgorithmE0EEfLj256ELj11ELj100EEvPKT0_PS4_S4_,"axG",@progbits,_Z6kernelI14exclusive_scanILN6hipcub18BlockScanAlgorithmE0EEfLj256ELj11ELj100EEvPKT0_PS4_S4_,comdat
	.protected	_Z6kernelI14exclusive_scanILN6hipcub18BlockScanAlgorithmE0EEfLj256ELj11ELj100EEvPKT0_PS4_S4_ ; -- Begin function _Z6kernelI14exclusive_scanILN6hipcub18BlockScanAlgorithmE0EEfLj256ELj11ELj100EEvPKT0_PS4_S4_
	.globl	_Z6kernelI14exclusive_scanILN6hipcub18BlockScanAlgorithmE0EEfLj256ELj11ELj100EEvPKT0_PS4_S4_
	.p2align	8
	.type	_Z6kernelI14exclusive_scanILN6hipcub18BlockScanAlgorithmE0EEfLj256ELj11ELj100EEvPKT0_PS4_S4_,@function
_Z6kernelI14exclusive_scanILN6hipcub18BlockScanAlgorithmE0EEfLj256ELj11ELj100EEvPKT0_PS4_S4_: ; @_Z6kernelI14exclusive_scanILN6hipcub18BlockScanAlgorithmE0EEfLj256ELj11ELj100EEvPKT0_PS4_S4_
; %bb.0:
	s_load_b32 s2, s[0:1], 0x24
	v_cmp_gt_u32_e64 s5, 8, v0
	v_cmp_lt_u32_e64 s6, 31, v0
	v_cmp_eq_u32_e64 s8, 0, v0
	s_waitcnt lgkmcnt(0)
	s_and_b32 s2, s2, 0xffff
	s_delay_alu instid0(SALU_CYCLE_1) | instskip(SKIP_3) | instid1(VALU_DEP_1)
	v_mad_u64_u32 v[1:2], null, s15, s2, v[0:1]
	s_clause 0x1
	s_load_b128 s[12:15], s[0:1], 0x0
	s_load_b32 s16, s[0:1], 0x10
	v_mul_lo_u32 v21, v1, 11
	s_delay_alu instid0(VALU_DEP_1) | instskip(NEXT) | instid1(VALU_DEP_1)
	v_dual_mov_b32 v22, 0 :: v_dual_add_nc_u32 v1, 1, v21
	v_dual_mov_b32 v2, v22 :: v_dual_add_nc_u32 v3, 2, v21
	v_lshlrev_b64 v[15:16], 2, v[21:22]
	v_dual_mov_b32 v4, v22 :: v_dual_add_nc_u32 v5, 3, v21
	s_delay_alu instid0(VALU_DEP_3) | instskip(SKIP_1) | instid1(VALU_DEP_3)
	v_lshlrev_b64 v[17:18], 2, v[1:2]
	v_dual_mov_b32 v6, v22 :: v_dual_add_nc_u32 v7, 4, v21
	v_lshlrev_b64 v[13:14], 2, v[3:4]
	s_waitcnt lgkmcnt(0)
	v_add_co_u32 v25, vcc_lo, s12, v15
	v_dual_mov_b32 v8, v22 :: v_dual_add_nc_u32 v11, 5, v21
	v_add_co_ci_u32_e32 v26, vcc_lo, s13, v16, vcc_lo
	v_lshlrev_b64 v[9:10], 2, v[5:6]
	v_add_co_u32 v27, vcc_lo, s12, v17
	v_dual_mov_b32 v12, v22 :: v_dual_add_nc_u32 v19, 6, v21
	v_add_co_ci_u32_e32 v28, vcc_lo, s13, v18, vcc_lo
	v_lshlrev_b64 v[5:6], 2, v[7:8]
	;; [unrolled: 4-line block ×4, first 2 shown]
	v_add_co_u32 v35, vcc_lo, s12, v5
	v_add_co_ci_u32_e32 v36, vcc_lo, s13, v6, vcc_lo
	v_add_co_u32 v37, vcc_lo, s12, v3
	v_lshlrev_b64 v[7:8], 2, v[23:24]
	v_add_nc_u32_e32 v19, 9, v21
	v_add_co_ci_u32_e32 v38, vcc_lo, s13, v4, vcc_lo
	v_add_co_u32 v23, vcc_lo, s12, v1
	v_lshlrev_b64 v[11:12], 2, v[11:12]
	v_add_nc_u32_e32 v21, 10, v21
	v_add_co_ci_u32_e32 v24, vcc_lo, s13, v2, vcc_lo
	v_add_co_u32 v39, vcc_lo, s12, v7
	v_lshlrev_b64 v[19:20], 2, v[19:20]
	v_add_co_ci_u32_e32 v40, vcc_lo, s13, v8, vcc_lo
	v_add_co_u32 v41, vcc_lo, s12, v11
	v_lshlrev_b64 v[21:22], 2, v[21:22]
	v_add_co_ci_u32_e32 v42, vcc_lo, s13, v12, vcc_lo
	v_add_co_u32 v43, vcc_lo, s12, v19
	v_add_co_ci_u32_e32 v44, vcc_lo, s13, v20, vcc_lo
	s_delay_alu instid0(VALU_DEP_4)
	v_add_co_u32 v45, vcc_lo, s12, v21
	v_add_co_ci_u32_e32 v46, vcc_lo, s13, v22, vcc_lo
	s_clause 0xa
	global_load_b32 v32, v[25:26], off
	global_load_b32 v31, v[27:28], off
	global_load_b32 v30, v[29:30], off
	global_load_b32 v29, v[33:34], off
	global_load_b32 v28, v[35:36], off
	global_load_b32 v27, v[37:38], off
	global_load_b32 v26, v[23:24], off
	global_load_b32 v25, v[39:40], off
	global_load_b32 v24, v[41:42], off
	global_load_b32 v23, v[43:44], off
	global_load_b32 v33, v[45:46], off
	v_mbcnt_lo_u32_b32 v35, -1, 0
	v_or_b32_e32 v38, 31, v0
	s_movk_i32 s12, 0x64
	s_delay_alu instid0(VALU_DEP_2) | instskip(SKIP_3) | instid1(VALU_DEP_4)
	v_and_b32_e32 v36, 16, v35
	v_add_nc_u32_e32 v37, -1, v35
	v_and_b32_e32 v34, 15, v35
	v_cmp_eq_u32_e64 s7, 0, v35
	v_cmp_eq_u32_e64 s3, 0, v36
	s_delay_alu instid0(VALU_DEP_4)
	v_cmp_gt_i32_e64 s4, 0, v37
	v_lshrrev_b32_e32 v36, 3, v0
	v_cmp_eq_u32_e32 vcc_lo, 0, v34
	v_cmp_lt_u32_e64 s0, 1, v34
	v_cmp_lt_u32_e64 s1, 3, v34
	;; [unrolled: 1-line block ×3, first 2 shown]
	v_cndmask_b32_e64 v34, v37, v35, s4
	v_and_b32_e32 v37, 7, v35
	v_and_b32_e32 v35, 28, v36
	v_cmp_eq_u32_e64 s4, v38, v0
	v_lshlrev_b32_e32 v0, 2, v0
	v_lshlrev_b32_e32 v34, 2, v34
	v_cmp_eq_u32_e64 s9, 0, v37
	v_cmp_lt_u32_e64 s10, 1, v37
	v_cmp_lt_u32_e64 s11, 3, v37
	v_add_nc_u32_e32 v36, -4, v35
.LBB196_1:                              ; =>This Inner Loop Header: Depth=1
	s_waitcnt vmcnt(9)
	s_delay_alu instid0(VALU_DEP_1) | instskip(SKIP_1) | instid1(VALU_DEP_1)
	v_add_f32_e32 v37, v31, v32
	s_waitcnt vmcnt(8)
	v_add_f32_e32 v37, v30, v37
	s_waitcnt vmcnt(7)
	s_delay_alu instid0(VALU_DEP_1) | instskip(SKIP_1) | instid1(VALU_DEP_1)
	v_add_f32_e32 v37, v29, v37
	s_waitcnt vmcnt(6)
	v_add_f32_e32 v37, v28, v37
	;; [unrolled: 5-line block ×5, first 2 shown]
	s_delay_alu instid0(VALU_DEP_1) | instskip(NEXT) | instid1(VALU_DEP_1)
	v_mov_b32_dpp v37, v33 row_shr:1 row_mask:0xf bank_mask:0xf
	v_add_f32_e32 v37, v33, v37
	s_delay_alu instid0(VALU_DEP_1) | instskip(NEXT) | instid1(VALU_DEP_1)
	v_cndmask_b32_e32 v33, v37, v33, vcc_lo
	v_mov_b32_dpp v37, v33 row_shr:2 row_mask:0xf bank_mask:0xf
	s_delay_alu instid0(VALU_DEP_1) | instskip(NEXT) | instid1(VALU_DEP_1)
	v_add_f32_e32 v37, v33, v37
	v_cndmask_b32_e64 v33, v33, v37, s0
	s_delay_alu instid0(VALU_DEP_1) | instskip(NEXT) | instid1(VALU_DEP_1)
	v_mov_b32_dpp v37, v33 row_shr:4 row_mask:0xf bank_mask:0xf
	v_add_f32_e32 v37, v33, v37
	s_delay_alu instid0(VALU_DEP_1) | instskip(NEXT) | instid1(VALU_DEP_1)
	v_cndmask_b32_e64 v33, v33, v37, s1
	v_mov_b32_dpp v37, v33 row_shr:8 row_mask:0xf bank_mask:0xf
	s_delay_alu instid0(VALU_DEP_1) | instskip(NEXT) | instid1(VALU_DEP_1)
	v_add_f32_e32 v37, v33, v37
	v_cndmask_b32_e64 v33, v33, v37, s2
	ds_swizzle_b32 v37, v33 offset:swizzle(BROADCAST,32,15)
	s_waitcnt lgkmcnt(0)
	v_add_f32_e32 v37, v33, v37
	s_delay_alu instid0(VALU_DEP_1)
	v_cndmask_b32_e64 v33, v37, v33, s3
	s_and_saveexec_b32 s13, s4
	s_cbranch_execz .LBB196_3
; %bb.2:                                ;   in Loop: Header=BB196_1 Depth=1
	ds_store_b32 v35, v33
.LBB196_3:                              ;   in Loop: Header=BB196_1 Depth=1
	s_or_b32 exec_lo, exec_lo, s13
	s_waitcnt lgkmcnt(0)
	s_barrier
	buffer_gl0_inv
	s_and_saveexec_b32 s13, s5
	s_cbranch_execz .LBB196_5
; %bb.4:                                ;   in Loop: Header=BB196_1 Depth=1
	ds_load_b32 v37, v0
	s_waitcnt lgkmcnt(0)
	v_mov_b32_dpp v38, v37 row_shr:1 row_mask:0xf bank_mask:0xf
	s_delay_alu instid0(VALU_DEP_1) | instskip(NEXT) | instid1(VALU_DEP_1)
	v_add_f32_e32 v38, v37, v38
	v_cndmask_b32_e64 v37, v38, v37, s9
	s_delay_alu instid0(VALU_DEP_1) | instskip(NEXT) | instid1(VALU_DEP_1)
	v_mov_b32_dpp v38, v37 row_shr:2 row_mask:0xf bank_mask:0xf
	v_add_f32_e32 v38, v37, v38
	s_delay_alu instid0(VALU_DEP_1) | instskip(NEXT) | instid1(VALU_DEP_1)
	v_cndmask_b32_e64 v37, v37, v38, s10
	v_mov_b32_dpp v38, v37 row_shr:4 row_mask:0xf bank_mask:0xf
	s_delay_alu instid0(VALU_DEP_1) | instskip(NEXT) | instid1(VALU_DEP_1)
	v_add_f32_e32 v38, v37, v38
	v_cndmask_b32_e64 v37, v37, v38, s11
	ds_store_b32 v0, v37
.LBB196_5:                              ;   in Loop: Header=BB196_1 Depth=1
	s_or_b32 exec_lo, exec_lo, s13
	v_mov_b32_e32 v37, s16
	s_waitcnt lgkmcnt(0)
	s_barrier
	buffer_gl0_inv
	s_and_saveexec_b32 s13, s6
	s_cbranch_execz .LBB196_7
; %bb.6:                                ;   in Loop: Header=BB196_1 Depth=1
	ds_load_b32 v37, v36
	s_waitcnt lgkmcnt(0)
	v_add_f32_e32 v37, s16, v37
.LBB196_7:                              ;   in Loop: Header=BB196_1 Depth=1
	s_or_b32 exec_lo, exec_lo, s13
	s_delay_alu instid0(VALU_DEP_1) | instskip(SKIP_1) | instid1(SALU_CYCLE_1)
	v_add_f32_e32 v33, v33, v37
	s_add_i32 s12, s12, -1
	s_cmp_lg_u32 s12, 0
	ds_bpermute_b32 v33, v34, v33
	s_waitcnt lgkmcnt(0)
	v_cndmask_b32_e64 v33, v33, v37, s7
	s_delay_alu instid0(VALU_DEP_1) | instskip(NEXT) | instid1(VALU_DEP_1)
	v_cndmask_b32_e64 v37, v33, s16, s8
	v_add_f32_e32 v32, v32, v37
	s_delay_alu instid0(VALU_DEP_1) | instskip(NEXT) | instid1(VALU_DEP_1)
	v_add_f32_e32 v31, v31, v32
	v_add_f32_e32 v30, v30, v31
	s_delay_alu instid0(VALU_DEP_1) | instskip(NEXT) | instid1(VALU_DEP_1)
	v_add_f32_e32 v29, v29, v30
	;; [unrolled: 3-line block ×4, first 2 shown]
	v_add_f32_e32 v24, v24, v25
	s_delay_alu instid0(VALU_DEP_1)
	v_add_f32_e32 v33, v23, v24
	s_cbranch_scc0 .LBB196_9
; %bb.8:                                ;   in Loop: Header=BB196_1 Depth=1
	v_dual_mov_b32 v23, v24 :: v_dual_mov_b32 v24, v25
	v_dual_mov_b32 v25, v26 :: v_dual_mov_b32 v26, v27
	;; [unrolled: 1-line block ×5, first 2 shown]
	s_branch .LBB196_1
.LBB196_9:
	v_add_co_u32 v15, vcc_lo, s14, v15
	v_add_co_ci_u32_e32 v16, vcc_lo, s15, v16, vcc_lo
	v_add_co_u32 v17, vcc_lo, s14, v17
	v_add_co_ci_u32_e32 v18, vcc_lo, s15, v18, vcc_lo
	;; [unrolled: 2-line block ×11, first 2 shown]
	s_clause 0xa
	global_store_b32 v[15:16], v37, off
	global_store_b32 v[17:18], v32, off
	global_store_b32 v[13:14], v31, off
	global_store_b32 v[9:10], v30, off
	global_store_b32 v[5:6], v29, off
	global_store_b32 v[3:4], v28, off
	global_store_b32 v[0:1], v27, off
	global_store_b32 v[7:8], v26, off
	global_store_b32 v[11:12], v25, off
	global_store_b32 v[19:20], v24, off
	global_store_b32 v[21:22], v33, off
	s_nop 0
	s_sendmsg sendmsg(MSG_DEALLOC_VGPRS)
	s_endpgm
	.section	.rodata,"a",@progbits
	.p2align	6, 0x0
	.amdhsa_kernel _Z6kernelI14exclusive_scanILN6hipcub18BlockScanAlgorithmE0EEfLj256ELj11ELj100EEvPKT0_PS4_S4_
		.amdhsa_group_segment_fixed_size 32
		.amdhsa_private_segment_fixed_size 0
		.amdhsa_kernarg_size 280
		.amdhsa_user_sgpr_count 15
		.amdhsa_user_sgpr_dispatch_ptr 0
		.amdhsa_user_sgpr_queue_ptr 0
		.amdhsa_user_sgpr_kernarg_segment_ptr 1
		.amdhsa_user_sgpr_dispatch_id 0
		.amdhsa_user_sgpr_private_segment_size 0
		.amdhsa_wavefront_size32 1
		.amdhsa_uses_dynamic_stack 0
		.amdhsa_enable_private_segment 0
		.amdhsa_system_sgpr_workgroup_id_x 1
		.amdhsa_system_sgpr_workgroup_id_y 0
		.amdhsa_system_sgpr_workgroup_id_z 0
		.amdhsa_system_sgpr_workgroup_info 0
		.amdhsa_system_vgpr_workitem_id 0
		.amdhsa_next_free_vgpr 47
		.amdhsa_next_free_sgpr 17
		.amdhsa_reserve_vcc 1
		.amdhsa_float_round_mode_32 0
		.amdhsa_float_round_mode_16_64 0
		.amdhsa_float_denorm_mode_32 3
		.amdhsa_float_denorm_mode_16_64 3
		.amdhsa_dx10_clamp 1
		.amdhsa_ieee_mode 1
		.amdhsa_fp16_overflow 0
		.amdhsa_workgroup_processor_mode 1
		.amdhsa_memory_ordered 1
		.amdhsa_forward_progress 0
		.amdhsa_shared_vgpr_count 0
		.amdhsa_exception_fp_ieee_invalid_op 0
		.amdhsa_exception_fp_denorm_src 0
		.amdhsa_exception_fp_ieee_div_zero 0
		.amdhsa_exception_fp_ieee_overflow 0
		.amdhsa_exception_fp_ieee_underflow 0
		.amdhsa_exception_fp_ieee_inexact 0
		.amdhsa_exception_int_div_zero 0
	.end_amdhsa_kernel
	.section	.text._Z6kernelI14exclusive_scanILN6hipcub18BlockScanAlgorithmE0EEfLj256ELj11ELj100EEvPKT0_PS4_S4_,"axG",@progbits,_Z6kernelI14exclusive_scanILN6hipcub18BlockScanAlgorithmE0EEfLj256ELj11ELj100EEvPKT0_PS4_S4_,comdat
.Lfunc_end196:
	.size	_Z6kernelI14exclusive_scanILN6hipcub18BlockScanAlgorithmE0EEfLj256ELj11ELj100EEvPKT0_PS4_S4_, .Lfunc_end196-_Z6kernelI14exclusive_scanILN6hipcub18BlockScanAlgorithmE0EEfLj256ELj11ELj100EEvPKT0_PS4_S4_
                                        ; -- End function
	.section	.AMDGPU.csdata,"",@progbits
; Kernel info:
; codeLenInByte = 1448
; NumSgprs: 19
; NumVgprs: 47
; ScratchSize: 0
; MemoryBound: 0
; FloatMode: 240
; IeeeMode: 1
; LDSByteSize: 32 bytes/workgroup (compile time only)
; SGPRBlocks: 2
; VGPRBlocks: 5
; NumSGPRsForWavesPerEU: 19
; NumVGPRsForWavesPerEU: 47
; Occupancy: 16
; WaveLimiterHint : 0
; COMPUTE_PGM_RSRC2:SCRATCH_EN: 0
; COMPUTE_PGM_RSRC2:USER_SGPR: 15
; COMPUTE_PGM_RSRC2:TRAP_HANDLER: 0
; COMPUTE_PGM_RSRC2:TGID_X_EN: 1
; COMPUTE_PGM_RSRC2:TGID_Y_EN: 0
; COMPUTE_PGM_RSRC2:TGID_Z_EN: 0
; COMPUTE_PGM_RSRC2:TIDIG_COMP_CNT: 0
	.section	.text._Z6kernelI14exclusive_scanILN6hipcub18BlockScanAlgorithmE0EEfLj256ELj16ELj100EEvPKT0_PS4_S4_,"axG",@progbits,_Z6kernelI14exclusive_scanILN6hipcub18BlockScanAlgorithmE0EEfLj256ELj16ELj100EEvPKT0_PS4_S4_,comdat
	.protected	_Z6kernelI14exclusive_scanILN6hipcub18BlockScanAlgorithmE0EEfLj256ELj16ELj100EEvPKT0_PS4_S4_ ; -- Begin function _Z6kernelI14exclusive_scanILN6hipcub18BlockScanAlgorithmE0EEfLj256ELj16ELj100EEvPKT0_PS4_S4_
	.globl	_Z6kernelI14exclusive_scanILN6hipcub18BlockScanAlgorithmE0EEfLj256ELj16ELj100EEvPKT0_PS4_S4_
	.p2align	8
	.type	_Z6kernelI14exclusive_scanILN6hipcub18BlockScanAlgorithmE0EEfLj256ELj16ELj100EEvPKT0_PS4_S4_,@function
_Z6kernelI14exclusive_scanILN6hipcub18BlockScanAlgorithmE0EEfLj256ELj16ELj100EEvPKT0_PS4_S4_: ; @_Z6kernelI14exclusive_scanILN6hipcub18BlockScanAlgorithmE0EEfLj256ELj16ELj100EEvPKT0_PS4_S4_
; %bb.0:
	s_clause 0x1
	s_load_b32 s2, s[0:1], 0x24
	s_load_b128 s[16:19], s[0:1], 0x0
	v_mbcnt_lo_u32_b32 v17, -1, 0
	v_mov_b32_e32 v2, 0
	s_load_b32 s12, s[0:1], 0x10
	v_or_b32_e32 v23, 31, v0
	v_cmp_gt_u32_e64 s5, 8, v0
	v_and_b32_e32 v19, 16, v17
	v_add_nc_u32_e32 v20, -1, v17
	v_and_b32_e32 v18, 15, v17
	v_cmp_lt_u32_e64 s6, 31, v0
	v_cmp_eq_u32_e64 s7, 0, v17
	v_cmp_eq_u32_e64 s3, 0, v19
	v_cmp_gt_i32_e64 s4, 0, v20
	v_cmp_lt_u32_e64 s0, 1, v18
	v_cmp_lt_u32_e64 s1, 3, v18
	v_lshrrev_b32_e32 v19, 3, v0
	v_cmp_eq_u32_e64 s8, 0, v0
	v_lshlrev_b32_e32 v25, 2, v0
	s_movk_i32 s13, 0x64
	s_waitcnt lgkmcnt(0)
	s_and_b32 s2, s2, 0xffff
	v_and_b32_e32 v24, 28, v19
	s_mul_i32 s15, s15, s2
	v_cmp_lt_u32_e64 s2, 7, v18
	v_add_lshl_u32 v1, s15, v0, 4
	s_delay_alu instid0(VALU_DEP_3) | instskip(NEXT) | instid1(VALU_DEP_2)
	v_add_nc_u32_e32 v26, -4, v24
	v_lshlrev_b64 v[21:22], 2, v[1:2]
	s_delay_alu instid0(VALU_DEP_1) | instskip(NEXT) | instid1(VALU_DEP_2)
	v_add_co_u32 v1, vcc_lo, s16, v21
	v_add_co_ci_u32_e32 v2, vcc_lo, s17, v22, vcc_lo
	v_cmp_eq_u32_e32 vcc_lo, 0, v18
	v_cndmask_b32_e64 v18, v20, v17, s4
	v_cmp_eq_u32_e64 s4, v23, v0
	s_clause 0x3
	global_load_b128 v[13:16], v[1:2], off
	global_load_b128 v[9:12], v[1:2], off offset:16
	global_load_b128 v[5:8], v[1:2], off offset:32
	;; [unrolled: 1-line block ×3, first 2 shown]
	v_lshlrev_b32_e32 v23, 2, v18
	v_and_b32_e32 v18, 7, v17
	s_delay_alu instid0(VALU_DEP_1)
	v_cmp_eq_u32_e64 s9, 0, v18
	v_cmp_lt_u32_e64 s10, 1, v18
	v_cmp_lt_u32_e64 s11, 3, v18
.LBB197_1:                              ; =>This Inner Loop Header: Depth=1
	s_waitcnt vmcnt(3)
	s_delay_alu instid0(VALU_DEP_1) | instskip(NEXT) | instid1(VALU_DEP_1)
	v_add_f32_e32 v0, v14, v13
	v_add_f32_e32 v0, v15, v0
	s_delay_alu instid0(VALU_DEP_1) | instskip(SKIP_1) | instid1(VALU_DEP_1)
	v_add_f32_e32 v0, v16, v0
	s_waitcnt vmcnt(2)
	v_add_f32_e32 v0, v9, v0
	s_delay_alu instid0(VALU_DEP_1) | instskip(NEXT) | instid1(VALU_DEP_1)
	v_add_f32_e32 v0, v10, v0
	v_add_f32_e32 v0, v11, v0
	s_delay_alu instid0(VALU_DEP_1) | instskip(SKIP_1) | instid1(VALU_DEP_1)
	v_add_f32_e32 v0, v12, v0
	s_waitcnt vmcnt(1)
	v_add_f32_e32 v0, v5, v0
	;; [unrolled: 7-line block ×3, first 2 shown]
	s_delay_alu instid0(VALU_DEP_1) | instskip(NEXT) | instid1(VALU_DEP_1)
	v_add_f32_e32 v0, v2, v0
	v_add_f32_e32 v0, v3, v0
	s_delay_alu instid0(VALU_DEP_1) | instskip(NEXT) | instid1(VALU_DEP_1)
	v_add_f32_e32 v0, v4, v0
	v_mov_b32_dpp v4, v0 row_shr:1 row_mask:0xf bank_mask:0xf
	s_delay_alu instid0(VALU_DEP_1) | instskip(NEXT) | instid1(VALU_DEP_1)
	v_add_f32_e32 v4, v0, v4
	v_cndmask_b32_e32 v0, v4, v0, vcc_lo
	s_delay_alu instid0(VALU_DEP_1) | instskip(NEXT) | instid1(VALU_DEP_1)
	v_mov_b32_dpp v4, v0 row_shr:2 row_mask:0xf bank_mask:0xf
	v_add_f32_e32 v4, v0, v4
	s_delay_alu instid0(VALU_DEP_1) | instskip(NEXT) | instid1(VALU_DEP_1)
	v_cndmask_b32_e64 v0, v0, v4, s0
	v_mov_b32_dpp v4, v0 row_shr:4 row_mask:0xf bank_mask:0xf
	s_delay_alu instid0(VALU_DEP_1) | instskip(NEXT) | instid1(VALU_DEP_1)
	v_add_f32_e32 v4, v0, v4
	v_cndmask_b32_e64 v0, v0, v4, s1
	s_delay_alu instid0(VALU_DEP_1) | instskip(NEXT) | instid1(VALU_DEP_1)
	v_mov_b32_dpp v4, v0 row_shr:8 row_mask:0xf bank_mask:0xf
	v_add_f32_e32 v4, v0, v4
	s_delay_alu instid0(VALU_DEP_1) | instskip(SKIP_3) | instid1(VALU_DEP_1)
	v_cndmask_b32_e64 v0, v0, v4, s2
	ds_swizzle_b32 v4, v0 offset:swizzle(BROADCAST,32,15)
	s_waitcnt lgkmcnt(0)
	v_add_f32_e32 v4, v0, v4
	v_cndmask_b32_e64 v0, v4, v0, s3
	s_and_saveexec_b32 s14, s4
	s_cbranch_execz .LBB197_3
; %bb.2:                                ;   in Loop: Header=BB197_1 Depth=1
	ds_store_b32 v24, v0
.LBB197_3:                              ;   in Loop: Header=BB197_1 Depth=1
	s_or_b32 exec_lo, exec_lo, s14
	s_waitcnt lgkmcnt(0)
	s_barrier
	buffer_gl0_inv
	s_and_saveexec_b32 s14, s5
	s_cbranch_execz .LBB197_5
; %bb.4:                                ;   in Loop: Header=BB197_1 Depth=1
	ds_load_b32 v4, v25
	s_waitcnt lgkmcnt(0)
	v_mov_b32_dpp v17, v4 row_shr:1 row_mask:0xf bank_mask:0xf
	s_delay_alu instid0(VALU_DEP_1) | instskip(NEXT) | instid1(VALU_DEP_1)
	v_add_f32_e32 v17, v4, v17
	v_cndmask_b32_e64 v4, v17, v4, s9
	s_delay_alu instid0(VALU_DEP_1) | instskip(NEXT) | instid1(VALU_DEP_1)
	v_mov_b32_dpp v17, v4 row_shr:2 row_mask:0xf bank_mask:0xf
	v_add_f32_e32 v17, v4, v17
	s_delay_alu instid0(VALU_DEP_1) | instskip(NEXT) | instid1(VALU_DEP_1)
	v_cndmask_b32_e64 v4, v4, v17, s10
	v_mov_b32_dpp v17, v4 row_shr:4 row_mask:0xf bank_mask:0xf
	s_delay_alu instid0(VALU_DEP_1) | instskip(NEXT) | instid1(VALU_DEP_1)
	v_add_f32_e32 v17, v4, v17
	v_cndmask_b32_e64 v4, v4, v17, s11
	ds_store_b32 v25, v4
.LBB197_5:                              ;   in Loop: Header=BB197_1 Depth=1
	s_or_b32 exec_lo, exec_lo, s14
	v_mov_b32_e32 v4, s12
	s_waitcnt lgkmcnt(0)
	s_barrier
	buffer_gl0_inv
	s_and_saveexec_b32 s14, s6
	s_cbranch_execz .LBB197_7
; %bb.6:                                ;   in Loop: Header=BB197_1 Depth=1
	ds_load_b32 v4, v26
	s_waitcnt lgkmcnt(0)
	v_add_f32_e32 v4, s12, v4
.LBB197_7:                              ;   in Loop: Header=BB197_1 Depth=1
	s_or_b32 exec_lo, exec_lo, s14
	s_delay_alu instid0(VALU_DEP_1) | instskip(SKIP_1) | instid1(SALU_CYCLE_1)
	v_add_f32_e32 v0, v0, v4
	s_add_i32 s13, s13, -1
	s_cmp_lg_u32 s13, 0
	ds_bpermute_b32 v0, v23, v0
	s_waitcnt lgkmcnt(0)
	v_cndmask_b32_e64 v0, v0, v4, s7
	s_delay_alu instid0(VALU_DEP_1) | instskip(NEXT) | instid1(VALU_DEP_1)
	v_cndmask_b32_e64 v17, v0, s12, s8
	v_add_f32_e32 v18, v13, v17
	s_delay_alu instid0(VALU_DEP_1) | instskip(NEXT) | instid1(VALU_DEP_1)
	v_add_f32_e32 v19, v14, v18
	v_add_f32_e32 v20, v15, v19
	s_delay_alu instid0(VALU_DEP_1) | instskip(NEXT) | instid1(VALU_DEP_1)
	v_add_f32_e32 v13, v16, v20
	;; [unrolled: 3-line block ×7, first 2 shown]
	v_add_f32_e32 v4, v3, v2
	s_cbranch_scc0 .LBB197_9
; %bb.8:                                ;   in Loop: Header=BB197_1 Depth=1
	v_dual_mov_b32 v3, v2 :: v_dual_mov_b32 v2, v1
	v_dual_mov_b32 v1, v0 :: v_dual_mov_b32 v6, v10
	;; [unrolled: 1-line block ×7, first 2 shown]
	v_mov_b32_e32 v13, v17
	s_branch .LBB197_1
.LBB197_9:
	v_add_co_u32 v5, vcc_lo, s18, v21
	v_add_co_ci_u32_e32 v6, vcc_lo, s19, v22, vcc_lo
	s_delay_alu instid0(VALU_DEP_3)
	v_mov_b32_e32 v3, v4
	s_clause 0x3
	global_store_b128 v[5:6], v[17:20], off
	global_store_b128 v[5:6], v[13:16], off offset:16
	global_store_b128 v[5:6], v[9:12], off offset:32
	;; [unrolled: 1-line block ×3, first 2 shown]
	s_nop 0
	s_sendmsg sendmsg(MSG_DEALLOC_VGPRS)
	s_endpgm
	.section	.rodata,"a",@progbits
	.p2align	6, 0x0
	.amdhsa_kernel _Z6kernelI14exclusive_scanILN6hipcub18BlockScanAlgorithmE0EEfLj256ELj16ELj100EEvPKT0_PS4_S4_
		.amdhsa_group_segment_fixed_size 32
		.amdhsa_private_segment_fixed_size 0
		.amdhsa_kernarg_size 280
		.amdhsa_user_sgpr_count 15
		.amdhsa_user_sgpr_dispatch_ptr 0
		.amdhsa_user_sgpr_queue_ptr 0
		.amdhsa_user_sgpr_kernarg_segment_ptr 1
		.amdhsa_user_sgpr_dispatch_id 0
		.amdhsa_user_sgpr_private_segment_size 0
		.amdhsa_wavefront_size32 1
		.amdhsa_uses_dynamic_stack 0
		.amdhsa_enable_private_segment 0
		.amdhsa_system_sgpr_workgroup_id_x 1
		.amdhsa_system_sgpr_workgroup_id_y 0
		.amdhsa_system_sgpr_workgroup_id_z 0
		.amdhsa_system_sgpr_workgroup_info 0
		.amdhsa_system_vgpr_workitem_id 0
		.amdhsa_next_free_vgpr 27
		.amdhsa_next_free_sgpr 20
		.amdhsa_reserve_vcc 1
		.amdhsa_float_round_mode_32 0
		.amdhsa_float_round_mode_16_64 0
		.amdhsa_float_denorm_mode_32 3
		.amdhsa_float_denorm_mode_16_64 3
		.amdhsa_dx10_clamp 1
		.amdhsa_ieee_mode 1
		.amdhsa_fp16_overflow 0
		.amdhsa_workgroup_processor_mode 1
		.amdhsa_memory_ordered 1
		.amdhsa_forward_progress 0
		.amdhsa_shared_vgpr_count 0
		.amdhsa_exception_fp_ieee_invalid_op 0
		.amdhsa_exception_fp_denorm_src 0
		.amdhsa_exception_fp_ieee_div_zero 0
		.amdhsa_exception_fp_ieee_overflow 0
		.amdhsa_exception_fp_ieee_underflow 0
		.amdhsa_exception_fp_ieee_inexact 0
		.amdhsa_exception_int_div_zero 0
	.end_amdhsa_kernel
	.section	.text._Z6kernelI14exclusive_scanILN6hipcub18BlockScanAlgorithmE0EEfLj256ELj16ELj100EEvPKT0_PS4_S4_,"axG",@progbits,_Z6kernelI14exclusive_scanILN6hipcub18BlockScanAlgorithmE0EEfLj256ELj16ELj100EEvPKT0_PS4_S4_,comdat
.Lfunc_end197:
	.size	_Z6kernelI14exclusive_scanILN6hipcub18BlockScanAlgorithmE0EEfLj256ELj16ELj100EEvPKT0_PS4_S4_, .Lfunc_end197-_Z6kernelI14exclusive_scanILN6hipcub18BlockScanAlgorithmE0EEfLj256ELj16ELj100EEvPKT0_PS4_S4_
                                        ; -- End function
	.section	.AMDGPU.csdata,"",@progbits
; Kernel info:
; codeLenInByte = 988
; NumSgprs: 22
; NumVgprs: 27
; ScratchSize: 0
; MemoryBound: 0
; FloatMode: 240
; IeeeMode: 1
; LDSByteSize: 32 bytes/workgroup (compile time only)
; SGPRBlocks: 2
; VGPRBlocks: 3
; NumSGPRsForWavesPerEU: 22
; NumVGPRsForWavesPerEU: 27
; Occupancy: 16
; WaveLimiterHint : 0
; COMPUTE_PGM_RSRC2:SCRATCH_EN: 0
; COMPUTE_PGM_RSRC2:USER_SGPR: 15
; COMPUTE_PGM_RSRC2:TRAP_HANDLER: 0
; COMPUTE_PGM_RSRC2:TGID_X_EN: 1
; COMPUTE_PGM_RSRC2:TGID_Y_EN: 0
; COMPUTE_PGM_RSRC2:TGID_Z_EN: 0
; COMPUTE_PGM_RSRC2:TIDIG_COMP_CNT: 0
	.section	.text._Z6kernelI14exclusive_scanILN6hipcub18BlockScanAlgorithmE0EEdLj256ELj1ELj100EEvPKT0_PS4_S4_,"axG",@progbits,_Z6kernelI14exclusive_scanILN6hipcub18BlockScanAlgorithmE0EEdLj256ELj1ELj100EEvPKT0_PS4_S4_,comdat
	.protected	_Z6kernelI14exclusive_scanILN6hipcub18BlockScanAlgorithmE0EEdLj256ELj1ELj100EEvPKT0_PS4_S4_ ; -- Begin function _Z6kernelI14exclusive_scanILN6hipcub18BlockScanAlgorithmE0EEdLj256ELj1ELj100EEvPKT0_PS4_S4_
	.globl	_Z6kernelI14exclusive_scanILN6hipcub18BlockScanAlgorithmE0EEdLj256ELj1ELj100EEvPKT0_PS4_S4_
	.p2align	8
	.type	_Z6kernelI14exclusive_scanILN6hipcub18BlockScanAlgorithmE0EEdLj256ELj1ELj100EEvPKT0_PS4_S4_,@function
_Z6kernelI14exclusive_scanILN6hipcub18BlockScanAlgorithmE0EEdLj256ELj1ELj100EEvPKT0_PS4_S4_: ; @_Z6kernelI14exclusive_scanILN6hipcub18BlockScanAlgorithmE0EEdLj256ELj1ELj100EEvPKT0_PS4_S4_
; %bb.0:
	s_clause 0x1
	s_load_b32 s2, s[0:1], 0x24
	s_load_b128 s[16:19], s[0:1], 0x0
	v_mbcnt_lo_u32_b32 v5, -1, 0
	s_load_b64 s[12:13], s[0:1], 0x10
	v_or_b32_e32 v8, 31, v0
	v_cmp_lt_u32_e64 s6, 31, v0
	s_movk_i32 s11, 0x64
	v_add_nc_u32_e32 v9, -1, v5
	v_and_b32_e32 v6, 15, v5
	v_cmp_eq_u32_e64 s4, v8, v0
	v_and_b32_e32 v8, 7, v5
	v_cmp_eq_u32_e64 s7, 0, v5
	v_cmp_gt_i32_e64 s5, 0, v9
	v_cmp_lt_u32_e64 s0, 1, v6
	v_cmp_lt_u32_e64 s1, 3, v6
	v_cmp_ne_u32_e64 s8, 0, v8
	v_cmp_lt_u32_e64 s9, 1, v8
	v_cmp_lt_u32_e64 s10, 3, v8
	v_and_b32_e32 v7, 16, v5
	s_waitcnt lgkmcnt(0)
	s_and_b32 s2, s2, 0xffff
	s_delay_alu instid0(SALU_CYCLE_1) | instskip(SKIP_4) | instid1(VALU_DEP_4)
	v_mad_u64_u32 v[1:2], null, s15, s2, v[0:1]
	v_mov_b32_e32 v2, 0
	v_cmp_lt_u32_e64 s2, 7, v6
	v_cmp_ne_u32_e64 s3, 0, v7
	v_lshrrev_b32_e32 v7, 2, v0
	v_lshlrev_b64 v[1:2], 3, v[1:2]
	s_delay_alu instid0(VALU_DEP_2) | instskip(NEXT) | instid1(VALU_DEP_2)
	v_and_b32_e32 v10, 56, v7
	v_add_co_u32 v3, vcc_lo, s16, v1
	s_delay_alu instid0(VALU_DEP_3)
	v_add_co_ci_u32_e32 v4, vcc_lo, s17, v2, vcc_lo
	v_cmp_ne_u32_e32 vcc_lo, 0, v6
	v_cndmask_b32_e64 v6, v9, v5, s5
	v_cmp_gt_u32_e64 s5, 8, v0
	global_load_b64 v[3:4], v[3:4], off
	v_lshlrev_b32_e32 v0, 3, v0
	v_add_nc_u32_e32 v11, -8, v10
	v_lshlrev_b32_e32 v9, 2, v6
	s_branch .LBB198_2
.LBB198_1:                              ;   in Loop: Header=BB198_2 Depth=1
	s_or_b32 exec_lo, exec_lo, s14
	s_delay_alu instid0(VALU_DEP_1) | instskip(SKIP_1) | instid1(SALU_CYCLE_1)
	v_add_f64 v[3:4], v[3:4], v[5:6]
	s_add_i32 s11, s11, -1
	s_cmp_lg_u32 s11, 0
	ds_bpermute_b32 v4, v9, v4
	ds_bpermute_b32 v3, v9, v3
	s_waitcnt lgkmcnt(1)
	v_cndmask_b32_e64 v4, v4, v6, s7
	s_waitcnt lgkmcnt(0)
	v_cndmask_b32_e64 v3, v3, v5, s7
	s_cbranch_scc0 .LBB198_24
.LBB198_2:                              ; =>This Inner Loop Header: Depth=1
	s_waitcnt vmcnt(0)
	s_delay_alu instid0(VALU_DEP_1)
	v_mov_b32_dpp v5, v3 row_shr:1 row_mask:0xf bank_mask:0xf
	v_mov_b32_dpp v6, v4 row_shr:1 row_mask:0xf bank_mask:0xf
	s_and_saveexec_b32 s14, vcc_lo
; %bb.3:                                ;   in Loop: Header=BB198_2 Depth=1
	s_delay_alu instid0(VALU_DEP_1)
	v_add_f64 v[3:4], v[3:4], v[5:6]
; %bb.4:                                ;   in Loop: Header=BB198_2 Depth=1
	s_or_b32 exec_lo, exec_lo, s14
	s_delay_alu instid0(VALU_DEP_1) | instskip(NEXT) | instid1(VALU_DEP_2)
	v_mov_b32_dpp v5, v3 row_shr:2 row_mask:0xf bank_mask:0xf
	v_mov_b32_dpp v6, v4 row_shr:2 row_mask:0xf bank_mask:0xf
	s_and_saveexec_b32 s14, s0
; %bb.5:                                ;   in Loop: Header=BB198_2 Depth=1
	s_delay_alu instid0(VALU_DEP_1)
	v_add_f64 v[3:4], v[3:4], v[5:6]
; %bb.6:                                ;   in Loop: Header=BB198_2 Depth=1
	s_or_b32 exec_lo, exec_lo, s14
	s_delay_alu instid0(VALU_DEP_1) | instskip(NEXT) | instid1(VALU_DEP_2)
	v_mov_b32_dpp v5, v3 row_shr:4 row_mask:0xf bank_mask:0xf
	v_mov_b32_dpp v6, v4 row_shr:4 row_mask:0xf bank_mask:0xf
	s_and_saveexec_b32 s14, s1
	;; [unrolled: 9-line block ×3, first 2 shown]
; %bb.9:                                ;   in Loop: Header=BB198_2 Depth=1
	s_delay_alu instid0(VALU_DEP_1)
	v_add_f64 v[3:4], v[3:4], v[5:6]
; %bb.10:                               ;   in Loop: Header=BB198_2 Depth=1
	s_or_b32 exec_lo, exec_lo, s14
	ds_swizzle_b32 v5, v3 offset:swizzle(BROADCAST,32,15)
	ds_swizzle_b32 v6, v4 offset:swizzle(BROADCAST,32,15)
	s_and_saveexec_b32 s14, s3
	s_cbranch_execz .LBB198_12
; %bb.11:                               ;   in Loop: Header=BB198_2 Depth=1
	s_waitcnt lgkmcnt(0)
	v_add_f64 v[3:4], v[3:4], v[5:6]
.LBB198_12:                             ;   in Loop: Header=BB198_2 Depth=1
	s_or_b32 exec_lo, exec_lo, s14
	s_and_saveexec_b32 s14, s4
	s_cbranch_execz .LBB198_14
; %bb.13:                               ;   in Loop: Header=BB198_2 Depth=1
	ds_store_b64 v10, v[3:4]
.LBB198_14:                             ;   in Loop: Header=BB198_2 Depth=1
	s_or_b32 exec_lo, exec_lo, s14
	s_waitcnt lgkmcnt(0)
	s_barrier
	buffer_gl0_inv
	s_and_saveexec_b32 s14, s5
	s_cbranch_execz .LBB198_22
; %bb.15:                               ;   in Loop: Header=BB198_2 Depth=1
	ds_load_b64 v[5:6], v0
	s_waitcnt lgkmcnt(0)
	v_mov_b32_dpp v7, v5 row_shr:1 row_mask:0xf bank_mask:0xf
	v_mov_b32_dpp v8, v6 row_shr:1 row_mask:0xf bank_mask:0xf
	s_and_saveexec_b32 s15, s8
; %bb.16:                               ;   in Loop: Header=BB198_2 Depth=1
	s_delay_alu instid0(VALU_DEP_1)
	v_add_f64 v[5:6], v[5:6], v[7:8]
; %bb.17:                               ;   in Loop: Header=BB198_2 Depth=1
	s_or_b32 exec_lo, exec_lo, s15
	s_delay_alu instid0(VALU_DEP_1) | instskip(NEXT) | instid1(VALU_DEP_2)
	v_mov_b32_dpp v7, v5 row_shr:2 row_mask:0xf bank_mask:0xf
	v_mov_b32_dpp v8, v6 row_shr:2 row_mask:0xf bank_mask:0xf
	s_and_saveexec_b32 s15, s9
; %bb.18:                               ;   in Loop: Header=BB198_2 Depth=1
	s_delay_alu instid0(VALU_DEP_1)
	v_add_f64 v[5:6], v[5:6], v[7:8]
; %bb.19:                               ;   in Loop: Header=BB198_2 Depth=1
	s_or_b32 exec_lo, exec_lo, s15
	s_delay_alu instid0(VALU_DEP_1) | instskip(NEXT) | instid1(VALU_DEP_2)
	v_mov_b32_dpp v7, v5 row_shr:4 row_mask:0xf bank_mask:0xf
	v_mov_b32_dpp v8, v6 row_shr:4 row_mask:0xf bank_mask:0xf
	s_and_saveexec_b32 s15, s10
; %bb.20:                               ;   in Loop: Header=BB198_2 Depth=1
	s_delay_alu instid0(VALU_DEP_1)
	v_add_f64 v[5:6], v[5:6], v[7:8]
; %bb.21:                               ;   in Loop: Header=BB198_2 Depth=1
	s_or_b32 exec_lo, exec_lo, s15
	ds_store_b64 v0, v[5:6]
.LBB198_22:                             ;   in Loop: Header=BB198_2 Depth=1
	s_or_b32 exec_lo, exec_lo, s14
	v_dual_mov_b32 v5, s12 :: v_dual_mov_b32 v6, s13
	s_waitcnt lgkmcnt(0)
	s_barrier
	buffer_gl0_inv
	s_and_saveexec_b32 s14, s6
	s_cbranch_execz .LBB198_1
; %bb.23:                               ;   in Loop: Header=BB198_2 Depth=1
	ds_load_b64 v[5:6], v11
	s_waitcnt lgkmcnt(0)
	v_add_f64 v[5:6], v[5:6], s[12:13]
	s_branch .LBB198_1
.LBB198_24:
	v_add_co_u32 v0, vcc_lo, s18, v1
	v_add_co_ci_u32_e32 v1, vcc_lo, s19, v2, vcc_lo
	global_store_b64 v[0:1], v[3:4], off
	s_nop 0
	s_sendmsg sendmsg(MSG_DEALLOC_VGPRS)
	s_endpgm
	.section	.rodata,"a",@progbits
	.p2align	6, 0x0
	.amdhsa_kernel _Z6kernelI14exclusive_scanILN6hipcub18BlockScanAlgorithmE0EEdLj256ELj1ELj100EEvPKT0_PS4_S4_
		.amdhsa_group_segment_fixed_size 64
		.amdhsa_private_segment_fixed_size 0
		.amdhsa_kernarg_size 280
		.amdhsa_user_sgpr_count 15
		.amdhsa_user_sgpr_dispatch_ptr 0
		.amdhsa_user_sgpr_queue_ptr 0
		.amdhsa_user_sgpr_kernarg_segment_ptr 1
		.amdhsa_user_sgpr_dispatch_id 0
		.amdhsa_user_sgpr_private_segment_size 0
		.amdhsa_wavefront_size32 1
		.amdhsa_uses_dynamic_stack 0
		.amdhsa_enable_private_segment 0
		.amdhsa_system_sgpr_workgroup_id_x 1
		.amdhsa_system_sgpr_workgroup_id_y 0
		.amdhsa_system_sgpr_workgroup_id_z 0
		.amdhsa_system_sgpr_workgroup_info 0
		.amdhsa_system_vgpr_workitem_id 0
		.amdhsa_next_free_vgpr 12
		.amdhsa_next_free_sgpr 20
		.amdhsa_reserve_vcc 1
		.amdhsa_float_round_mode_32 0
		.amdhsa_float_round_mode_16_64 0
		.amdhsa_float_denorm_mode_32 3
		.amdhsa_float_denorm_mode_16_64 3
		.amdhsa_dx10_clamp 1
		.amdhsa_ieee_mode 1
		.amdhsa_fp16_overflow 0
		.amdhsa_workgroup_processor_mode 1
		.amdhsa_memory_ordered 1
		.amdhsa_forward_progress 0
		.amdhsa_shared_vgpr_count 0
		.amdhsa_exception_fp_ieee_invalid_op 0
		.amdhsa_exception_fp_denorm_src 0
		.amdhsa_exception_fp_ieee_div_zero 0
		.amdhsa_exception_fp_ieee_overflow 0
		.amdhsa_exception_fp_ieee_underflow 0
		.amdhsa_exception_fp_ieee_inexact 0
		.amdhsa_exception_int_div_zero 0
	.end_amdhsa_kernel
	.section	.text._Z6kernelI14exclusive_scanILN6hipcub18BlockScanAlgorithmE0EEdLj256ELj1ELj100EEvPKT0_PS4_S4_,"axG",@progbits,_Z6kernelI14exclusive_scanILN6hipcub18BlockScanAlgorithmE0EEdLj256ELj1ELj100EEvPKT0_PS4_S4_,comdat
.Lfunc_end198:
	.size	_Z6kernelI14exclusive_scanILN6hipcub18BlockScanAlgorithmE0EEdLj256ELj1ELj100EEvPKT0_PS4_S4_, .Lfunc_end198-_Z6kernelI14exclusive_scanILN6hipcub18BlockScanAlgorithmE0EEdLj256ELj1ELj100EEvPKT0_PS4_S4_
                                        ; -- End function
	.section	.AMDGPU.csdata,"",@progbits
; Kernel info:
; codeLenInByte = 800
; NumSgprs: 22
; NumVgprs: 12
; ScratchSize: 0
; MemoryBound: 0
; FloatMode: 240
; IeeeMode: 1
; LDSByteSize: 64 bytes/workgroup (compile time only)
; SGPRBlocks: 2
; VGPRBlocks: 1
; NumSGPRsForWavesPerEU: 22
; NumVGPRsForWavesPerEU: 12
; Occupancy: 16
; WaveLimiterHint : 0
; COMPUTE_PGM_RSRC2:SCRATCH_EN: 0
; COMPUTE_PGM_RSRC2:USER_SGPR: 15
; COMPUTE_PGM_RSRC2:TRAP_HANDLER: 0
; COMPUTE_PGM_RSRC2:TGID_X_EN: 1
; COMPUTE_PGM_RSRC2:TGID_Y_EN: 0
; COMPUTE_PGM_RSRC2:TGID_Z_EN: 0
; COMPUTE_PGM_RSRC2:TIDIG_COMP_CNT: 0
	.section	.text._Z6kernelI14exclusive_scanILN6hipcub18BlockScanAlgorithmE0EEdLj256ELj3ELj100EEvPKT0_PS4_S4_,"axG",@progbits,_Z6kernelI14exclusive_scanILN6hipcub18BlockScanAlgorithmE0EEdLj256ELj3ELj100EEvPKT0_PS4_S4_,comdat
	.protected	_Z6kernelI14exclusive_scanILN6hipcub18BlockScanAlgorithmE0EEdLj256ELj3ELj100EEvPKT0_PS4_S4_ ; -- Begin function _Z6kernelI14exclusive_scanILN6hipcub18BlockScanAlgorithmE0EEdLj256ELj3ELj100EEvPKT0_PS4_S4_
	.globl	_Z6kernelI14exclusive_scanILN6hipcub18BlockScanAlgorithmE0EEdLj256ELj3ELj100EEvPKT0_PS4_S4_
	.p2align	8
	.type	_Z6kernelI14exclusive_scanILN6hipcub18BlockScanAlgorithmE0EEdLj256ELj3ELj100EEvPKT0_PS4_S4_,@function
_Z6kernelI14exclusive_scanILN6hipcub18BlockScanAlgorithmE0EEdLj256ELj3ELj100EEvPKT0_PS4_S4_: ; @_Z6kernelI14exclusive_scanILN6hipcub18BlockScanAlgorithmE0EEdLj256ELj3ELj100EEvPKT0_PS4_S4_
; %bb.0:
	s_load_b32 s2, s[0:1], 0x24
	v_mbcnt_lo_u32_b32 v13, -1, 0
	v_or_b32_e32 v17, 31, v0
	v_cmp_gt_u32_e64 s5, 8, v0
	v_cmp_lt_u32_e64 s6, 31, v0
	v_cmp_eq_u32_e64 s8, 0, v0
	v_add_nc_u32_e32 v16, -1, v13
	v_and_b32_e32 v14, 15, v13
	v_and_b32_e32 v15, 16, v13
	v_cmp_eq_u32_e64 s7, 0, v13
	s_load_b64 s[16:17], s[0:1], 0x10
	v_cmp_gt_i32_e64 s4, 0, v16
	s_delay_alu instid0(VALU_DEP_3) | instskip(SKIP_1) | instid1(VALU_DEP_1)
	v_cmp_ne_u32_e64 s3, 0, v15
	v_lshrrev_b32_e32 v15, 2, v0
	v_and_b32_e32 v18, 56, v15
	s_waitcnt lgkmcnt(0)
	s_and_b32 s2, s2, 0xffff
	s_delay_alu instid0(SALU_CYCLE_1)
	v_mad_u64_u32 v[1:2], null, s15, s2, v[0:1]
	s_load_b128 s[12:15], s[0:1], 0x0
	v_cmp_lt_u32_e64 s0, 1, v14
	v_cmp_lt_u32_e64 s1, 3, v14
	;; [unrolled: 1-line block ×3, first 2 shown]
	v_add_nc_u32_e32 v19, -8, v18
	v_lshl_add_u32 v3, v1, 1, v1
	s_delay_alu instid0(VALU_DEP_1) | instskip(NEXT) | instid1(VALU_DEP_1)
	v_dual_mov_b32 v4, 0 :: v_dual_add_nc_u32 v5, 1, v3
	v_mov_b32_e32 v6, v4
	v_lshlrev_b64 v[1:2], 3, v[3:4]
	v_add_nc_u32_e32 v3, 2, v3
	s_delay_alu instid0(VALU_DEP_3) | instskip(NEXT) | instid1(VALU_DEP_2)
	v_lshlrev_b64 v[5:6], 3, v[5:6]
	v_lshlrev_b64 v[3:4], 3, v[3:4]
	s_waitcnt lgkmcnt(0)
	s_delay_alu instid0(VALU_DEP_4) | instskip(SKIP_1) | instid1(VALU_DEP_4)
	v_add_co_u32 v7, vcc_lo, s12, v1
	v_add_co_ci_u32_e32 v8, vcc_lo, s13, v2, vcc_lo
	v_add_co_u32 v9, vcc_lo, s12, v5
	v_add_co_ci_u32_e32 v10, vcc_lo, s13, v6, vcc_lo
	;; [unrolled: 2-line block ×3, first 2 shown]
	s_clause 0x2
	global_load_b64 v[7:8], v[7:8], off
	global_load_b64 v[9:10], v[9:10], off
	;; [unrolled: 1-line block ×3, first 2 shown]
	v_cmp_ne_u32_e32 vcc_lo, 0, v14
	v_cndmask_b32_e64 v14, v16, v13, s4
	v_cmp_eq_u32_e64 s4, v17, v0
	v_lshlrev_b32_e32 v0, 3, v0
	s_movk_i32 s12, 0x64
	s_delay_alu instid0(VALU_DEP_3) | instskip(SKIP_1) | instid1(VALU_DEP_1)
	v_lshlrev_b32_e32 v17, 2, v14
	v_and_b32_e32 v14, 7, v13
	v_cmp_ne_u32_e64 s9, 0, v14
	v_cmp_lt_u32_e64 s10, 1, v14
	v_cmp_lt_u32_e64 s11, 3, v14
.LBB199_1:                              ; =>This Inner Loop Header: Depth=1
	s_waitcnt vmcnt(1)
	s_delay_alu instid0(VALU_DEP_1) | instskip(SKIP_1) | instid1(VALU_DEP_1)
	v_add_f64 v[13:14], v[7:8], v[9:10]
	s_waitcnt vmcnt(0)
	v_add_f64 v[11:12], v[11:12], v[13:14]
	s_delay_alu instid0(VALU_DEP_1) | instskip(NEXT) | instid1(VALU_DEP_2)
	v_mov_b32_dpp v13, v11 row_shr:1 row_mask:0xf bank_mask:0xf
	v_mov_b32_dpp v14, v12 row_shr:1 row_mask:0xf bank_mask:0xf
	s_and_saveexec_b32 s13, vcc_lo
; %bb.2:                                ;   in Loop: Header=BB199_1 Depth=1
	s_delay_alu instid0(VALU_DEP_1)
	v_add_f64 v[11:12], v[11:12], v[13:14]
; %bb.3:                                ;   in Loop: Header=BB199_1 Depth=1
	s_or_b32 exec_lo, exec_lo, s13
	s_delay_alu instid0(VALU_DEP_1) | instskip(NEXT) | instid1(VALU_DEP_2)
	v_mov_b32_dpp v13, v11 row_shr:2 row_mask:0xf bank_mask:0xf
	v_mov_b32_dpp v14, v12 row_shr:2 row_mask:0xf bank_mask:0xf
	s_and_saveexec_b32 s13, s0
; %bb.4:                                ;   in Loop: Header=BB199_1 Depth=1
	s_delay_alu instid0(VALU_DEP_1)
	v_add_f64 v[11:12], v[11:12], v[13:14]
; %bb.5:                                ;   in Loop: Header=BB199_1 Depth=1
	s_or_b32 exec_lo, exec_lo, s13
	s_delay_alu instid0(VALU_DEP_1) | instskip(NEXT) | instid1(VALU_DEP_2)
	v_mov_b32_dpp v13, v11 row_shr:4 row_mask:0xf bank_mask:0xf
	v_mov_b32_dpp v14, v12 row_shr:4 row_mask:0xf bank_mask:0xf
	s_and_saveexec_b32 s13, s1
	;; [unrolled: 9-line block ×3, first 2 shown]
; %bb.8:                                ;   in Loop: Header=BB199_1 Depth=1
	s_delay_alu instid0(VALU_DEP_1)
	v_add_f64 v[11:12], v[11:12], v[13:14]
; %bb.9:                                ;   in Loop: Header=BB199_1 Depth=1
	s_or_b32 exec_lo, exec_lo, s13
	ds_swizzle_b32 v13, v11 offset:swizzle(BROADCAST,32,15)
	ds_swizzle_b32 v14, v12 offset:swizzle(BROADCAST,32,15)
	s_and_saveexec_b32 s13, s3
	s_cbranch_execz .LBB199_11
; %bb.10:                               ;   in Loop: Header=BB199_1 Depth=1
	s_waitcnt lgkmcnt(0)
	v_add_f64 v[11:12], v[11:12], v[13:14]
.LBB199_11:                             ;   in Loop: Header=BB199_1 Depth=1
	s_or_b32 exec_lo, exec_lo, s13
	s_and_saveexec_b32 s13, s4
	s_cbranch_execz .LBB199_13
; %bb.12:                               ;   in Loop: Header=BB199_1 Depth=1
	ds_store_b64 v18, v[11:12]
.LBB199_13:                             ;   in Loop: Header=BB199_1 Depth=1
	s_or_b32 exec_lo, exec_lo, s13
	s_waitcnt lgkmcnt(0)
	s_barrier
	buffer_gl0_inv
	s_and_saveexec_b32 s13, s5
	s_cbranch_execz .LBB199_21
; %bb.14:                               ;   in Loop: Header=BB199_1 Depth=1
	ds_load_b64 v[13:14], v0
	s_waitcnt lgkmcnt(0)
	v_mov_b32_dpp v15, v13 row_shr:1 row_mask:0xf bank_mask:0xf
	v_mov_b32_dpp v16, v14 row_shr:1 row_mask:0xf bank_mask:0xf
	s_and_saveexec_b32 s18, s9
; %bb.15:                               ;   in Loop: Header=BB199_1 Depth=1
	s_delay_alu instid0(VALU_DEP_1)
	v_add_f64 v[13:14], v[13:14], v[15:16]
; %bb.16:                               ;   in Loop: Header=BB199_1 Depth=1
	s_or_b32 exec_lo, exec_lo, s18
	s_delay_alu instid0(VALU_DEP_1) | instskip(NEXT) | instid1(VALU_DEP_2)
	v_mov_b32_dpp v15, v13 row_shr:2 row_mask:0xf bank_mask:0xf
	v_mov_b32_dpp v16, v14 row_shr:2 row_mask:0xf bank_mask:0xf
	s_and_saveexec_b32 s18, s10
; %bb.17:                               ;   in Loop: Header=BB199_1 Depth=1
	s_delay_alu instid0(VALU_DEP_1)
	v_add_f64 v[13:14], v[13:14], v[15:16]
; %bb.18:                               ;   in Loop: Header=BB199_1 Depth=1
	s_or_b32 exec_lo, exec_lo, s18
	s_delay_alu instid0(VALU_DEP_1) | instskip(NEXT) | instid1(VALU_DEP_2)
	v_mov_b32_dpp v15, v13 row_shr:4 row_mask:0xf bank_mask:0xf
	v_mov_b32_dpp v16, v14 row_shr:4 row_mask:0xf bank_mask:0xf
	s_and_saveexec_b32 s18, s11
; %bb.19:                               ;   in Loop: Header=BB199_1 Depth=1
	s_delay_alu instid0(VALU_DEP_1)
	v_add_f64 v[13:14], v[13:14], v[15:16]
; %bb.20:                               ;   in Loop: Header=BB199_1 Depth=1
	s_or_b32 exec_lo, exec_lo, s18
	ds_store_b64 v0, v[13:14]
.LBB199_21:                             ;   in Loop: Header=BB199_1 Depth=1
	s_or_b32 exec_lo, exec_lo, s13
	v_dual_mov_b32 v13, s16 :: v_dual_mov_b32 v14, s17
	s_waitcnt lgkmcnt(0)
	s_barrier
	buffer_gl0_inv
	s_and_saveexec_b32 s13, s6
	s_cbranch_execz .LBB199_23
; %bb.22:                               ;   in Loop: Header=BB199_1 Depth=1
	ds_load_b64 v[13:14], v19
	s_waitcnt lgkmcnt(0)
	v_add_f64 v[13:14], v[13:14], s[16:17]
.LBB199_23:                             ;   in Loop: Header=BB199_1 Depth=1
	s_or_b32 exec_lo, exec_lo, s13
	s_delay_alu instid0(VALU_DEP_1) | instskip(SKIP_1) | instid1(SALU_CYCLE_1)
	v_add_f64 v[11:12], v[11:12], v[13:14]
	s_add_i32 s12, s12, -1
	s_cmp_lg_u32 s12, 0
	ds_bpermute_b32 v12, v17, v12
	ds_bpermute_b32 v11, v17, v11
	s_waitcnt lgkmcnt(1)
	v_cndmask_b32_e64 v12, v12, v14, s7
	s_waitcnt lgkmcnt(0)
	v_cndmask_b32_e64 v11, v11, v13, s7
	s_delay_alu instid0(VALU_DEP_2) | instskip(NEXT) | instid1(VALU_DEP_2)
	v_cndmask_b32_e64 v14, v12, s17, s8
	v_cndmask_b32_e64 v13, v11, s16, s8
	s_delay_alu instid0(VALU_DEP_1) | instskip(NEXT) | instid1(VALU_DEP_1)
	v_add_f64 v[15:16], v[7:8], v[13:14]
	v_add_f64 v[11:12], v[9:10], v[15:16]
	s_cbranch_scc0 .LBB199_25
; %bb.24:                               ;   in Loop: Header=BB199_1 Depth=1
	v_dual_mov_b32 v7, v13 :: v_dual_mov_b32 v8, v14
	v_dual_mov_b32 v9, v15 :: v_dual_mov_b32 v10, v16
	s_branch .LBB199_1
.LBB199_25:
	v_add_co_u32 v0, vcc_lo, s14, v1
	v_add_co_ci_u32_e32 v1, vcc_lo, s15, v2, vcc_lo
	v_add_co_u32 v5, vcc_lo, s14, v5
	v_add_co_ci_u32_e32 v6, vcc_lo, s15, v6, vcc_lo
	;; [unrolled: 2-line block ×3, first 2 shown]
	s_clause 0x2
	global_store_b64 v[0:1], v[13:14], off
	global_store_b64 v[5:6], v[15:16], off
	;; [unrolled: 1-line block ×3, first 2 shown]
	s_nop 0
	s_sendmsg sendmsg(MSG_DEALLOC_VGPRS)
	s_endpgm
	.section	.rodata,"a",@progbits
	.p2align	6, 0x0
	.amdhsa_kernel _Z6kernelI14exclusive_scanILN6hipcub18BlockScanAlgorithmE0EEdLj256ELj3ELj100EEvPKT0_PS4_S4_
		.amdhsa_group_segment_fixed_size 64
		.amdhsa_private_segment_fixed_size 0
		.amdhsa_kernarg_size 280
		.amdhsa_user_sgpr_count 15
		.amdhsa_user_sgpr_dispatch_ptr 0
		.amdhsa_user_sgpr_queue_ptr 0
		.amdhsa_user_sgpr_kernarg_segment_ptr 1
		.amdhsa_user_sgpr_dispatch_id 0
		.amdhsa_user_sgpr_private_segment_size 0
		.amdhsa_wavefront_size32 1
		.amdhsa_uses_dynamic_stack 0
		.amdhsa_enable_private_segment 0
		.amdhsa_system_sgpr_workgroup_id_x 1
		.amdhsa_system_sgpr_workgroup_id_y 0
		.amdhsa_system_sgpr_workgroup_id_z 0
		.amdhsa_system_sgpr_workgroup_info 0
		.amdhsa_system_vgpr_workitem_id 0
		.amdhsa_next_free_vgpr 20
		.amdhsa_next_free_sgpr 19
		.amdhsa_reserve_vcc 1
		.amdhsa_float_round_mode_32 0
		.amdhsa_float_round_mode_16_64 0
		.amdhsa_float_denorm_mode_32 3
		.amdhsa_float_denorm_mode_16_64 3
		.amdhsa_dx10_clamp 1
		.amdhsa_ieee_mode 1
		.amdhsa_fp16_overflow 0
		.amdhsa_workgroup_processor_mode 1
		.amdhsa_memory_ordered 1
		.amdhsa_forward_progress 0
		.amdhsa_shared_vgpr_count 0
		.amdhsa_exception_fp_ieee_invalid_op 0
		.amdhsa_exception_fp_denorm_src 0
		.amdhsa_exception_fp_ieee_div_zero 0
		.amdhsa_exception_fp_ieee_overflow 0
		.amdhsa_exception_fp_ieee_underflow 0
		.amdhsa_exception_fp_ieee_inexact 0
		.amdhsa_exception_int_div_zero 0
	.end_amdhsa_kernel
	.section	.text._Z6kernelI14exclusive_scanILN6hipcub18BlockScanAlgorithmE0EEdLj256ELj3ELj100EEvPKT0_PS4_S4_,"axG",@progbits,_Z6kernelI14exclusive_scanILN6hipcub18BlockScanAlgorithmE0EEdLj256ELj3ELj100EEvPKT0_PS4_S4_,comdat
.Lfunc_end199:
	.size	_Z6kernelI14exclusive_scanILN6hipcub18BlockScanAlgorithmE0EEdLj256ELj3ELj100EEvPKT0_PS4_S4_, .Lfunc_end199-_Z6kernelI14exclusive_scanILN6hipcub18BlockScanAlgorithmE0EEdLj256ELj3ELj100EEvPKT0_PS4_S4_
                                        ; -- End function
	.section	.AMDGPU.csdata,"",@progbits
; Kernel info:
; codeLenInByte = 1020
; NumSgprs: 21
; NumVgprs: 20
; ScratchSize: 0
; MemoryBound: 0
; FloatMode: 240
; IeeeMode: 1
; LDSByteSize: 64 bytes/workgroup (compile time only)
; SGPRBlocks: 2
; VGPRBlocks: 2
; NumSGPRsForWavesPerEU: 21
; NumVGPRsForWavesPerEU: 20
; Occupancy: 16
; WaveLimiterHint : 0
; COMPUTE_PGM_RSRC2:SCRATCH_EN: 0
; COMPUTE_PGM_RSRC2:USER_SGPR: 15
; COMPUTE_PGM_RSRC2:TRAP_HANDLER: 0
; COMPUTE_PGM_RSRC2:TGID_X_EN: 1
; COMPUTE_PGM_RSRC2:TGID_Y_EN: 0
; COMPUTE_PGM_RSRC2:TGID_Z_EN: 0
; COMPUTE_PGM_RSRC2:TIDIG_COMP_CNT: 0
	.section	.text._Z6kernelI14exclusive_scanILN6hipcub18BlockScanAlgorithmE0EEdLj256ELj4ELj100EEvPKT0_PS4_S4_,"axG",@progbits,_Z6kernelI14exclusive_scanILN6hipcub18BlockScanAlgorithmE0EEdLj256ELj4ELj100EEvPKT0_PS4_S4_,comdat
	.protected	_Z6kernelI14exclusive_scanILN6hipcub18BlockScanAlgorithmE0EEdLj256ELj4ELj100EEvPKT0_PS4_S4_ ; -- Begin function _Z6kernelI14exclusive_scanILN6hipcub18BlockScanAlgorithmE0EEdLj256ELj4ELj100EEvPKT0_PS4_S4_
	.globl	_Z6kernelI14exclusive_scanILN6hipcub18BlockScanAlgorithmE0EEdLj256ELj4ELj100EEvPKT0_PS4_S4_
	.p2align	8
	.type	_Z6kernelI14exclusive_scanILN6hipcub18BlockScanAlgorithmE0EEdLj256ELj4ELj100EEvPKT0_PS4_S4_,@function
_Z6kernelI14exclusive_scanILN6hipcub18BlockScanAlgorithmE0EEdLj256ELj4ELj100EEvPKT0_PS4_S4_: ; @_Z6kernelI14exclusive_scanILN6hipcub18BlockScanAlgorithmE0EEdLj256ELj4ELj100EEvPKT0_PS4_S4_
; %bb.0:
	s_clause 0x1
	s_load_b32 s2, s[0:1], 0x24
	s_load_b128 s[16:19], s[0:1], 0x0
	v_mbcnt_lo_u32_b32 v9, -1, 0
	v_mov_b32_e32 v2, 0
	s_load_b64 s[12:13], s[0:1], 0x10
	v_or_b32_e32 v13, 31, v0
	v_cmp_gt_u32_e64 s5, 8, v0
	v_and_b32_e32 v11, 16, v9
	v_add_nc_u32_e32 v12, -1, v9
	v_and_b32_e32 v10, 15, v9
	v_cmp_lt_u32_e64 s6, 31, v0
	v_cmp_eq_u32_e64 s7, 0, v9
	v_cmp_ne_u32_e64 s3, 0, v11
	v_cmp_gt_i32_e64 s4, 0, v12
	v_cmp_lt_u32_e64 s0, 1, v10
	v_cmp_lt_u32_e64 s1, 3, v10
	v_lshrrev_b32_e32 v11, 2, v0
	v_cmp_eq_u32_e64 s8, 0, v0
	s_movk_i32 s14, 0x64
	s_waitcnt lgkmcnt(0)
	s_and_b32 s2, s2, 0xffff
	v_and_b32_e32 v18, 56, v11
	s_mul_i32 s15, s15, s2
	v_cmp_lt_u32_e64 s2, 7, v10
	v_add_lshl_u32 v1, s15, v0, 2
	s_delay_alu instid0(VALU_DEP_3) | instskip(NEXT) | instid1(VALU_DEP_2)
	v_add_nc_u32_e32 v19, -8, v18
	v_lshlrev_b64 v[15:16], 3, v[1:2]
	s_delay_alu instid0(VALU_DEP_1) | instskip(NEXT) | instid1(VALU_DEP_2)
	v_add_co_u32 v5, vcc_lo, s16, v15
	v_add_co_ci_u32_e32 v6, vcc_lo, s17, v16, vcc_lo
	v_cmp_ne_u32_e32 vcc_lo, 0, v10
	v_cndmask_b32_e64 v10, v12, v9, s4
	v_cmp_eq_u32_e64 s4, v13, v0
	s_clause 0x1
	global_load_b128 v[1:4], v[5:6], off offset:16
	global_load_b128 v[5:8], v[5:6], off
	v_lshlrev_b32_e32 v0, 3, v0
	v_lshlrev_b32_e32 v17, 2, v10
	v_and_b32_e32 v10, 7, v9
	s_delay_alu instid0(VALU_DEP_1)
	v_cmp_ne_u32_e64 s9, 0, v10
	v_cmp_lt_u32_e64 s10, 1, v10
	v_cmp_lt_u32_e64 s11, 3, v10
.LBB200_1:                              ; =>This Inner Loop Header: Depth=1
	s_waitcnt vmcnt(0)
	s_delay_alu instid0(VALU_DEP_2) | instskip(NEXT) | instid1(VALU_DEP_1)
	v_add_f64 v[9:10], v[5:6], v[7:8]
	v_add_f64 v[9:10], v[1:2], v[9:10]
	s_delay_alu instid0(VALU_DEP_1) | instskip(NEXT) | instid1(VALU_DEP_1)
	v_add_f64 v[3:4], v[3:4], v[9:10]
	v_mov_b32_dpp v9, v3 row_shr:1 row_mask:0xf bank_mask:0xf
	s_delay_alu instid0(VALU_DEP_2)
	v_mov_b32_dpp v10, v4 row_shr:1 row_mask:0xf bank_mask:0xf
	s_and_saveexec_b32 s15, vcc_lo
; %bb.2:                                ;   in Loop: Header=BB200_1 Depth=1
	s_delay_alu instid0(VALU_DEP_1)
	v_add_f64 v[3:4], v[3:4], v[9:10]
; %bb.3:                                ;   in Loop: Header=BB200_1 Depth=1
	s_or_b32 exec_lo, exec_lo, s15
	s_delay_alu instid0(VALU_DEP_1) | instskip(NEXT) | instid1(VALU_DEP_2)
	v_mov_b32_dpp v9, v3 row_shr:2 row_mask:0xf bank_mask:0xf
	v_mov_b32_dpp v10, v4 row_shr:2 row_mask:0xf bank_mask:0xf
	s_and_saveexec_b32 s15, s0
; %bb.4:                                ;   in Loop: Header=BB200_1 Depth=1
	s_delay_alu instid0(VALU_DEP_1)
	v_add_f64 v[3:4], v[3:4], v[9:10]
; %bb.5:                                ;   in Loop: Header=BB200_1 Depth=1
	s_or_b32 exec_lo, exec_lo, s15
	s_delay_alu instid0(VALU_DEP_1) | instskip(NEXT) | instid1(VALU_DEP_2)
	v_mov_b32_dpp v9, v3 row_shr:4 row_mask:0xf bank_mask:0xf
	v_mov_b32_dpp v10, v4 row_shr:4 row_mask:0xf bank_mask:0xf
	s_and_saveexec_b32 s15, s1
; %bb.6:                                ;   in Loop: Header=BB200_1 Depth=1
	s_delay_alu instid0(VALU_DEP_1)
	v_add_f64 v[3:4], v[3:4], v[9:10]
; %bb.7:                                ;   in Loop: Header=BB200_1 Depth=1
	s_or_b32 exec_lo, exec_lo, s15
	s_delay_alu instid0(VALU_DEP_1) | instskip(NEXT) | instid1(VALU_DEP_2)
	v_mov_b32_dpp v9, v3 row_shr:8 row_mask:0xf bank_mask:0xf
	v_mov_b32_dpp v10, v4 row_shr:8 row_mask:0xf bank_mask:0xf
	s_and_saveexec_b32 s15, s2
; %bb.8:                                ;   in Loop: Header=BB200_1 Depth=1
	s_delay_alu instid0(VALU_DEP_1)
	v_add_f64 v[3:4], v[3:4], v[9:10]
; %bb.9:                                ;   in Loop: Header=BB200_1 Depth=1
	s_or_b32 exec_lo, exec_lo, s15
	ds_swizzle_b32 v9, v3 offset:swizzle(BROADCAST,32,15)
	ds_swizzle_b32 v10, v4 offset:swizzle(BROADCAST,32,15)
	s_and_saveexec_b32 s15, s3
	s_cbranch_execz .LBB200_11
; %bb.10:                               ;   in Loop: Header=BB200_1 Depth=1
	s_waitcnt lgkmcnt(0)
	v_add_f64 v[3:4], v[3:4], v[9:10]
.LBB200_11:                             ;   in Loop: Header=BB200_1 Depth=1
	s_or_b32 exec_lo, exec_lo, s15
	s_and_saveexec_b32 s15, s4
	s_cbranch_execz .LBB200_13
; %bb.12:                               ;   in Loop: Header=BB200_1 Depth=1
	ds_store_b64 v18, v[3:4]
.LBB200_13:                             ;   in Loop: Header=BB200_1 Depth=1
	s_or_b32 exec_lo, exec_lo, s15
	s_waitcnt lgkmcnt(0)
	s_barrier
	buffer_gl0_inv
	s_and_saveexec_b32 s15, s5
	s_cbranch_execz .LBB200_21
; %bb.14:                               ;   in Loop: Header=BB200_1 Depth=1
	ds_load_b64 v[9:10], v0
	s_waitcnt lgkmcnt(0)
	v_mov_b32_dpp v11, v9 row_shr:1 row_mask:0xf bank_mask:0xf
	v_mov_b32_dpp v12, v10 row_shr:1 row_mask:0xf bank_mask:0xf
	s_and_saveexec_b32 s16, s9
; %bb.15:                               ;   in Loop: Header=BB200_1 Depth=1
	s_delay_alu instid0(VALU_DEP_1)
	v_add_f64 v[9:10], v[9:10], v[11:12]
; %bb.16:                               ;   in Loop: Header=BB200_1 Depth=1
	s_or_b32 exec_lo, exec_lo, s16
	s_delay_alu instid0(VALU_DEP_1) | instskip(NEXT) | instid1(VALU_DEP_2)
	v_mov_b32_dpp v11, v9 row_shr:2 row_mask:0xf bank_mask:0xf
	v_mov_b32_dpp v12, v10 row_shr:2 row_mask:0xf bank_mask:0xf
	s_and_saveexec_b32 s16, s10
; %bb.17:                               ;   in Loop: Header=BB200_1 Depth=1
	s_delay_alu instid0(VALU_DEP_1)
	v_add_f64 v[9:10], v[9:10], v[11:12]
; %bb.18:                               ;   in Loop: Header=BB200_1 Depth=1
	s_or_b32 exec_lo, exec_lo, s16
	s_delay_alu instid0(VALU_DEP_1) | instskip(NEXT) | instid1(VALU_DEP_2)
	v_mov_b32_dpp v11, v9 row_shr:4 row_mask:0xf bank_mask:0xf
	v_mov_b32_dpp v12, v10 row_shr:4 row_mask:0xf bank_mask:0xf
	s_and_saveexec_b32 s16, s11
; %bb.19:                               ;   in Loop: Header=BB200_1 Depth=1
	s_delay_alu instid0(VALU_DEP_1)
	v_add_f64 v[9:10], v[9:10], v[11:12]
; %bb.20:                               ;   in Loop: Header=BB200_1 Depth=1
	s_or_b32 exec_lo, exec_lo, s16
	ds_store_b64 v0, v[9:10]
.LBB200_21:                             ;   in Loop: Header=BB200_1 Depth=1
	s_or_b32 exec_lo, exec_lo, s15
	v_dual_mov_b32 v9, s12 :: v_dual_mov_b32 v10, s13
	s_waitcnt lgkmcnt(0)
	s_barrier
	buffer_gl0_inv
	s_and_saveexec_b32 s15, s6
	s_cbranch_execz .LBB200_23
; %bb.22:                               ;   in Loop: Header=BB200_1 Depth=1
	ds_load_b64 v[9:10], v19
	s_waitcnt lgkmcnt(0)
	v_add_f64 v[9:10], v[9:10], s[12:13]
.LBB200_23:                             ;   in Loop: Header=BB200_1 Depth=1
	s_or_b32 exec_lo, exec_lo, s15
	s_delay_alu instid0(VALU_DEP_1) | instskip(SKIP_1) | instid1(SALU_CYCLE_1)
	v_add_f64 v[3:4], v[3:4], v[9:10]
	s_add_i32 s14, s14, -1
	s_cmp_lg_u32 s14, 0
	ds_bpermute_b32 v4, v17, v4
	ds_bpermute_b32 v3, v17, v3
	s_waitcnt lgkmcnt(1)
	v_cndmask_b32_e64 v4, v4, v10, s7
	s_waitcnt lgkmcnt(0)
	v_cndmask_b32_e64 v3, v3, v9, s7
	s_delay_alu instid0(VALU_DEP_2) | instskip(NEXT) | instid1(VALU_DEP_2)
	v_cndmask_b32_e64 v10, v4, s13, s8
	v_cndmask_b32_e64 v9, v3, s12, s8
	s_delay_alu instid0(VALU_DEP_1) | instskip(NEXT) | instid1(VALU_DEP_1)
	v_add_f64 v[11:12], v[5:6], v[9:10]
	v_add_f64 v[13:14], v[7:8], v[11:12]
	s_delay_alu instid0(VALU_DEP_1)
	v_add_f64 v[3:4], v[1:2], v[13:14]
	s_cbranch_scc0 .LBB200_25
; %bb.24:                               ;   in Loop: Header=BB200_1 Depth=1
	v_dual_mov_b32 v5, v9 :: v_dual_mov_b32 v6, v10
	v_dual_mov_b32 v7, v11 :: v_dual_mov_b32 v8, v12
	;; [unrolled: 1-line block ×3, first 2 shown]
	s_branch .LBB200_1
.LBB200_25:
	v_add_co_u32 v0, vcc_lo, s18, v15
	v_add_co_ci_u32_e32 v1, vcc_lo, s19, v16, vcc_lo
	s_delay_alu instid0(VALU_DEP_3)
	v_dual_mov_b32 v15, v3 :: v_dual_mov_b32 v16, v4
	s_clause 0x1
	global_store_b128 v[0:1], v[9:12], off
	global_store_b128 v[0:1], v[13:16], off offset:16
	s_nop 0
	s_sendmsg sendmsg(MSG_DEALLOC_VGPRS)
	s_endpgm
	.section	.rodata,"a",@progbits
	.p2align	6, 0x0
	.amdhsa_kernel _Z6kernelI14exclusive_scanILN6hipcub18BlockScanAlgorithmE0EEdLj256ELj4ELj100EEvPKT0_PS4_S4_
		.amdhsa_group_segment_fixed_size 64
		.amdhsa_private_segment_fixed_size 0
		.amdhsa_kernarg_size 280
		.amdhsa_user_sgpr_count 15
		.amdhsa_user_sgpr_dispatch_ptr 0
		.amdhsa_user_sgpr_queue_ptr 0
		.amdhsa_user_sgpr_kernarg_segment_ptr 1
		.amdhsa_user_sgpr_dispatch_id 0
		.amdhsa_user_sgpr_private_segment_size 0
		.amdhsa_wavefront_size32 1
		.amdhsa_uses_dynamic_stack 0
		.amdhsa_enable_private_segment 0
		.amdhsa_system_sgpr_workgroup_id_x 1
		.amdhsa_system_sgpr_workgroup_id_y 0
		.amdhsa_system_sgpr_workgroup_id_z 0
		.amdhsa_system_sgpr_workgroup_info 0
		.amdhsa_system_vgpr_workitem_id 0
		.amdhsa_next_free_vgpr 20
		.amdhsa_next_free_sgpr 20
		.amdhsa_reserve_vcc 1
		.amdhsa_float_round_mode_32 0
		.amdhsa_float_round_mode_16_64 0
		.amdhsa_float_denorm_mode_32 3
		.amdhsa_float_denorm_mode_16_64 3
		.amdhsa_dx10_clamp 1
		.amdhsa_ieee_mode 1
		.amdhsa_fp16_overflow 0
		.amdhsa_workgroup_processor_mode 1
		.amdhsa_memory_ordered 1
		.amdhsa_forward_progress 0
		.amdhsa_shared_vgpr_count 0
		.amdhsa_exception_fp_ieee_invalid_op 0
		.amdhsa_exception_fp_denorm_src 0
		.amdhsa_exception_fp_ieee_div_zero 0
		.amdhsa_exception_fp_ieee_overflow 0
		.amdhsa_exception_fp_ieee_underflow 0
		.amdhsa_exception_fp_ieee_inexact 0
		.amdhsa_exception_int_div_zero 0
	.end_amdhsa_kernel
	.section	.text._Z6kernelI14exclusive_scanILN6hipcub18BlockScanAlgorithmE0EEdLj256ELj4ELj100EEvPKT0_PS4_S4_,"axG",@progbits,_Z6kernelI14exclusive_scanILN6hipcub18BlockScanAlgorithmE0EEdLj256ELj4ELj100EEvPKT0_PS4_S4_,comdat
.Lfunc_end200:
	.size	_Z6kernelI14exclusive_scanILN6hipcub18BlockScanAlgorithmE0EEdLj256ELj4ELj100EEvPKT0_PS4_S4_, .Lfunc_end200-_Z6kernelI14exclusive_scanILN6hipcub18BlockScanAlgorithmE0EEdLj256ELj4ELj100EEvPKT0_PS4_S4_
                                        ; -- End function
	.section	.AMDGPU.csdata,"",@progbits
; Kernel info:
; codeLenInByte = 952
; NumSgprs: 22
; NumVgprs: 20
; ScratchSize: 0
; MemoryBound: 0
; FloatMode: 240
; IeeeMode: 1
; LDSByteSize: 64 bytes/workgroup (compile time only)
; SGPRBlocks: 2
; VGPRBlocks: 2
; NumSGPRsForWavesPerEU: 22
; NumVGPRsForWavesPerEU: 20
; Occupancy: 16
; WaveLimiterHint : 0
; COMPUTE_PGM_RSRC2:SCRATCH_EN: 0
; COMPUTE_PGM_RSRC2:USER_SGPR: 15
; COMPUTE_PGM_RSRC2:TRAP_HANDLER: 0
; COMPUTE_PGM_RSRC2:TGID_X_EN: 1
; COMPUTE_PGM_RSRC2:TGID_Y_EN: 0
; COMPUTE_PGM_RSRC2:TGID_Z_EN: 0
; COMPUTE_PGM_RSRC2:TIDIG_COMP_CNT: 0
	.section	.text._Z6kernelI14exclusive_scanILN6hipcub18BlockScanAlgorithmE0EEdLj256ELj8ELj100EEvPKT0_PS4_S4_,"axG",@progbits,_Z6kernelI14exclusive_scanILN6hipcub18BlockScanAlgorithmE0EEdLj256ELj8ELj100EEvPKT0_PS4_S4_,comdat
	.protected	_Z6kernelI14exclusive_scanILN6hipcub18BlockScanAlgorithmE0EEdLj256ELj8ELj100EEvPKT0_PS4_S4_ ; -- Begin function _Z6kernelI14exclusive_scanILN6hipcub18BlockScanAlgorithmE0EEdLj256ELj8ELj100EEvPKT0_PS4_S4_
	.globl	_Z6kernelI14exclusive_scanILN6hipcub18BlockScanAlgorithmE0EEdLj256ELj8ELj100EEvPKT0_PS4_S4_
	.p2align	8
	.type	_Z6kernelI14exclusive_scanILN6hipcub18BlockScanAlgorithmE0EEdLj256ELj8ELj100EEvPKT0_PS4_S4_,@function
_Z6kernelI14exclusive_scanILN6hipcub18BlockScanAlgorithmE0EEdLj256ELj8ELj100EEvPKT0_PS4_S4_: ; @_Z6kernelI14exclusive_scanILN6hipcub18BlockScanAlgorithmE0EEdLj256ELj8ELj100EEvPKT0_PS4_S4_
; %bb.0:
	s_clause 0x1
	s_load_b32 s2, s[0:1], 0x24
	s_load_b128 s[16:19], s[0:1], 0x0
	v_mbcnt_lo_u32_b32 v17, -1, 0
	v_mov_b32_e32 v2, 0
	s_load_b64 s[12:13], s[0:1], 0x10
	v_or_b32_e32 v23, 31, v0
	v_cmp_gt_u32_e64 s5, 8, v0
	v_and_b32_e32 v19, 16, v17
	v_add_nc_u32_e32 v20, -1, v17
	v_and_b32_e32 v18, 15, v17
	v_cmp_lt_u32_e64 s6, 31, v0
	v_cmp_eq_u32_e64 s7, 0, v17
	v_cmp_ne_u32_e64 s3, 0, v19
	v_cmp_gt_i32_e64 s4, 0, v20
	v_cmp_lt_u32_e64 s0, 1, v18
	v_cmp_lt_u32_e64 s1, 3, v18
	v_lshrrev_b32_e32 v19, 2, v0
	v_cmp_eq_u32_e64 s8, 0, v0
	s_movk_i32 s14, 0x64
	s_waitcnt lgkmcnt(0)
	s_and_b32 s2, s2, 0xffff
	v_and_b32_e32 v24, 56, v19
	s_mul_i32 s15, s15, s2
	v_cmp_lt_u32_e64 s2, 7, v18
	v_add_lshl_u32 v1, s15, v0, 3
	s_delay_alu instid0(VALU_DEP_3) | instskip(NEXT) | instid1(VALU_DEP_2)
	v_add_nc_u32_e32 v25, -8, v24
	v_lshlrev_b64 v[21:22], 3, v[1:2]
	s_delay_alu instid0(VALU_DEP_1) | instskip(NEXT) | instid1(VALU_DEP_2)
	v_add_co_u32 v13, vcc_lo, s16, v21
	v_add_co_ci_u32_e32 v14, vcc_lo, s17, v22, vcc_lo
	v_cmp_ne_u32_e32 vcc_lo, 0, v18
	v_cndmask_b32_e64 v18, v20, v17, s4
	v_cmp_eq_u32_e64 s4, v23, v0
	s_clause 0x3
	global_load_b128 v[1:4], v[13:14], off offset:48
	global_load_b128 v[5:8], v[13:14], off offset:32
	;; [unrolled: 1-line block ×3, first 2 shown]
	global_load_b128 v[13:16], v[13:14], off
	v_lshlrev_b32_e32 v0, 3, v0
	v_lshlrev_b32_e32 v23, 2, v18
	v_and_b32_e32 v18, 7, v17
	s_delay_alu instid0(VALU_DEP_1)
	v_cmp_ne_u32_e64 s9, 0, v18
	v_cmp_lt_u32_e64 s10, 1, v18
	v_cmp_lt_u32_e64 s11, 3, v18
.LBB201_1:                              ; =>This Inner Loop Header: Depth=1
	s_waitcnt vmcnt(0)
	s_delay_alu instid0(VALU_DEP_1) | instskip(NEXT) | instid1(VALU_DEP_1)
	v_add_f64 v[17:18], v[15:16], v[13:14]
	v_add_f64 v[17:18], v[9:10], v[17:18]
	s_delay_alu instid0(VALU_DEP_1) | instskip(NEXT) | instid1(VALU_DEP_1)
	v_add_f64 v[17:18], v[11:12], v[17:18]
	v_add_f64 v[17:18], v[5:6], v[17:18]
	;; [unrolled: 3-line block ×3, first 2 shown]
	s_delay_alu instid0(VALU_DEP_1) | instskip(NEXT) | instid1(VALU_DEP_1)
	v_add_f64 v[3:4], v[3:4], v[17:18]
	v_mov_b32_dpp v17, v3 row_shr:1 row_mask:0xf bank_mask:0xf
	s_delay_alu instid0(VALU_DEP_2)
	v_mov_b32_dpp v18, v4 row_shr:1 row_mask:0xf bank_mask:0xf
	s_and_saveexec_b32 s15, vcc_lo
; %bb.2:                                ;   in Loop: Header=BB201_1 Depth=1
	s_delay_alu instid0(VALU_DEP_1)
	v_add_f64 v[3:4], v[3:4], v[17:18]
; %bb.3:                                ;   in Loop: Header=BB201_1 Depth=1
	s_or_b32 exec_lo, exec_lo, s15
	s_delay_alu instid0(VALU_DEP_1) | instskip(NEXT) | instid1(VALU_DEP_2)
	v_mov_b32_dpp v17, v3 row_shr:2 row_mask:0xf bank_mask:0xf
	v_mov_b32_dpp v18, v4 row_shr:2 row_mask:0xf bank_mask:0xf
	s_and_saveexec_b32 s15, s0
; %bb.4:                                ;   in Loop: Header=BB201_1 Depth=1
	s_delay_alu instid0(VALU_DEP_1)
	v_add_f64 v[3:4], v[3:4], v[17:18]
; %bb.5:                                ;   in Loop: Header=BB201_1 Depth=1
	s_or_b32 exec_lo, exec_lo, s15
	s_delay_alu instid0(VALU_DEP_1) | instskip(NEXT) | instid1(VALU_DEP_2)
	v_mov_b32_dpp v17, v3 row_shr:4 row_mask:0xf bank_mask:0xf
	v_mov_b32_dpp v18, v4 row_shr:4 row_mask:0xf bank_mask:0xf
	s_and_saveexec_b32 s15, s1
	;; [unrolled: 9-line block ×3, first 2 shown]
; %bb.8:                                ;   in Loop: Header=BB201_1 Depth=1
	s_delay_alu instid0(VALU_DEP_1)
	v_add_f64 v[3:4], v[3:4], v[17:18]
; %bb.9:                                ;   in Loop: Header=BB201_1 Depth=1
	s_or_b32 exec_lo, exec_lo, s15
	ds_swizzle_b32 v17, v3 offset:swizzle(BROADCAST,32,15)
	ds_swizzle_b32 v18, v4 offset:swizzle(BROADCAST,32,15)
	s_and_saveexec_b32 s15, s3
	s_cbranch_execz .LBB201_11
; %bb.10:                               ;   in Loop: Header=BB201_1 Depth=1
	s_waitcnt lgkmcnt(0)
	v_add_f64 v[3:4], v[3:4], v[17:18]
.LBB201_11:                             ;   in Loop: Header=BB201_1 Depth=1
	s_or_b32 exec_lo, exec_lo, s15
	s_and_saveexec_b32 s15, s4
	s_cbranch_execz .LBB201_13
; %bb.12:                               ;   in Loop: Header=BB201_1 Depth=1
	ds_store_b64 v24, v[3:4]
.LBB201_13:                             ;   in Loop: Header=BB201_1 Depth=1
	s_or_b32 exec_lo, exec_lo, s15
	s_waitcnt lgkmcnt(0)
	s_barrier
	buffer_gl0_inv
	s_and_saveexec_b32 s15, s5
	s_cbranch_execz .LBB201_21
; %bb.14:                               ;   in Loop: Header=BB201_1 Depth=1
	ds_load_b64 v[17:18], v0
	s_waitcnt lgkmcnt(0)
	v_mov_b32_dpp v19, v17 row_shr:1 row_mask:0xf bank_mask:0xf
	v_mov_b32_dpp v20, v18 row_shr:1 row_mask:0xf bank_mask:0xf
	s_and_saveexec_b32 s16, s9
; %bb.15:                               ;   in Loop: Header=BB201_1 Depth=1
	s_delay_alu instid0(VALU_DEP_1)
	v_add_f64 v[17:18], v[17:18], v[19:20]
; %bb.16:                               ;   in Loop: Header=BB201_1 Depth=1
	s_or_b32 exec_lo, exec_lo, s16
	s_delay_alu instid0(VALU_DEP_1) | instskip(NEXT) | instid1(VALU_DEP_2)
	v_mov_b32_dpp v19, v17 row_shr:2 row_mask:0xf bank_mask:0xf
	v_mov_b32_dpp v20, v18 row_shr:2 row_mask:0xf bank_mask:0xf
	s_and_saveexec_b32 s16, s10
; %bb.17:                               ;   in Loop: Header=BB201_1 Depth=1
	s_delay_alu instid0(VALU_DEP_1)
	v_add_f64 v[17:18], v[17:18], v[19:20]
; %bb.18:                               ;   in Loop: Header=BB201_1 Depth=1
	s_or_b32 exec_lo, exec_lo, s16
	s_delay_alu instid0(VALU_DEP_1) | instskip(NEXT) | instid1(VALU_DEP_2)
	v_mov_b32_dpp v19, v17 row_shr:4 row_mask:0xf bank_mask:0xf
	v_mov_b32_dpp v20, v18 row_shr:4 row_mask:0xf bank_mask:0xf
	s_and_saveexec_b32 s16, s11
; %bb.19:                               ;   in Loop: Header=BB201_1 Depth=1
	s_delay_alu instid0(VALU_DEP_1)
	v_add_f64 v[17:18], v[17:18], v[19:20]
; %bb.20:                               ;   in Loop: Header=BB201_1 Depth=1
	s_or_b32 exec_lo, exec_lo, s16
	ds_store_b64 v0, v[17:18]
.LBB201_21:                             ;   in Loop: Header=BB201_1 Depth=1
	s_or_b32 exec_lo, exec_lo, s15
	v_dual_mov_b32 v18, s13 :: v_dual_mov_b32 v17, s12
	s_waitcnt lgkmcnt(0)
	s_barrier
	buffer_gl0_inv
	s_and_saveexec_b32 s15, s6
	s_cbranch_execz .LBB201_23
; %bb.22:                               ;   in Loop: Header=BB201_1 Depth=1
	ds_load_b64 v[17:18], v25
	s_waitcnt lgkmcnt(0)
	v_add_f64 v[17:18], v[17:18], s[12:13]
.LBB201_23:                             ;   in Loop: Header=BB201_1 Depth=1
	s_or_b32 exec_lo, exec_lo, s15
	s_delay_alu instid0(VALU_DEP_1) | instskip(SKIP_1) | instid1(SALU_CYCLE_1)
	v_add_f64 v[3:4], v[3:4], v[17:18]
	s_add_i32 s14, s14, -1
	s_cmp_lg_u32 s14, 0
	ds_bpermute_b32 v4, v23, v4
	ds_bpermute_b32 v3, v23, v3
	s_waitcnt lgkmcnt(1)
	v_cndmask_b32_e64 v4, v4, v18, s7
	s_waitcnt lgkmcnt(0)
	v_cndmask_b32_e64 v3, v3, v17, s7
	s_delay_alu instid0(VALU_DEP_2) | instskip(NEXT) | instid1(VALU_DEP_2)
	v_cndmask_b32_e64 v18, v4, s13, s8
	v_cndmask_b32_e64 v17, v3, s12, s8
	s_delay_alu instid0(VALU_DEP_1) | instskip(NEXT) | instid1(VALU_DEP_1)
	v_add_f64 v[19:20], v[13:14], v[17:18]
	v_add_f64 v[13:14], v[15:16], v[19:20]
	s_delay_alu instid0(VALU_DEP_1) | instskip(NEXT) | instid1(VALU_DEP_1)
	v_add_f64 v[15:16], v[9:10], v[13:14]
	v_add_f64 v[9:10], v[11:12], v[15:16]
	;; [unrolled: 3-line block ×3, first 2 shown]
	s_delay_alu instid0(VALU_DEP_1)
	v_add_f64 v[3:4], v[1:2], v[5:6]
	s_cbranch_scc0 .LBB201_25
; %bb.24:                               ;   in Loop: Header=BB201_1 Depth=1
	v_dual_mov_b32 v1, v5 :: v_dual_mov_b32 v2, v6
	v_dual_mov_b32 v7, v11 :: v_dual_mov_b32 v8, v12
	;; [unrolled: 1-line block ×7, first 2 shown]
	s_branch .LBB201_1
.LBB201_25:
	v_add_co_u32 v0, vcc_lo, s18, v21
	v_add_co_ci_u32_e32 v1, vcc_lo, s19, v22, vcc_lo
	s_delay_alu instid0(VALU_DEP_3)
	v_dual_mov_b32 v7, v3 :: v_dual_mov_b32 v8, v4
	s_clause 0x3
	global_store_b128 v[0:1], v[17:20], off
	global_store_b128 v[0:1], v[13:16], off offset:16
	global_store_b128 v[0:1], v[9:12], off offset:32
	;; [unrolled: 1-line block ×3, first 2 shown]
	s_nop 0
	s_sendmsg sendmsg(MSG_DEALLOC_VGPRS)
	s_endpgm
	.section	.rodata,"a",@progbits
	.p2align	6, 0x0
	.amdhsa_kernel _Z6kernelI14exclusive_scanILN6hipcub18BlockScanAlgorithmE0EEdLj256ELj8ELj100EEvPKT0_PS4_S4_
		.amdhsa_group_segment_fixed_size 64
		.amdhsa_private_segment_fixed_size 0
		.amdhsa_kernarg_size 280
		.amdhsa_user_sgpr_count 15
		.amdhsa_user_sgpr_dispatch_ptr 0
		.amdhsa_user_sgpr_queue_ptr 0
		.amdhsa_user_sgpr_kernarg_segment_ptr 1
		.amdhsa_user_sgpr_dispatch_id 0
		.amdhsa_user_sgpr_private_segment_size 0
		.amdhsa_wavefront_size32 1
		.amdhsa_uses_dynamic_stack 0
		.amdhsa_enable_private_segment 0
		.amdhsa_system_sgpr_workgroup_id_x 1
		.amdhsa_system_sgpr_workgroup_id_y 0
		.amdhsa_system_sgpr_workgroup_id_z 0
		.amdhsa_system_sgpr_workgroup_info 0
		.amdhsa_system_vgpr_workitem_id 0
		.amdhsa_next_free_vgpr 26
		.amdhsa_next_free_sgpr 20
		.amdhsa_reserve_vcc 1
		.amdhsa_float_round_mode_32 0
		.amdhsa_float_round_mode_16_64 0
		.amdhsa_float_denorm_mode_32 3
		.amdhsa_float_denorm_mode_16_64 3
		.amdhsa_dx10_clamp 1
		.amdhsa_ieee_mode 1
		.amdhsa_fp16_overflow 0
		.amdhsa_workgroup_processor_mode 1
		.amdhsa_memory_ordered 1
		.amdhsa_forward_progress 0
		.amdhsa_shared_vgpr_count 0
		.amdhsa_exception_fp_ieee_invalid_op 0
		.amdhsa_exception_fp_denorm_src 0
		.amdhsa_exception_fp_ieee_div_zero 0
		.amdhsa_exception_fp_ieee_overflow 0
		.amdhsa_exception_fp_ieee_underflow 0
		.amdhsa_exception_fp_ieee_inexact 0
		.amdhsa_exception_int_div_zero 0
	.end_amdhsa_kernel
	.section	.text._Z6kernelI14exclusive_scanILN6hipcub18BlockScanAlgorithmE0EEdLj256ELj8ELj100EEvPKT0_PS4_S4_,"axG",@progbits,_Z6kernelI14exclusive_scanILN6hipcub18BlockScanAlgorithmE0EEdLj256ELj8ELj100EEvPKT0_PS4_S4_,comdat
.Lfunc_end201:
	.size	_Z6kernelI14exclusive_scanILN6hipcub18BlockScanAlgorithmE0EEdLj256ELj8ELj100EEvPKT0_PS4_S4_, .Lfunc_end201-_Z6kernelI14exclusive_scanILN6hipcub18BlockScanAlgorithmE0EEdLj256ELj8ELj100EEvPKT0_PS4_S4_
                                        ; -- End function
	.section	.AMDGPU.csdata,"",@progbits
; Kernel info:
; codeLenInByte = 1096
; NumSgprs: 22
; NumVgprs: 26
; ScratchSize: 0
; MemoryBound: 0
; FloatMode: 240
; IeeeMode: 1
; LDSByteSize: 64 bytes/workgroup (compile time only)
; SGPRBlocks: 2
; VGPRBlocks: 3
; NumSGPRsForWavesPerEU: 22
; NumVGPRsForWavesPerEU: 26
; Occupancy: 16
; WaveLimiterHint : 0
; COMPUTE_PGM_RSRC2:SCRATCH_EN: 0
; COMPUTE_PGM_RSRC2:USER_SGPR: 15
; COMPUTE_PGM_RSRC2:TRAP_HANDLER: 0
; COMPUTE_PGM_RSRC2:TGID_X_EN: 1
; COMPUTE_PGM_RSRC2:TGID_Y_EN: 0
; COMPUTE_PGM_RSRC2:TGID_Z_EN: 0
; COMPUTE_PGM_RSRC2:TIDIG_COMP_CNT: 0
	.section	.text._Z6kernelI14exclusive_scanILN6hipcub18BlockScanAlgorithmE0EEdLj256ELj11ELj100EEvPKT0_PS4_S4_,"axG",@progbits,_Z6kernelI14exclusive_scanILN6hipcub18BlockScanAlgorithmE0EEdLj256ELj11ELj100EEvPKT0_PS4_S4_,comdat
	.protected	_Z6kernelI14exclusive_scanILN6hipcub18BlockScanAlgorithmE0EEdLj256ELj11ELj100EEvPKT0_PS4_S4_ ; -- Begin function _Z6kernelI14exclusive_scanILN6hipcub18BlockScanAlgorithmE0EEdLj256ELj11ELj100EEvPKT0_PS4_S4_
	.globl	_Z6kernelI14exclusive_scanILN6hipcub18BlockScanAlgorithmE0EEdLj256ELj11ELj100EEvPKT0_PS4_S4_
	.p2align	8
	.type	_Z6kernelI14exclusive_scanILN6hipcub18BlockScanAlgorithmE0EEdLj256ELj11ELj100EEvPKT0_PS4_S4_,@function
_Z6kernelI14exclusive_scanILN6hipcub18BlockScanAlgorithmE0EEdLj256ELj11ELj100EEvPKT0_PS4_S4_: ; @_Z6kernelI14exclusive_scanILN6hipcub18BlockScanAlgorithmE0EEdLj256ELj11ELj100EEvPKT0_PS4_S4_
; %bb.0:
	s_load_b32 s2, s[0:1], 0x24
	v_cmp_gt_u32_e64 s5, 8, v0
	v_cmp_lt_u32_e64 s6, 31, v0
	v_cmp_eq_u32_e64 s8, 0, v0
	s_waitcnt lgkmcnt(0)
	s_and_b32 s2, s2, 0xffff
	s_delay_alu instid0(SALU_CYCLE_1) | instskip(SKIP_3) | instid1(VALU_DEP_1)
	v_mad_u64_u32 v[1:2], null, s15, s2, v[0:1]
	s_clause 0x1
	s_load_b128 s[12:15], s[0:1], 0x0
	s_load_b64 s[16:17], s[0:1], 0x10
	v_mul_lo_u32 v21, v1, 11
	s_delay_alu instid0(VALU_DEP_1) | instskip(NEXT) | instid1(VALU_DEP_1)
	v_dual_mov_b32 v22, 0 :: v_dual_add_nc_u32 v1, 1, v21
	v_dual_mov_b32 v2, v22 :: v_dual_add_nc_u32 v3, 2, v21
	v_lshlrev_b64 v[15:16], 3, v[21:22]
	v_dual_mov_b32 v4, v22 :: v_dual_add_nc_u32 v5, 3, v21
	v_dual_mov_b32 v6, v22 :: v_dual_add_nc_u32 v7, 4, v21
	v_dual_mov_b32 v8, v22 :: v_dual_add_nc_u32 v11, 5, v21
	v_lshlrev_b64 v[17:18], 3, v[1:2]
	v_dual_mov_b32 v12, v22 :: v_dual_add_nc_u32 v19, 6, v21
	v_lshlrev_b64 v[13:14], 3, v[3:4]
	v_lshlrev_b64 v[9:10], 3, v[5:6]
	v_lshlrev_b64 v[5:6], 3, v[7:8]
	s_waitcnt lgkmcnt(0)
	v_add_co_u32 v7, vcc_lo, s12, v15
	v_dual_mov_b32 v20, v22 :: v_dual_add_nc_u32 v31, 7, v21
	v_add_co_ci_u32_e32 v8, vcc_lo, s13, v16, vcc_lo
	v_lshlrev_b64 v[3:4], 3, v[11:12]
	v_add_co_u32 v11, vcc_lo, s12, v17
	v_add_co_ci_u32_e32 v12, vcc_lo, s13, v18, vcc_lo
	v_lshlrev_b64 v[1:2], 3, v[19:20]
	v_add_co_u32 v19, vcc_lo, s12, v13
	v_add_co_ci_u32_e32 v20, vcc_lo, s13, v14, vcc_lo
	v_add_co_u32 v23, vcc_lo, s12, v9
	v_mov_b32_e32 v32, v22
	v_add_co_ci_u32_e32 v24, vcc_lo, s13, v10, vcc_lo
	v_add_co_u32 v33, vcc_lo, s12, v5
	s_clause 0x3
	global_load_b64 v[29:30], v[7:8], off
	global_load_b64 v[27:28], v[11:12], off
	;; [unrolled: 1-line block ×4, first 2 shown]
	v_dual_mov_b32 v12, v22 :: v_dual_add_nc_u32 v11, 8, v21
	v_add_nc_u32_e32 v19, 9, v21
	v_add_co_ci_u32_e32 v34, vcc_lo, s13, v6, vcc_lo
	v_add_co_u32 v35, vcc_lo, s12, v3
	v_lshlrev_b64 v[7:8], 3, v[31:32]
	v_dual_mov_b32 v20, v22 :: v_dual_add_nc_u32 v21, 10, v21
	v_add_co_ci_u32_e32 v36, vcc_lo, s13, v4, vcc_lo
	v_add_co_u32 v31, vcc_lo, s12, v1
	v_lshlrev_b64 v[11:12], 3, v[11:12]
	v_add_co_ci_u32_e32 v32, vcc_lo, s13, v2, vcc_lo
	v_add_co_u32 v43, vcc_lo, s12, v7
	v_lshlrev_b64 v[19:20], 3, v[19:20]
	;; [unrolled: 3-line block ×3, first 2 shown]
	v_add_co_ci_u32_e32 v46, vcc_lo, s13, v12, vcc_lo
	v_add_co_u32 v47, vcc_lo, s12, v19
	v_add_co_ci_u32_e32 v48, vcc_lo, s13, v20, vcc_lo
	s_delay_alu instid0(VALU_DEP_4)
	v_add_co_u32 v49, vcc_lo, s12, v21
	v_add_co_ci_u32_e32 v50, vcc_lo, s13, v22, vcc_lo
	s_clause 0x6
	global_load_b64 v[41:42], v[33:34], off
	global_load_b64 v[39:40], v[35:36], off
	;; [unrolled: 1-line block ×7, first 2 shown]
	v_mbcnt_lo_u32_b32 v45, -1, 0
	v_or_b32_e32 v49, 31, v0
	s_movk_i32 s12, 0x64
	s_delay_alu instid0(VALU_DEP_2) | instskip(SKIP_3) | instid1(VALU_DEP_4)
	v_add_nc_u32_e32 v48, -1, v45
	v_and_b32_e32 v46, 15, v45
	v_and_b32_e32 v47, 16, v45
	v_cmp_eq_u32_e64 s7, 0, v45
	v_cmp_gt_i32_e64 s4, 0, v48
	s_delay_alu instid0(VALU_DEP_4)
	v_cmp_ne_u32_e32 vcc_lo, 0, v46
	v_cmp_lt_u32_e64 s0, 1, v46
	v_cmp_lt_u32_e64 s1, 3, v46
	;; [unrolled: 1-line block ×3, first 2 shown]
	v_cmp_ne_u32_e64 s3, 0, v47
	v_cndmask_b32_e64 v46, v48, v45, s4
	v_lshrrev_b32_e32 v47, 2, v0
	v_cmp_eq_u32_e64 s4, v49, v0
	v_lshlrev_b32_e32 v0, 3, v0
	s_delay_alu instid0(VALU_DEP_4) | instskip(SKIP_2) | instid1(VALU_DEP_2)
	v_lshlrev_b32_e32 v53, 2, v46
	v_and_b32_e32 v46, 7, v45
	v_and_b32_e32 v54, 56, v47
	v_cmp_ne_u32_e64 s9, 0, v46
	v_cmp_lt_u32_e64 s10, 1, v46
	v_cmp_lt_u32_e64 s11, 3, v46
	s_delay_alu instid0(VALU_DEP_4)
	v_add_nc_u32_e32 v55, -8, v54
.LBB202_1:                              ; =>This Inner Loop Header: Depth=1
	s_waitcnt vmcnt(9)
	s_delay_alu instid0(VALU_DEP_1) | instskip(SKIP_1) | instid1(VALU_DEP_1)
	v_add_f64 v[45:46], v[27:28], v[29:30]
	s_waitcnt vmcnt(8)
	v_add_f64 v[45:46], v[25:26], v[45:46]
	s_waitcnt vmcnt(7)
	s_delay_alu instid0(VALU_DEP_1) | instskip(SKIP_1) | instid1(VALU_DEP_1)
	v_add_f64 v[45:46], v[23:24], v[45:46]
	s_waitcnt vmcnt(6)
	v_add_f64 v[45:46], v[41:42], v[45:46]
	;; [unrolled: 5-line block ×5, first 2 shown]
	s_delay_alu instid0(VALU_DEP_1) | instskip(NEXT) | instid1(VALU_DEP_2)
	v_mov_b32_dpp v45, v43 row_shr:1 row_mask:0xf bank_mask:0xf
	v_mov_b32_dpp v46, v44 row_shr:1 row_mask:0xf bank_mask:0xf
	s_and_saveexec_b32 s13, vcc_lo
; %bb.2:                                ;   in Loop: Header=BB202_1 Depth=1
	s_delay_alu instid0(VALU_DEP_1)
	v_add_f64 v[43:44], v[43:44], v[45:46]
; %bb.3:                                ;   in Loop: Header=BB202_1 Depth=1
	s_or_b32 exec_lo, exec_lo, s13
	s_delay_alu instid0(VALU_DEP_1) | instskip(NEXT) | instid1(VALU_DEP_2)
	v_mov_b32_dpp v45, v43 row_shr:2 row_mask:0xf bank_mask:0xf
	v_mov_b32_dpp v46, v44 row_shr:2 row_mask:0xf bank_mask:0xf
	s_and_saveexec_b32 s13, s0
; %bb.4:                                ;   in Loop: Header=BB202_1 Depth=1
	s_delay_alu instid0(VALU_DEP_1)
	v_add_f64 v[43:44], v[43:44], v[45:46]
; %bb.5:                                ;   in Loop: Header=BB202_1 Depth=1
	s_or_b32 exec_lo, exec_lo, s13
	s_delay_alu instid0(VALU_DEP_1) | instskip(NEXT) | instid1(VALU_DEP_2)
	v_mov_b32_dpp v45, v43 row_shr:4 row_mask:0xf bank_mask:0xf
	v_mov_b32_dpp v46, v44 row_shr:4 row_mask:0xf bank_mask:0xf
	s_and_saveexec_b32 s13, s1
	;; [unrolled: 9-line block ×3, first 2 shown]
; %bb.8:                                ;   in Loop: Header=BB202_1 Depth=1
	s_delay_alu instid0(VALU_DEP_1)
	v_add_f64 v[43:44], v[43:44], v[45:46]
; %bb.9:                                ;   in Loop: Header=BB202_1 Depth=1
	s_or_b32 exec_lo, exec_lo, s13
	ds_swizzle_b32 v45, v43 offset:swizzle(BROADCAST,32,15)
	ds_swizzle_b32 v46, v44 offset:swizzle(BROADCAST,32,15)
	s_and_saveexec_b32 s13, s3
	s_cbranch_execz .LBB202_11
; %bb.10:                               ;   in Loop: Header=BB202_1 Depth=1
	s_waitcnt lgkmcnt(0)
	v_add_f64 v[43:44], v[43:44], v[45:46]
.LBB202_11:                             ;   in Loop: Header=BB202_1 Depth=1
	s_or_b32 exec_lo, exec_lo, s13
	s_and_saveexec_b32 s13, s4
	s_cbranch_execz .LBB202_13
; %bb.12:                               ;   in Loop: Header=BB202_1 Depth=1
	ds_store_b64 v54, v[43:44]
.LBB202_13:                             ;   in Loop: Header=BB202_1 Depth=1
	s_or_b32 exec_lo, exec_lo, s13
	s_waitcnt lgkmcnt(0)
	s_barrier
	buffer_gl0_inv
	s_and_saveexec_b32 s13, s5
	s_cbranch_execz .LBB202_21
; %bb.14:                               ;   in Loop: Header=BB202_1 Depth=1
	ds_load_b64 v[45:46], v0
	s_waitcnt lgkmcnt(0)
	v_mov_b32_dpp v47, v45 row_shr:1 row_mask:0xf bank_mask:0xf
	v_mov_b32_dpp v48, v46 row_shr:1 row_mask:0xf bank_mask:0xf
	s_and_saveexec_b32 s18, s9
; %bb.15:                               ;   in Loop: Header=BB202_1 Depth=1
	s_delay_alu instid0(VALU_DEP_1)
	v_add_f64 v[45:46], v[45:46], v[47:48]
; %bb.16:                               ;   in Loop: Header=BB202_1 Depth=1
	s_or_b32 exec_lo, exec_lo, s18
	s_delay_alu instid0(VALU_DEP_1) | instskip(NEXT) | instid1(VALU_DEP_2)
	v_mov_b32_dpp v47, v45 row_shr:2 row_mask:0xf bank_mask:0xf
	v_mov_b32_dpp v48, v46 row_shr:2 row_mask:0xf bank_mask:0xf
	s_and_saveexec_b32 s18, s10
; %bb.17:                               ;   in Loop: Header=BB202_1 Depth=1
	s_delay_alu instid0(VALU_DEP_1)
	v_add_f64 v[45:46], v[45:46], v[47:48]
; %bb.18:                               ;   in Loop: Header=BB202_1 Depth=1
	s_or_b32 exec_lo, exec_lo, s18
	s_delay_alu instid0(VALU_DEP_1) | instskip(NEXT) | instid1(VALU_DEP_2)
	v_mov_b32_dpp v47, v45 row_shr:4 row_mask:0xf bank_mask:0xf
	v_mov_b32_dpp v48, v46 row_shr:4 row_mask:0xf bank_mask:0xf
	s_and_saveexec_b32 s18, s11
; %bb.19:                               ;   in Loop: Header=BB202_1 Depth=1
	s_delay_alu instid0(VALU_DEP_1)
	v_add_f64 v[45:46], v[45:46], v[47:48]
; %bb.20:                               ;   in Loop: Header=BB202_1 Depth=1
	s_or_b32 exec_lo, exec_lo, s18
	ds_store_b64 v0, v[45:46]
.LBB202_21:                             ;   in Loop: Header=BB202_1 Depth=1
	s_or_b32 exec_lo, exec_lo, s13
	v_dual_mov_b32 v46, s17 :: v_dual_mov_b32 v45, s16
	s_waitcnt lgkmcnt(0)
	s_barrier
	buffer_gl0_inv
	s_and_saveexec_b32 s13, s6
	s_cbranch_execz .LBB202_23
; %bb.22:                               ;   in Loop: Header=BB202_1 Depth=1
	ds_load_b64 v[45:46], v55
	s_waitcnt lgkmcnt(0)
	v_add_f64 v[45:46], v[45:46], s[16:17]
.LBB202_23:                             ;   in Loop: Header=BB202_1 Depth=1
	s_or_b32 exec_lo, exec_lo, s13
	s_delay_alu instid0(VALU_DEP_1) | instskip(SKIP_1) | instid1(SALU_CYCLE_1)
	v_add_f64 v[43:44], v[43:44], v[45:46]
	s_add_i32 s12, s12, -1
	s_cmp_lg_u32 s12, 0
	ds_bpermute_b32 v44, v53, v44
	ds_bpermute_b32 v43, v53, v43
	s_waitcnt lgkmcnt(1)
	v_cndmask_b32_e64 v44, v44, v46, s7
	s_waitcnt lgkmcnt(0)
	v_cndmask_b32_e64 v43, v43, v45, s7
	s_delay_alu instid0(VALU_DEP_2) | instskip(NEXT) | instid1(VALU_DEP_2)
	v_cndmask_b32_e64 v46, v44, s17, s8
	v_cndmask_b32_e64 v45, v43, s16, s8
	s_delay_alu instid0(VALU_DEP_1) | instskip(NEXT) | instid1(VALU_DEP_1)
	v_add_f64 v[47:48], v[29:30], v[45:46]
	v_add_f64 v[51:52], v[27:28], v[47:48]
	s_delay_alu instid0(VALU_DEP_1) | instskip(NEXT) | instid1(VALU_DEP_1)
	v_add_f64 v[49:50], v[25:26], v[51:52]
	v_add_f64 v[23:24], v[23:24], v[49:50]
	;; [unrolled: 3-line block ×5, first 2 shown]
	s_cbranch_scc0 .LBB202_25
; %bb.24:                               ;   in Loop: Header=BB202_1 Depth=1
	v_dual_mov_b32 v31, v33 :: v_dual_mov_b32 v32, v34
	v_dual_mov_b32 v33, v35 :: v_dual_mov_b32 v34, v36
	v_dual_mov_b32 v36, v30 :: v_dual_mov_b32 v35, v29
	v_dual_mov_b32 v38, v28 :: v_dual_mov_b32 v37, v27
	v_dual_mov_b32 v40, v26 :: v_dual_mov_b32 v39, v25
	v_dual_mov_b32 v42, v24 :: v_dual_mov_b32 v41, v23
	v_dual_mov_b32 v23, v49 :: v_dual_mov_b32 v24, v50
	v_dual_mov_b32 v25, v51 :: v_dual_mov_b32 v26, v52
	v_dual_mov_b32 v27, v47 :: v_dual_mov_b32 v28, v48
	v_dual_mov_b32 v29, v45 :: v_dual_mov_b32 v30, v46
	s_branch .LBB202_1
.LBB202_25:
	v_add_co_u32 v15, vcc_lo, s14, v15
	v_add_co_ci_u32_e32 v16, vcc_lo, s15, v16, vcc_lo
	v_add_co_u32 v17, vcc_lo, s14, v17
	v_add_co_ci_u32_e32 v18, vcc_lo, s15, v18, vcc_lo
	;; [unrolled: 2-line block ×8, first 2 shown]
	s_clause 0x3
	global_store_b64 v[15:16], v[45:46], off
	global_store_b64 v[17:18], v[47:48], off
	;; [unrolled: 1-line block ×4, first 2 shown]
	v_add_co_u32 v9, vcc_lo, s14, v11
	v_add_co_ci_u32_e32 v10, vcc_lo, s15, v12, vcc_lo
	v_add_co_u32 v11, vcc_lo, s14, v19
	v_add_co_ci_u32_e32 v12, vcc_lo, s15, v20, vcc_lo
	;; [unrolled: 2-line block ×3, first 2 shown]
	s_clause 0x6
	global_store_b64 v[5:6], v[23:24], off
	global_store_b64 v[3:4], v[25:26], off
	;; [unrolled: 1-line block ×7, first 2 shown]
	s_nop 0
	s_sendmsg sendmsg(MSG_DEALLOC_VGPRS)
	s_endpgm
	.section	.rodata,"a",@progbits
	.p2align	6, 0x0
	.amdhsa_kernel _Z6kernelI14exclusive_scanILN6hipcub18BlockScanAlgorithmE0EEdLj256ELj11ELj100EEvPKT0_PS4_S4_
		.amdhsa_group_segment_fixed_size 64
		.amdhsa_private_segment_fixed_size 0
		.amdhsa_kernarg_size 280
		.amdhsa_user_sgpr_count 15
		.amdhsa_user_sgpr_dispatch_ptr 0
		.amdhsa_user_sgpr_queue_ptr 0
		.amdhsa_user_sgpr_kernarg_segment_ptr 1
		.amdhsa_user_sgpr_dispatch_id 0
		.amdhsa_user_sgpr_private_segment_size 0
		.amdhsa_wavefront_size32 1
		.amdhsa_uses_dynamic_stack 0
		.amdhsa_enable_private_segment 0
		.amdhsa_system_sgpr_workgroup_id_x 1
		.amdhsa_system_sgpr_workgroup_id_y 0
		.amdhsa_system_sgpr_workgroup_id_z 0
		.amdhsa_system_sgpr_workgroup_info 0
		.amdhsa_system_vgpr_workitem_id 0
		.amdhsa_next_free_vgpr 56
		.amdhsa_next_free_sgpr 19
		.amdhsa_reserve_vcc 1
		.amdhsa_float_round_mode_32 0
		.amdhsa_float_round_mode_16_64 0
		.amdhsa_float_denorm_mode_32 3
		.amdhsa_float_denorm_mode_16_64 3
		.amdhsa_dx10_clamp 1
		.amdhsa_ieee_mode 1
		.amdhsa_fp16_overflow 0
		.amdhsa_workgroup_processor_mode 1
		.amdhsa_memory_ordered 1
		.amdhsa_forward_progress 0
		.amdhsa_shared_vgpr_count 0
		.amdhsa_exception_fp_ieee_invalid_op 0
		.amdhsa_exception_fp_denorm_src 0
		.amdhsa_exception_fp_ieee_div_zero 0
		.amdhsa_exception_fp_ieee_overflow 0
		.amdhsa_exception_fp_ieee_underflow 0
		.amdhsa_exception_fp_ieee_inexact 0
		.amdhsa_exception_int_div_zero 0
	.end_amdhsa_kernel
	.section	.text._Z6kernelI14exclusive_scanILN6hipcub18BlockScanAlgorithmE0EEdLj256ELj11ELj100EEvPKT0_PS4_S4_,"axG",@progbits,_Z6kernelI14exclusive_scanILN6hipcub18BlockScanAlgorithmE0EEdLj256ELj11ELj100EEvPKT0_PS4_S4_,comdat
.Lfunc_end202:
	.size	_Z6kernelI14exclusive_scanILN6hipcub18BlockScanAlgorithmE0EEdLj256ELj11ELj100EEvPKT0_PS4_S4_, .Lfunc_end202-_Z6kernelI14exclusive_scanILN6hipcub18BlockScanAlgorithmE0EEdLj256ELj11ELj100EEvPKT0_PS4_S4_
                                        ; -- End function
	.section	.AMDGPU.csdata,"",@progbits
; Kernel info:
; codeLenInByte = 1740
; NumSgprs: 21
; NumVgprs: 56
; ScratchSize: 0
; MemoryBound: 0
; FloatMode: 240
; IeeeMode: 1
; LDSByteSize: 64 bytes/workgroup (compile time only)
; SGPRBlocks: 2
; VGPRBlocks: 6
; NumSGPRsForWavesPerEU: 21
; NumVGPRsForWavesPerEU: 56
; Occupancy: 16
; WaveLimiterHint : 0
; COMPUTE_PGM_RSRC2:SCRATCH_EN: 0
; COMPUTE_PGM_RSRC2:USER_SGPR: 15
; COMPUTE_PGM_RSRC2:TRAP_HANDLER: 0
; COMPUTE_PGM_RSRC2:TGID_X_EN: 1
; COMPUTE_PGM_RSRC2:TGID_Y_EN: 0
; COMPUTE_PGM_RSRC2:TGID_Z_EN: 0
; COMPUTE_PGM_RSRC2:TIDIG_COMP_CNT: 0
	.section	.text._Z6kernelI14exclusive_scanILN6hipcub18BlockScanAlgorithmE0EEdLj256ELj16ELj100EEvPKT0_PS4_S4_,"axG",@progbits,_Z6kernelI14exclusive_scanILN6hipcub18BlockScanAlgorithmE0EEdLj256ELj16ELj100EEvPKT0_PS4_S4_,comdat
	.protected	_Z6kernelI14exclusive_scanILN6hipcub18BlockScanAlgorithmE0EEdLj256ELj16ELj100EEvPKT0_PS4_S4_ ; -- Begin function _Z6kernelI14exclusive_scanILN6hipcub18BlockScanAlgorithmE0EEdLj256ELj16ELj100EEvPKT0_PS4_S4_
	.globl	_Z6kernelI14exclusive_scanILN6hipcub18BlockScanAlgorithmE0EEdLj256ELj16ELj100EEvPKT0_PS4_S4_
	.p2align	8
	.type	_Z6kernelI14exclusive_scanILN6hipcub18BlockScanAlgorithmE0EEdLj256ELj16ELj100EEvPKT0_PS4_S4_,@function
_Z6kernelI14exclusive_scanILN6hipcub18BlockScanAlgorithmE0EEdLj256ELj16ELj100EEvPKT0_PS4_S4_: ; @_Z6kernelI14exclusive_scanILN6hipcub18BlockScanAlgorithmE0EEdLj256ELj16ELj100EEvPKT0_PS4_S4_
; %bb.0:
	s_clause 0x1
	s_load_b32 s2, s[0:1], 0x24
	s_load_b128 s[16:19], s[0:1], 0x0
	v_mbcnt_lo_u32_b32 v33, -1, 0
	v_mov_b32_e32 v2, 0
	s_load_b64 s[12:13], s[0:1], 0x10
	v_or_b32_e32 v37, 31, v0
	v_cmp_gt_u32_e64 s5, 8, v0
	v_and_b32_e32 v35, 16, v33
	v_add_nc_u32_e32 v36, -1, v33
	v_and_b32_e32 v34, 15, v33
	v_cmp_lt_u32_e64 s6, 31, v0
	v_cmp_eq_u32_e64 s7, 0, v33
	v_cmp_ne_u32_e64 s3, 0, v35
	v_cmp_gt_i32_e64 s4, 0, v36
	v_cmp_lt_u32_e64 s0, 1, v34
	v_cmp_lt_u32_e64 s1, 3, v34
	v_lshrrev_b32_e32 v35, 2, v0
	v_cmp_eq_u32_e64 s8, 0, v0
	s_movk_i32 s14, 0x64
	s_waitcnt lgkmcnt(0)
	s_and_b32 s2, s2, 0xffff
	v_and_b32_e32 v44, 56, v35
	s_mul_i32 s15, s15, s2
	v_cmp_lt_u32_e64 s2, 7, v34
	v_add_lshl_u32 v1, s15, v0, 4
	s_delay_alu instid0(VALU_DEP_3) | instskip(NEXT) | instid1(VALU_DEP_2)
	v_add_nc_u32_e32 v45, -8, v44
	v_lshlrev_b64 v[41:42], 3, v[1:2]
	s_delay_alu instid0(VALU_DEP_1) | instskip(NEXT) | instid1(VALU_DEP_2)
	v_add_co_u32 v29, vcc_lo, s16, v41
	v_add_co_ci_u32_e32 v30, vcc_lo, s17, v42, vcc_lo
	v_cmp_ne_u32_e32 vcc_lo, 0, v34
	v_cndmask_b32_e64 v34, v36, v33, s4
	v_cmp_eq_u32_e64 s4, v37, v0
	s_clause 0x7
	global_load_b128 v[5:8], v[29:30], off offset:48
	global_load_b128 v[9:12], v[29:30], off offset:32
	;; [unrolled: 1-line block ×3, first 2 shown]
	global_load_b128 v[17:20], v[29:30], off
	global_load_b128 v[1:4], v[29:30], off offset:112
	global_load_b128 v[21:24], v[29:30], off offset:96
	;; [unrolled: 1-line block ×4, first 2 shown]
	v_lshlrev_b32_e32 v0, 3, v0
	v_lshlrev_b32_e32 v43, 2, v34
	v_and_b32_e32 v34, 7, v33
	s_delay_alu instid0(VALU_DEP_1)
	v_cmp_ne_u32_e64 s9, 0, v34
	v_cmp_lt_u32_e64 s10, 1, v34
	v_cmp_lt_u32_e64 s11, 3, v34
.LBB203_1:                              ; =>This Inner Loop Header: Depth=1
	s_waitcnt vmcnt(4)
	s_delay_alu instid0(VALU_DEP_1) | instskip(NEXT) | instid1(VALU_DEP_1)
	v_add_f64 v[33:34], v[19:20], v[17:18]
	v_add_f64 v[33:34], v[13:14], v[33:34]
	s_delay_alu instid0(VALU_DEP_1) | instskip(NEXT) | instid1(VALU_DEP_1)
	v_add_f64 v[33:34], v[15:16], v[33:34]
	v_add_f64 v[33:34], v[9:10], v[33:34]
	;; [unrolled: 3-line block ×3, first 2 shown]
	s_delay_alu instid0(VALU_DEP_1) | instskip(SKIP_1) | instid1(VALU_DEP_1)
	v_add_f64 v[33:34], v[7:8], v[33:34]
	s_waitcnt vmcnt(0)
	v_add_f64 v[33:34], v[29:30], v[33:34]
	s_delay_alu instid0(VALU_DEP_1) | instskip(NEXT) | instid1(VALU_DEP_1)
	v_add_f64 v[33:34], v[31:32], v[33:34]
	v_add_f64 v[33:34], v[25:26], v[33:34]
	s_delay_alu instid0(VALU_DEP_1) | instskip(NEXT) | instid1(VALU_DEP_1)
	v_add_f64 v[33:34], v[27:28], v[33:34]
	;; [unrolled: 3-line block ×4, first 2 shown]
	v_mov_b32_dpp v33, v3 row_shr:1 row_mask:0xf bank_mask:0xf
	s_delay_alu instid0(VALU_DEP_2)
	v_mov_b32_dpp v34, v4 row_shr:1 row_mask:0xf bank_mask:0xf
	s_and_saveexec_b32 s15, vcc_lo
; %bb.2:                                ;   in Loop: Header=BB203_1 Depth=1
	s_delay_alu instid0(VALU_DEP_1)
	v_add_f64 v[3:4], v[3:4], v[33:34]
; %bb.3:                                ;   in Loop: Header=BB203_1 Depth=1
	s_or_b32 exec_lo, exec_lo, s15
	s_delay_alu instid0(VALU_DEP_1) | instskip(NEXT) | instid1(VALU_DEP_2)
	v_mov_b32_dpp v33, v3 row_shr:2 row_mask:0xf bank_mask:0xf
	v_mov_b32_dpp v34, v4 row_shr:2 row_mask:0xf bank_mask:0xf
	s_and_saveexec_b32 s15, s0
; %bb.4:                                ;   in Loop: Header=BB203_1 Depth=1
	s_delay_alu instid0(VALU_DEP_1)
	v_add_f64 v[3:4], v[3:4], v[33:34]
; %bb.5:                                ;   in Loop: Header=BB203_1 Depth=1
	s_or_b32 exec_lo, exec_lo, s15
	s_delay_alu instid0(VALU_DEP_1) | instskip(NEXT) | instid1(VALU_DEP_2)
	v_mov_b32_dpp v33, v3 row_shr:4 row_mask:0xf bank_mask:0xf
	v_mov_b32_dpp v34, v4 row_shr:4 row_mask:0xf bank_mask:0xf
	s_and_saveexec_b32 s15, s1
	;; [unrolled: 9-line block ×3, first 2 shown]
; %bb.8:                                ;   in Loop: Header=BB203_1 Depth=1
	s_delay_alu instid0(VALU_DEP_1)
	v_add_f64 v[3:4], v[3:4], v[33:34]
; %bb.9:                                ;   in Loop: Header=BB203_1 Depth=1
	s_or_b32 exec_lo, exec_lo, s15
	ds_swizzle_b32 v33, v3 offset:swizzle(BROADCAST,32,15)
	ds_swizzle_b32 v34, v4 offset:swizzle(BROADCAST,32,15)
	s_and_saveexec_b32 s15, s3
	s_cbranch_execz .LBB203_11
; %bb.10:                               ;   in Loop: Header=BB203_1 Depth=1
	s_waitcnt lgkmcnt(0)
	v_add_f64 v[3:4], v[3:4], v[33:34]
.LBB203_11:                             ;   in Loop: Header=BB203_1 Depth=1
	s_or_b32 exec_lo, exec_lo, s15
	s_and_saveexec_b32 s15, s4
	s_cbranch_execz .LBB203_13
; %bb.12:                               ;   in Loop: Header=BB203_1 Depth=1
	ds_store_b64 v44, v[3:4]
.LBB203_13:                             ;   in Loop: Header=BB203_1 Depth=1
	s_or_b32 exec_lo, exec_lo, s15
	s_waitcnt lgkmcnt(0)
	s_barrier
	buffer_gl0_inv
	s_and_saveexec_b32 s15, s5
	s_cbranch_execz .LBB203_21
; %bb.14:                               ;   in Loop: Header=BB203_1 Depth=1
	ds_load_b64 v[33:34], v0
	s_waitcnt lgkmcnt(0)
	v_mov_b32_dpp v35, v33 row_shr:1 row_mask:0xf bank_mask:0xf
	v_mov_b32_dpp v36, v34 row_shr:1 row_mask:0xf bank_mask:0xf
	s_and_saveexec_b32 s16, s9
; %bb.15:                               ;   in Loop: Header=BB203_1 Depth=1
	s_delay_alu instid0(VALU_DEP_1)
	v_add_f64 v[33:34], v[33:34], v[35:36]
; %bb.16:                               ;   in Loop: Header=BB203_1 Depth=1
	s_or_b32 exec_lo, exec_lo, s16
	s_delay_alu instid0(VALU_DEP_1) | instskip(NEXT) | instid1(VALU_DEP_2)
	v_mov_b32_dpp v35, v33 row_shr:2 row_mask:0xf bank_mask:0xf
	v_mov_b32_dpp v36, v34 row_shr:2 row_mask:0xf bank_mask:0xf
	s_and_saveexec_b32 s16, s10
; %bb.17:                               ;   in Loop: Header=BB203_1 Depth=1
	s_delay_alu instid0(VALU_DEP_1)
	v_add_f64 v[33:34], v[33:34], v[35:36]
; %bb.18:                               ;   in Loop: Header=BB203_1 Depth=1
	s_or_b32 exec_lo, exec_lo, s16
	s_delay_alu instid0(VALU_DEP_1) | instskip(NEXT) | instid1(VALU_DEP_2)
	v_mov_b32_dpp v35, v33 row_shr:4 row_mask:0xf bank_mask:0xf
	v_mov_b32_dpp v36, v34 row_shr:4 row_mask:0xf bank_mask:0xf
	s_and_saveexec_b32 s16, s11
; %bb.19:                               ;   in Loop: Header=BB203_1 Depth=1
	s_delay_alu instid0(VALU_DEP_1)
	v_add_f64 v[33:34], v[33:34], v[35:36]
; %bb.20:                               ;   in Loop: Header=BB203_1 Depth=1
	s_or_b32 exec_lo, exec_lo, s16
	ds_store_b64 v0, v[33:34]
.LBB203_21:                             ;   in Loop: Header=BB203_1 Depth=1
	s_or_b32 exec_lo, exec_lo, s15
	v_dual_mov_b32 v34, s13 :: v_dual_mov_b32 v33, s12
	s_waitcnt lgkmcnt(0)
	s_barrier
	buffer_gl0_inv
	s_and_saveexec_b32 s15, s6
	s_cbranch_execz .LBB203_23
; %bb.22:                               ;   in Loop: Header=BB203_1 Depth=1
	ds_load_b64 v[33:34], v45
	s_waitcnt lgkmcnt(0)
	v_add_f64 v[33:34], v[33:34], s[12:13]
.LBB203_23:                             ;   in Loop: Header=BB203_1 Depth=1
	s_or_b32 exec_lo, exec_lo, s15
	s_delay_alu instid0(VALU_DEP_1) | instskip(SKIP_1) | instid1(SALU_CYCLE_1)
	v_add_f64 v[3:4], v[3:4], v[33:34]
	s_add_i32 s14, s14, -1
	s_cmp_lg_u32 s14, 0
	ds_bpermute_b32 v4, v43, v4
	ds_bpermute_b32 v3, v43, v3
	s_waitcnt lgkmcnt(1)
	v_cndmask_b32_e64 v4, v4, v34, s7
	s_waitcnt lgkmcnt(0)
	v_cndmask_b32_e64 v3, v3, v33, s7
	s_delay_alu instid0(VALU_DEP_2) | instskip(NEXT) | instid1(VALU_DEP_2)
	v_cndmask_b32_e64 v38, v4, s13, s8
	v_cndmask_b32_e64 v37, v3, s12, s8
	s_delay_alu instid0(VALU_DEP_1) | instskip(NEXT) | instid1(VALU_DEP_1)
	v_add_f64 v[39:40], v[17:18], v[37:38]
	v_add_f64 v[33:34], v[19:20], v[39:40]
	s_delay_alu instid0(VALU_DEP_1) | instskip(NEXT) | instid1(VALU_DEP_1)
	v_add_f64 v[35:36], v[13:14], v[33:34]
	v_add_f64 v[13:14], v[15:16], v[35:36]
	;; [unrolled: 3-line block ×7, first 2 shown]
	s_delay_alu instid0(VALU_DEP_1)
	v_add_f64 v[3:4], v[1:2], v[21:22]
	s_cbranch_scc0 .LBB203_25
; %bb.24:                               ;   in Loop: Header=BB203_1 Depth=1
	v_dual_mov_b32 v1, v21 :: v_dual_mov_b32 v2, v22
	v_dual_mov_b32 v23, v27 :: v_dual_mov_b32 v24, v28
	;; [unrolled: 1-line block ×15, first 2 shown]
	s_branch .LBB203_1
.LBB203_25:
	v_add_co_u32 v0, vcc_lo, s18, v41
	v_add_co_ci_u32_e32 v1, vcc_lo, s19, v42, vcc_lo
	s_delay_alu instid0(VALU_DEP_3)
	v_dual_mov_b32 v23, v3 :: v_dual_mov_b32 v24, v4
	s_clause 0x7
	global_store_b128 v[0:1], v[37:40], off
	global_store_b128 v[0:1], v[33:36], off offset:16
	global_store_b128 v[0:1], v[13:16], off offset:32
	;; [unrolled: 1-line block ×7, first 2 shown]
	s_nop 0
	s_sendmsg sendmsg(MSG_DEALLOC_VGPRS)
	s_endpgm
	.section	.rodata,"a",@progbits
	.p2align	6, 0x0
	.amdhsa_kernel _Z6kernelI14exclusive_scanILN6hipcub18BlockScanAlgorithmE0EEdLj256ELj16ELj100EEvPKT0_PS4_S4_
		.amdhsa_group_segment_fixed_size 64
		.amdhsa_private_segment_fixed_size 0
		.amdhsa_kernarg_size 280
		.amdhsa_user_sgpr_count 15
		.amdhsa_user_sgpr_dispatch_ptr 0
		.amdhsa_user_sgpr_queue_ptr 0
		.amdhsa_user_sgpr_kernarg_segment_ptr 1
		.amdhsa_user_sgpr_dispatch_id 0
		.amdhsa_user_sgpr_private_segment_size 0
		.amdhsa_wavefront_size32 1
		.amdhsa_uses_dynamic_stack 0
		.amdhsa_enable_private_segment 0
		.amdhsa_system_sgpr_workgroup_id_x 1
		.amdhsa_system_sgpr_workgroup_id_y 0
		.amdhsa_system_sgpr_workgroup_id_z 0
		.amdhsa_system_sgpr_workgroup_info 0
		.amdhsa_system_vgpr_workitem_id 0
		.amdhsa_next_free_vgpr 46
		.amdhsa_next_free_sgpr 20
		.amdhsa_reserve_vcc 1
		.amdhsa_float_round_mode_32 0
		.amdhsa_float_round_mode_16_64 0
		.amdhsa_float_denorm_mode_32 3
		.amdhsa_float_denorm_mode_16_64 3
		.amdhsa_dx10_clamp 1
		.amdhsa_ieee_mode 1
		.amdhsa_fp16_overflow 0
		.amdhsa_workgroup_processor_mode 1
		.amdhsa_memory_ordered 1
		.amdhsa_forward_progress 0
		.amdhsa_shared_vgpr_count 0
		.amdhsa_exception_fp_ieee_invalid_op 0
		.amdhsa_exception_fp_denorm_src 0
		.amdhsa_exception_fp_ieee_div_zero 0
		.amdhsa_exception_fp_ieee_overflow 0
		.amdhsa_exception_fp_ieee_underflow 0
		.amdhsa_exception_fp_ieee_inexact 0
		.amdhsa_exception_int_div_zero 0
	.end_amdhsa_kernel
	.section	.text._Z6kernelI14exclusive_scanILN6hipcub18BlockScanAlgorithmE0EEdLj256ELj16ELj100EEvPKT0_PS4_S4_,"axG",@progbits,_Z6kernelI14exclusive_scanILN6hipcub18BlockScanAlgorithmE0EEdLj256ELj16ELj100EEvPKT0_PS4_S4_,comdat
.Lfunc_end203:
	.size	_Z6kernelI14exclusive_scanILN6hipcub18BlockScanAlgorithmE0EEdLj256ELj16ELj100EEvPKT0_PS4_S4_, .Lfunc_end203-_Z6kernelI14exclusive_scanILN6hipcub18BlockScanAlgorithmE0EEdLj256ELj16ELj100EEvPKT0_PS4_S4_
                                        ; -- End function
	.section	.AMDGPU.csdata,"",@progbits
; Kernel info:
; codeLenInByte = 1388
; NumSgprs: 22
; NumVgprs: 46
; ScratchSize: 0
; MemoryBound: 0
; FloatMode: 240
; IeeeMode: 1
; LDSByteSize: 64 bytes/workgroup (compile time only)
; SGPRBlocks: 2
; VGPRBlocks: 5
; NumSGPRsForWavesPerEU: 22
; NumVGPRsForWavesPerEU: 46
; Occupancy: 16
; WaveLimiterHint : 0
; COMPUTE_PGM_RSRC2:SCRATCH_EN: 0
; COMPUTE_PGM_RSRC2:USER_SGPR: 15
; COMPUTE_PGM_RSRC2:TRAP_HANDLER: 0
; COMPUTE_PGM_RSRC2:TGID_X_EN: 1
; COMPUTE_PGM_RSRC2:TGID_Y_EN: 0
; COMPUTE_PGM_RSRC2:TGID_Z_EN: 0
; COMPUTE_PGM_RSRC2:TIDIG_COMP_CNT: 0
	.section	.text._Z6kernelI14exclusive_scanILN6hipcub18BlockScanAlgorithmE0EEhLj256ELj1ELj100EEvPKT0_PS4_S4_,"axG",@progbits,_Z6kernelI14exclusive_scanILN6hipcub18BlockScanAlgorithmE0EEhLj256ELj1ELj100EEvPKT0_PS4_S4_,comdat
	.protected	_Z6kernelI14exclusive_scanILN6hipcub18BlockScanAlgorithmE0EEhLj256ELj1ELj100EEvPKT0_PS4_S4_ ; -- Begin function _Z6kernelI14exclusive_scanILN6hipcub18BlockScanAlgorithmE0EEhLj256ELj1ELj100EEvPKT0_PS4_S4_
	.globl	_Z6kernelI14exclusive_scanILN6hipcub18BlockScanAlgorithmE0EEhLj256ELj1ELj100EEvPKT0_PS4_S4_
	.p2align	8
	.type	_Z6kernelI14exclusive_scanILN6hipcub18BlockScanAlgorithmE0EEhLj256ELj1ELj100EEvPKT0_PS4_S4_,@function
_Z6kernelI14exclusive_scanILN6hipcub18BlockScanAlgorithmE0EEhLj256ELj1ELj100EEvPKT0_PS4_S4_: ; @_Z6kernelI14exclusive_scanILN6hipcub18BlockScanAlgorithmE0EEhLj256ELj1ELj100EEvPKT0_PS4_S4_
; %bb.0:
	s_clause 0x1
	s_load_b32 s2, s[0:1], 0x24
	s_load_b128 s[16:19], s[0:1], 0x0
	v_mbcnt_lo_u32_b32 v4, -1, 0
	s_load_b32 s11, s[0:1], 0x10
	v_or_b32_e32 v7, 31, v0
	v_cmp_gt_u32_e64 s5, 8, v0
	v_cmp_lt_u32_e64 s6, 31, v0
	v_add_nc_u32_e32 v6, -1, v4
	v_and_b32_e32 v3, 16, v4
	v_cmp_eq_u32_e64 s7, 0, v4
	s_movk_i32 s12, 0x64
	s_delay_alu instid0(VALU_DEP_3) | instskip(NEXT) | instid1(VALU_DEP_3)
	v_cmp_gt_i32_e64 s4, 0, v6
	v_cmp_eq_u32_e64 s3, 0, v3
	s_delay_alu instid0(VALU_DEP_2)
	v_cndmask_b32_e64 v3, v6, v4, s4
	v_and_b32_e32 v6, 7, v4
	v_cmp_eq_u32_e64 s4, v7, v0
	s_waitcnt lgkmcnt(0)
	s_and_b32 s2, s2, 0xffff
	v_lshlrev_b32_e32 v3, 2, v3
	v_mad_u64_u32 v[1:2], null, s15, s2, v[0:1]
	v_and_b32_e32 v2, 15, v4
	v_cmp_eq_u32_e64 s8, 0, v6
	v_cmp_lt_u32_e64 s9, 1, v6
	v_cmp_lt_u32_e64 s10, 3, v6
	s_delay_alu instid0(VALU_DEP_4)
	v_cmp_eq_u32_e32 vcc_lo, 0, v2
	global_load_u8 v5, v1, s[16:17]
	v_cmp_lt_u32_e64 s0, 1, v2
	v_cmp_lt_u32_e64 s1, 3, v2
	;; [unrolled: 1-line block ×3, first 2 shown]
	v_lshrrev_b32_e32 v2, 5, v0
	s_delay_alu instid0(VALU_DEP_1)
	v_add_nc_u32_e32 v4, -1, v2
	s_branch .LBB204_2
.LBB204_1:                              ;   in Loop: Header=BB204_2 Depth=1
	s_or_b32 exec_lo, exec_lo, s13
	s_delay_alu instid0(VALU_DEP_1) | instskip(SKIP_1) | instid1(SALU_CYCLE_1)
	v_add_nc_u16 v5, v6, v5
	s_add_i32 s12, s12, -1
	s_cmp_lg_u32 s12, 0
	s_delay_alu instid0(VALU_DEP_1)
	v_and_b32_e32 v5, 0xff, v5
	ds_bpermute_b32 v5, v3, v5
	s_waitcnt lgkmcnt(0)
	v_cndmask_b32_e64 v5, v5, v6, s7
	s_cbranch_scc0 .LBB204_8
.LBB204_2:                              ; =>This Inner Loop Header: Depth=1
	s_waitcnt vmcnt(0)
	s_delay_alu instid0(VALU_DEP_1) | instskip(NEXT) | instid1(VALU_DEP_1)
	v_and_b32_e32 v6, 0xff, v5
	v_mov_b32_dpp v6, v6 row_shr:1 row_mask:0xf bank_mask:0xf
	s_delay_alu instid0(VALU_DEP_1) | instskip(NEXT) | instid1(VALU_DEP_1)
	v_cndmask_b32_e64 v6, v6, 0, vcc_lo
	v_add_nc_u16 v5, v6, v5
	s_delay_alu instid0(VALU_DEP_1) | instskip(NEXT) | instid1(VALU_DEP_1)
	v_and_b32_e32 v6, 0xff, v5
	v_mov_b32_dpp v6, v6 row_shr:2 row_mask:0xf bank_mask:0xf
	s_delay_alu instid0(VALU_DEP_1) | instskip(NEXT) | instid1(VALU_DEP_1)
	v_cndmask_b32_e64 v6, 0, v6, s0
	v_add_nc_u16 v5, v5, v6
	s_delay_alu instid0(VALU_DEP_1) | instskip(NEXT) | instid1(VALU_DEP_1)
	v_and_b32_e32 v6, 0xff, v5
	v_mov_b32_dpp v6, v6 row_shr:4 row_mask:0xf bank_mask:0xf
	s_delay_alu instid0(VALU_DEP_1) | instskip(NEXT) | instid1(VALU_DEP_1)
	v_cndmask_b32_e64 v6, 0, v6, s1
	v_add_nc_u16 v5, v5, v6
	s_delay_alu instid0(VALU_DEP_1) | instskip(NEXT) | instid1(VALU_DEP_1)
	v_and_b32_e32 v6, 0xff, v5
	v_mov_b32_dpp v6, v6 row_shr:8 row_mask:0xf bank_mask:0xf
	s_delay_alu instid0(VALU_DEP_1) | instskip(NEXT) | instid1(VALU_DEP_1)
	v_cndmask_b32_e64 v6, 0, v6, s2
	v_add_nc_u16 v5, v5, v6
	s_delay_alu instid0(VALU_DEP_1) | instskip(SKIP_3) | instid1(VALU_DEP_1)
	v_and_b32_e32 v6, 0xff, v5
	ds_swizzle_b32 v6, v6 offset:swizzle(BROADCAST,32,15)
	s_waitcnt lgkmcnt(0)
	v_cndmask_b32_e64 v6, v6, 0, s3
	v_add_nc_u16 v5, v5, v6
	s_and_saveexec_b32 s13, s4
	s_cbranch_execz .LBB204_4
; %bb.3:                                ;   in Loop: Header=BB204_2 Depth=1
	ds_store_b8 v2, v5
.LBB204_4:                              ;   in Loop: Header=BB204_2 Depth=1
	s_or_b32 exec_lo, exec_lo, s13
	s_waitcnt lgkmcnt(0)
	s_barrier
	buffer_gl0_inv
	s_and_saveexec_b32 s13, s5
	s_cbranch_execz .LBB204_6
; %bb.5:                                ;   in Loop: Header=BB204_2 Depth=1
	ds_load_u8 v6, v0
	s_waitcnt lgkmcnt(0)
	v_and_b32_e32 v7, 0xff, v6
	s_delay_alu instid0(VALU_DEP_1) | instskip(NEXT) | instid1(VALU_DEP_1)
	v_mov_b32_dpp v7, v7 row_shr:1 row_mask:0xf bank_mask:0xf
	v_cndmask_b32_e64 v7, v7, 0, s8
	s_delay_alu instid0(VALU_DEP_1) | instskip(NEXT) | instid1(VALU_DEP_1)
	v_add_nc_u16 v6, v7, v6
	v_and_b32_e32 v7, 0xff, v6
	s_delay_alu instid0(VALU_DEP_1) | instskip(NEXT) | instid1(VALU_DEP_1)
	v_mov_b32_dpp v7, v7 row_shr:2 row_mask:0xf bank_mask:0xf
	v_cndmask_b32_e64 v7, 0, v7, s9
	s_delay_alu instid0(VALU_DEP_1) | instskip(NEXT) | instid1(VALU_DEP_1)
	v_add_nc_u16 v6, v6, v7
	v_and_b32_e32 v7, 0xff, v6
	s_delay_alu instid0(VALU_DEP_1) | instskip(NEXT) | instid1(VALU_DEP_1)
	v_mov_b32_dpp v7, v7 row_shr:4 row_mask:0xf bank_mask:0xf
	v_cndmask_b32_e64 v7, 0, v7, s10
	s_delay_alu instid0(VALU_DEP_1)
	v_add_nc_u16 v6, v6, v7
	ds_store_b8 v0, v6
.LBB204_6:                              ;   in Loop: Header=BB204_2 Depth=1
	s_or_b32 exec_lo, exec_lo, s13
	v_mov_b32_e32 v6, s11
	s_waitcnt lgkmcnt(0)
	s_barrier
	buffer_gl0_inv
	s_and_saveexec_b32 s13, s6
	s_cbranch_execz .LBB204_1
; %bb.7:                                ;   in Loop: Header=BB204_2 Depth=1
	ds_load_u8 v6, v4
	s_waitcnt lgkmcnt(0)
	v_add_nc_u16 v6, v6, s11
	s_branch .LBB204_1
.LBB204_8:
	v_add_co_u32 v0, s0, s18, v1
	s_delay_alu instid0(VALU_DEP_1)
	v_add_co_ci_u32_e64 v1, null, s19, 0, s0
	global_store_b8 v[0:1], v5, off
	s_nop 0
	s_sendmsg sendmsg(MSG_DEALLOC_VGPRS)
	s_endpgm
	.section	.rodata,"a",@progbits
	.p2align	6, 0x0
	.amdhsa_kernel _Z6kernelI14exclusive_scanILN6hipcub18BlockScanAlgorithmE0EEhLj256ELj1ELj100EEvPKT0_PS4_S4_
		.amdhsa_group_segment_fixed_size 8
		.amdhsa_private_segment_fixed_size 0
		.amdhsa_kernarg_size 280
		.amdhsa_user_sgpr_count 15
		.amdhsa_user_sgpr_dispatch_ptr 0
		.amdhsa_user_sgpr_queue_ptr 0
		.amdhsa_user_sgpr_kernarg_segment_ptr 1
		.amdhsa_user_sgpr_dispatch_id 0
		.amdhsa_user_sgpr_private_segment_size 0
		.amdhsa_wavefront_size32 1
		.amdhsa_uses_dynamic_stack 0
		.amdhsa_enable_private_segment 0
		.amdhsa_system_sgpr_workgroup_id_x 1
		.amdhsa_system_sgpr_workgroup_id_y 0
		.amdhsa_system_sgpr_workgroup_id_z 0
		.amdhsa_system_sgpr_workgroup_info 0
		.amdhsa_system_vgpr_workitem_id 0
		.amdhsa_next_free_vgpr 8
		.amdhsa_next_free_sgpr 20
		.amdhsa_reserve_vcc 1
		.amdhsa_float_round_mode_32 0
		.amdhsa_float_round_mode_16_64 0
		.amdhsa_float_denorm_mode_32 3
		.amdhsa_float_denorm_mode_16_64 3
		.amdhsa_dx10_clamp 1
		.amdhsa_ieee_mode 1
		.amdhsa_fp16_overflow 0
		.amdhsa_workgroup_processor_mode 1
		.amdhsa_memory_ordered 1
		.amdhsa_forward_progress 0
		.amdhsa_shared_vgpr_count 0
		.amdhsa_exception_fp_ieee_invalid_op 0
		.amdhsa_exception_fp_denorm_src 0
		.amdhsa_exception_fp_ieee_div_zero 0
		.amdhsa_exception_fp_ieee_overflow 0
		.amdhsa_exception_fp_ieee_underflow 0
		.amdhsa_exception_fp_ieee_inexact 0
		.amdhsa_exception_int_div_zero 0
	.end_amdhsa_kernel
	.section	.text._Z6kernelI14exclusive_scanILN6hipcub18BlockScanAlgorithmE0EEhLj256ELj1ELj100EEvPKT0_PS4_S4_,"axG",@progbits,_Z6kernelI14exclusive_scanILN6hipcub18BlockScanAlgorithmE0EEhLj256ELj1ELj100EEvPKT0_PS4_S4_,comdat
.Lfunc_end204:
	.size	_Z6kernelI14exclusive_scanILN6hipcub18BlockScanAlgorithmE0EEhLj256ELj1ELj100EEvPKT0_PS4_S4_, .Lfunc_end204-_Z6kernelI14exclusive_scanILN6hipcub18BlockScanAlgorithmE0EEhLj256ELj1ELj100EEvPKT0_PS4_S4_
                                        ; -- End function
	.section	.AMDGPU.csdata,"",@progbits
; Kernel info:
; codeLenInByte = 772
; NumSgprs: 22
; NumVgprs: 8
; ScratchSize: 0
; MemoryBound: 0
; FloatMode: 240
; IeeeMode: 1
; LDSByteSize: 8 bytes/workgroup (compile time only)
; SGPRBlocks: 2
; VGPRBlocks: 0
; NumSGPRsForWavesPerEU: 22
; NumVGPRsForWavesPerEU: 8
; Occupancy: 16
; WaveLimiterHint : 0
; COMPUTE_PGM_RSRC2:SCRATCH_EN: 0
; COMPUTE_PGM_RSRC2:USER_SGPR: 15
; COMPUTE_PGM_RSRC2:TRAP_HANDLER: 0
; COMPUTE_PGM_RSRC2:TGID_X_EN: 1
; COMPUTE_PGM_RSRC2:TGID_Y_EN: 0
; COMPUTE_PGM_RSRC2:TGID_Z_EN: 0
; COMPUTE_PGM_RSRC2:TIDIG_COMP_CNT: 0
	.section	.text._Z6kernelI14exclusive_scanILN6hipcub18BlockScanAlgorithmE0EEhLj256ELj3ELj100EEvPKT0_PS4_S4_,"axG",@progbits,_Z6kernelI14exclusive_scanILN6hipcub18BlockScanAlgorithmE0EEhLj256ELj3ELj100EEvPKT0_PS4_S4_,comdat
	.protected	_Z6kernelI14exclusive_scanILN6hipcub18BlockScanAlgorithmE0EEhLj256ELj3ELj100EEvPKT0_PS4_S4_ ; -- Begin function _Z6kernelI14exclusive_scanILN6hipcub18BlockScanAlgorithmE0EEhLj256ELj3ELj100EEvPKT0_PS4_S4_
	.globl	_Z6kernelI14exclusive_scanILN6hipcub18BlockScanAlgorithmE0EEhLj256ELj3ELj100EEvPKT0_PS4_S4_
	.p2align	8
	.type	_Z6kernelI14exclusive_scanILN6hipcub18BlockScanAlgorithmE0EEhLj256ELj3ELj100EEvPKT0_PS4_S4_,@function
_Z6kernelI14exclusive_scanILN6hipcub18BlockScanAlgorithmE0EEhLj256ELj3ELj100EEvPKT0_PS4_S4_: ; @_Z6kernelI14exclusive_scanILN6hipcub18BlockScanAlgorithmE0EEhLj256ELj3ELj100EEvPKT0_PS4_S4_
; %bb.0:
	s_clause 0x2
	s_load_b32 s2, s[0:1], 0x24
	s_load_b32 s12, s[0:1], 0x10
	s_load_b128 s[16:19], s[0:1], 0x0
	v_mbcnt_lo_u32_b32 v8, -1, 0
	v_lshrrev_b32_e32 v4, 5, v0
	v_or_b32_e32 v11, 31, v0
	v_cmp_gt_u32_e32 vcc_lo, 8, v0
	v_cmp_lt_u32_e64 s0, 31, v0
	v_add_nc_u32_e32 v12, -1, v8
	v_and_b32_e32 v9, 15, v8
	v_and_b32_e32 v10, 16, v8
	v_cmp_eq_u32_e64 s1, 0, v8
	v_and_b32_e32 v13, 7, v8
	v_cmp_gt_i32_e64 s9, 0, v12
	v_cmp_eq_u32_e64 s3, 0, v9
	v_cmp_lt_u32_e64 s4, 1, v9
	v_cmp_lt_u32_e64 s5, 3, v9
	;; [unrolled: 1-line block ×3, first 2 shown]
	v_cmp_eq_u32_e64 s7, 0, v10
	v_cmp_eq_u32_e64 s8, v11, v0
	s_waitcnt lgkmcnt(0)
	s_and_b32 s2, s2, 0xffff
	v_cmp_lt_u32_e64 s10, 1, v13
	v_mad_u64_u32 v[1:2], null, s15, s2, v[0:1]
	v_cmp_eq_u32_e64 s2, 0, v0
	v_cmp_lt_u32_e64 s11, 3, v13
	s_movk_i32 s13, 0x64
	s_delay_alu instid0(VALU_DEP_3) | instskip(NEXT) | instid1(VALU_DEP_1)
	v_lshl_add_u32 v3, v1, 1, v1
	v_add_nc_u32_e32 v2, 1, v3
	v_add_nc_u32_e32 v1, 2, v3
	s_clause 0x2
	global_load_u8 v5, v2, s[16:17]
	global_load_u8 v6, v3, s[16:17]
	;; [unrolled: 1-line block ×3, first 2 shown]
	s_waitcnt vmcnt(2)
	v_lshlrev_b16 v5, 8, v5
	s_waitcnt vmcnt(1)
	s_delay_alu instid0(VALU_DEP_1) | instskip(SKIP_2) | instid1(VALU_DEP_3)
	v_or_b32_e32 v5, v6, v5
	v_cndmask_b32_e64 v6, v12, v8, s9
	v_cmp_eq_u32_e64 s9, 0, v13
	v_and_b32_e32 v8, 0xffff, v5
	s_delay_alu instid0(VALU_DEP_3) | instskip(SKIP_2) | instid1(VALU_DEP_3)
	v_lshlrev_b32_e32 v5, 2, v6
	v_add_nc_u32_e32 v6, -1, v4
	s_waitcnt vmcnt(0)
	v_lshl_or_b32 v7, v7, 16, v8
	s_branch .LBB205_2
.LBB205_1:                              ;   in Loop: Header=BB205_2 Depth=1
	s_or_b32 exec_lo, exec_lo, s14
	s_delay_alu instid0(VALU_DEP_1) | instskip(SKIP_1) | instid1(SALU_CYCLE_1)
	v_add_nc_u16 v9, v10, v9
	s_add_i32 s13, s13, -1
	s_cmp_lg_u32 s13, 0
	s_delay_alu instid0(VALU_DEP_1) | instskip(SKIP_3) | instid1(VALU_DEP_1)
	v_and_b32_e32 v9, 0xff, v9
	ds_bpermute_b32 v9, v5, v9
	s_waitcnt lgkmcnt(0)
	v_cndmask_b32_e64 v9, v9, v10, s1
	v_cndmask_b32_e64 v9, v9, s12, s2
	s_delay_alu instid0(VALU_DEP_1) | instskip(SKIP_1) | instid1(VALU_DEP_2)
	v_add_nc_u16 v10, v9, v7
	v_and_b32_e32 v7, 0xff, v9
	v_lshlrev_b16 v11, 8, v10
	v_add_nc_u16 v8, v10, v8
	s_delay_alu instid0(VALU_DEP_2) | instskip(NEXT) | instid1(VALU_DEP_2)
	v_or_b32_e32 v7, v7, v11
	v_and_b32_e32 v11, 0xff, v8
	s_delay_alu instid0(VALU_DEP_2) | instskip(NEXT) | instid1(VALU_DEP_2)
	v_and_b32_e32 v7, 0xffff, v7
	v_lshlrev_b32_e32 v11, 16, v11
	s_delay_alu instid0(VALU_DEP_1)
	v_or_b32_e32 v7, v7, v11
	s_cbranch_scc0 .LBB205_8
.LBB205_2:                              ; =>This Inner Loop Header: Depth=1
	s_delay_alu instid0(VALU_DEP_1) | instskip(SKIP_1) | instid1(VALU_DEP_2)
	v_lshrrev_b32_e32 v8, 8, v7
	v_lshrrev_b32_e32 v9, 16, v7
	v_add_nc_u16 v10, v8, v7
	s_delay_alu instid0(VALU_DEP_1) | instskip(NEXT) | instid1(VALU_DEP_1)
	v_add_nc_u16 v9, v10, v9
	v_and_b32_e32 v10, 0xff, v9
	s_delay_alu instid0(VALU_DEP_1) | instskip(NEXT) | instid1(VALU_DEP_1)
	v_mov_b32_dpp v10, v10 row_shr:1 row_mask:0xf bank_mask:0xf
	v_cndmask_b32_e64 v10, v10, 0, s3
	s_delay_alu instid0(VALU_DEP_1) | instskip(NEXT) | instid1(VALU_DEP_1)
	v_add_nc_u16 v9, v10, v9
	v_and_b32_e32 v10, 0xff, v9
	s_delay_alu instid0(VALU_DEP_1) | instskip(NEXT) | instid1(VALU_DEP_1)
	v_mov_b32_dpp v10, v10 row_shr:2 row_mask:0xf bank_mask:0xf
	v_cndmask_b32_e64 v10, 0, v10, s4
	;; [unrolled: 6-line block ×4, first 2 shown]
	s_delay_alu instid0(VALU_DEP_1) | instskip(NEXT) | instid1(VALU_DEP_1)
	v_add_nc_u16 v9, v9, v10
	v_and_b32_e32 v10, 0xff, v9
	ds_swizzle_b32 v10, v10 offset:swizzle(BROADCAST,32,15)
	s_waitcnt lgkmcnt(0)
	v_cndmask_b32_e64 v10, v10, 0, s7
	s_delay_alu instid0(VALU_DEP_1)
	v_add_nc_u16 v9, v9, v10
	s_and_saveexec_b32 s14, s8
	s_cbranch_execz .LBB205_4
; %bb.3:                                ;   in Loop: Header=BB205_2 Depth=1
	ds_store_b8 v4, v9
.LBB205_4:                              ;   in Loop: Header=BB205_2 Depth=1
	s_or_b32 exec_lo, exec_lo, s14
	s_waitcnt lgkmcnt(0)
	s_barrier
	buffer_gl0_inv
	s_and_saveexec_b32 s14, vcc_lo
	s_cbranch_execz .LBB205_6
; %bb.5:                                ;   in Loop: Header=BB205_2 Depth=1
	ds_load_u8 v10, v0
	s_waitcnt lgkmcnt(0)
	v_and_b32_e32 v11, 0xff, v10
	s_delay_alu instid0(VALU_DEP_1) | instskip(NEXT) | instid1(VALU_DEP_1)
	v_mov_b32_dpp v11, v11 row_shr:1 row_mask:0xf bank_mask:0xf
	v_cndmask_b32_e64 v11, v11, 0, s9
	s_delay_alu instid0(VALU_DEP_1) | instskip(NEXT) | instid1(VALU_DEP_1)
	v_add_nc_u16 v10, v11, v10
	v_and_b32_e32 v11, 0xff, v10
	s_delay_alu instid0(VALU_DEP_1) | instskip(NEXT) | instid1(VALU_DEP_1)
	v_mov_b32_dpp v11, v11 row_shr:2 row_mask:0xf bank_mask:0xf
	v_cndmask_b32_e64 v11, 0, v11, s10
	s_delay_alu instid0(VALU_DEP_1) | instskip(NEXT) | instid1(VALU_DEP_1)
	v_add_nc_u16 v10, v10, v11
	v_and_b32_e32 v11, 0xff, v10
	s_delay_alu instid0(VALU_DEP_1) | instskip(NEXT) | instid1(VALU_DEP_1)
	v_mov_b32_dpp v11, v11 row_shr:4 row_mask:0xf bank_mask:0xf
	v_cndmask_b32_e64 v11, 0, v11, s11
	s_delay_alu instid0(VALU_DEP_1)
	v_add_nc_u16 v10, v10, v11
	ds_store_b8 v0, v10
.LBB205_6:                              ;   in Loop: Header=BB205_2 Depth=1
	s_or_b32 exec_lo, exec_lo, s14
	v_mov_b32_e32 v10, s12
	s_waitcnt lgkmcnt(0)
	s_barrier
	buffer_gl0_inv
	s_and_saveexec_b32 s14, s0
	s_cbranch_execz .LBB205_1
; %bb.7:                                ;   in Loop: Header=BB205_2 Depth=1
	ds_load_u8 v10, v6
	s_waitcnt lgkmcnt(0)
	v_add_nc_u16 v10, v10, s12
	s_branch .LBB205_1
.LBB205_8:
	v_add_co_u32 v3, s0, s18, v3
	s_delay_alu instid0(VALU_DEP_1) | instskip(SKIP_1) | instid1(VALU_DEP_1)
	v_add_co_ci_u32_e64 v4, null, s19, 0, s0
	v_add_co_u32 v5, s0, s18, v2
	v_add_co_ci_u32_e64 v6, null, s19, 0, s0
	v_add_co_u32 v0, s0, s18, v1
	s_delay_alu instid0(VALU_DEP_1)
	v_add_co_ci_u32_e64 v1, null, s19, 0, s0
	s_clause 0x2
	global_store_b8 v[3:4], v9, off
	global_store_b8 v[5:6], v10, off
	;; [unrolled: 1-line block ×3, first 2 shown]
	s_nop 0
	s_sendmsg sendmsg(MSG_DEALLOC_VGPRS)
	s_endpgm
	.section	.rodata,"a",@progbits
	.p2align	6, 0x0
	.amdhsa_kernel _Z6kernelI14exclusive_scanILN6hipcub18BlockScanAlgorithmE0EEhLj256ELj3ELj100EEvPKT0_PS4_S4_
		.amdhsa_group_segment_fixed_size 8
		.amdhsa_private_segment_fixed_size 0
		.amdhsa_kernarg_size 280
		.amdhsa_user_sgpr_count 15
		.amdhsa_user_sgpr_dispatch_ptr 0
		.amdhsa_user_sgpr_queue_ptr 0
		.amdhsa_user_sgpr_kernarg_segment_ptr 1
		.amdhsa_user_sgpr_dispatch_id 0
		.amdhsa_user_sgpr_private_segment_size 0
		.amdhsa_wavefront_size32 1
		.amdhsa_uses_dynamic_stack 0
		.amdhsa_enable_private_segment 0
		.amdhsa_system_sgpr_workgroup_id_x 1
		.amdhsa_system_sgpr_workgroup_id_y 0
		.amdhsa_system_sgpr_workgroup_id_z 0
		.amdhsa_system_sgpr_workgroup_info 0
		.amdhsa_system_vgpr_workitem_id 0
		.amdhsa_next_free_vgpr 14
		.amdhsa_next_free_sgpr 20
		.amdhsa_reserve_vcc 1
		.amdhsa_float_round_mode_32 0
		.amdhsa_float_round_mode_16_64 0
		.amdhsa_float_denorm_mode_32 3
		.amdhsa_float_denorm_mode_16_64 3
		.amdhsa_dx10_clamp 1
		.amdhsa_ieee_mode 1
		.amdhsa_fp16_overflow 0
		.amdhsa_workgroup_processor_mode 1
		.amdhsa_memory_ordered 1
		.amdhsa_forward_progress 0
		.amdhsa_shared_vgpr_count 0
		.amdhsa_exception_fp_ieee_invalid_op 0
		.amdhsa_exception_fp_denorm_src 0
		.amdhsa_exception_fp_ieee_div_zero 0
		.amdhsa_exception_fp_ieee_overflow 0
		.amdhsa_exception_fp_ieee_underflow 0
		.amdhsa_exception_fp_ieee_inexact 0
		.amdhsa_exception_int_div_zero 0
	.end_amdhsa_kernel
	.section	.text._Z6kernelI14exclusive_scanILN6hipcub18BlockScanAlgorithmE0EEhLj256ELj3ELj100EEvPKT0_PS4_S4_,"axG",@progbits,_Z6kernelI14exclusive_scanILN6hipcub18BlockScanAlgorithmE0EEhLj256ELj3ELj100EEvPKT0_PS4_S4_,comdat
.Lfunc_end205:
	.size	_Z6kernelI14exclusive_scanILN6hipcub18BlockScanAlgorithmE0EEhLj256ELj3ELj100EEvPKT0_PS4_S4_, .Lfunc_end205-_Z6kernelI14exclusive_scanILN6hipcub18BlockScanAlgorithmE0EEhLj256ELj3ELj100EEvPKT0_PS4_S4_
                                        ; -- End function
	.section	.AMDGPU.csdata,"",@progbits
; Kernel info:
; codeLenInByte = 1020
; NumSgprs: 22
; NumVgprs: 14
; ScratchSize: 0
; MemoryBound: 0
; FloatMode: 240
; IeeeMode: 1
; LDSByteSize: 8 bytes/workgroup (compile time only)
; SGPRBlocks: 2
; VGPRBlocks: 1
; NumSGPRsForWavesPerEU: 22
; NumVGPRsForWavesPerEU: 14
; Occupancy: 16
; WaveLimiterHint : 0
; COMPUTE_PGM_RSRC2:SCRATCH_EN: 0
; COMPUTE_PGM_RSRC2:USER_SGPR: 15
; COMPUTE_PGM_RSRC2:TRAP_HANDLER: 0
; COMPUTE_PGM_RSRC2:TGID_X_EN: 1
; COMPUTE_PGM_RSRC2:TGID_Y_EN: 0
; COMPUTE_PGM_RSRC2:TGID_Z_EN: 0
; COMPUTE_PGM_RSRC2:TIDIG_COMP_CNT: 0
	.section	.text._Z6kernelI14exclusive_scanILN6hipcub18BlockScanAlgorithmE0EEhLj256ELj4ELj100EEvPKT0_PS4_S4_,"axG",@progbits,_Z6kernelI14exclusive_scanILN6hipcub18BlockScanAlgorithmE0EEhLj256ELj4ELj100EEvPKT0_PS4_S4_,comdat
	.protected	_Z6kernelI14exclusive_scanILN6hipcub18BlockScanAlgorithmE0EEhLj256ELj4ELj100EEvPKT0_PS4_S4_ ; -- Begin function _Z6kernelI14exclusive_scanILN6hipcub18BlockScanAlgorithmE0EEhLj256ELj4ELj100EEvPKT0_PS4_S4_
	.globl	_Z6kernelI14exclusive_scanILN6hipcub18BlockScanAlgorithmE0EEhLj256ELj4ELj100EEvPKT0_PS4_S4_
	.p2align	8
	.type	_Z6kernelI14exclusive_scanILN6hipcub18BlockScanAlgorithmE0EEhLj256ELj4ELj100EEvPKT0_PS4_S4_,@function
_Z6kernelI14exclusive_scanILN6hipcub18BlockScanAlgorithmE0EEhLj256ELj4ELj100EEvPKT0_PS4_S4_: ; @_Z6kernelI14exclusive_scanILN6hipcub18BlockScanAlgorithmE0EEhLj256ELj4ELj100EEvPKT0_PS4_S4_
; %bb.0:
	s_clause 0x1
	s_load_b32 s2, s[0:1], 0x24
	s_load_b128 s[16:19], s[0:1], 0x0
	v_mbcnt_lo_u32_b32 v5, -1, 0
	s_load_b32 s12, s[0:1], 0x10
	v_or_b32_e32 v7, 31, v0
	v_cmp_gt_u32_e64 s5, 8, v0
	v_cmp_lt_u32_e64 s6, 31, v0
	v_add_nc_u32_e32 v6, -1, v5
	v_and_b32_e32 v3, 15, v5
	v_and_b32_e32 v4, 16, v5
	v_cmp_eq_u32_e64 s7, 0, v5
	v_cmp_eq_u32_e64 s8, 0, v0
	v_cmp_gt_i32_e64 s4, 0, v6
	v_cmp_eq_u32_e32 vcc_lo, 0, v3
	v_cmp_lt_u32_e64 s0, 1, v3
	v_cmp_lt_u32_e64 s1, 3, v3
	v_cmp_eq_u32_e64 s3, 0, v4
	v_cndmask_b32_e64 v4, v6, v5, s4
	v_and_b32_e32 v6, 7, v5
	v_cmp_eq_u32_e64 s4, v7, v0
	s_waitcnt lgkmcnt(0)
	s_and_b32 s2, s2, 0xffff
	s_movk_i32 s13, 0x64
	s_mul_i32 s15, s15, s2
	v_cmp_lt_u32_e64 s2, 7, v3
	v_add_lshl_u32 v1, s15, v0, 2
	v_lshrrev_b32_e32 v3, 5, v0
	v_lshlrev_b32_e32 v4, 2, v4
	v_cmp_eq_u32_e64 s9, 0, v6
	v_cmp_lt_u32_e64 s10, 1, v6
	global_load_b32 v2, v1, s[16:17]
	v_cmp_lt_u32_e64 s11, 3, v6
	v_add_nc_u32_e32 v5, -1, v3
	s_branch .LBB206_2
.LBB206_1:                              ;   in Loop: Header=BB206_2 Depth=1
	s_or_b32 exec_lo, exec_lo, s14
	s_delay_alu instid0(VALU_DEP_1) | instskip(SKIP_1) | instid1(SALU_CYCLE_1)
	v_add_nc_u16 v8, v9, v8
	s_add_i32 s13, s13, -1
	s_cmp_lg_u32 s13, 0
	s_delay_alu instid0(VALU_DEP_1) | instskip(SKIP_3) | instid1(VALU_DEP_1)
	v_and_b32_e32 v8, 0xff, v8
	ds_bpermute_b32 v8, v4, v8
	s_waitcnt lgkmcnt(0)
	v_cndmask_b32_e64 v8, v8, v9, s7
	v_cndmask_b32_e64 v8, v8, s12, s8
	s_delay_alu instid0(VALU_DEP_1) | instskip(SKIP_1) | instid1(VALU_DEP_2)
	v_add_nc_u16 v2, v8, v2
	v_and_b32_e32 v8, 0xff, v8
	v_add_nc_u16 v7, v2, v7
	v_lshlrev_b16 v2, 8, v2
	s_delay_alu instid0(VALU_DEP_2) | instskip(SKIP_1) | instid1(VALU_DEP_3)
	v_add_nc_u16 v6, v7, v6
	v_and_b32_e32 v7, 0xff, v7
	v_or_b32_e32 v2, v8, v2
	s_delay_alu instid0(VALU_DEP_3) | instskip(NEXT) | instid1(VALU_DEP_1)
	v_lshlrev_b16 v6, 8, v6
	v_or_b32_e32 v7, v7, v6
	s_delay_alu instid0(VALU_DEP_3) | instskip(NEXT) | instid1(VALU_DEP_2)
	v_and_b32_e32 v6, 0xffff, v2
	v_lshlrev_b32_e32 v7, 16, v7
	s_delay_alu instid0(VALU_DEP_1)
	v_or_b32_e32 v2, v6, v7
	s_cbranch_scc0 .LBB206_8
.LBB206_2:                              ; =>This Inner Loop Header: Depth=1
	s_waitcnt vmcnt(0)
	s_delay_alu instid0(VALU_DEP_1) | instskip(SKIP_2) | instid1(VALU_DEP_3)
	v_lshrrev_b32_e32 v7, 8, v2
	v_lshrrev_b32_e32 v6, 16, v2
	;; [unrolled: 1-line block ×3, first 2 shown]
	v_add_nc_u16 v8, v7, v2
	s_delay_alu instid0(VALU_DEP_1) | instskip(NEXT) | instid1(VALU_DEP_1)
	v_add_nc_u16 v8, v8, v6
	v_add_nc_u16 v8, v8, v9
	s_delay_alu instid0(VALU_DEP_1) | instskip(NEXT) | instid1(VALU_DEP_1)
	v_and_b32_e32 v9, 0xff, v8
	v_mov_b32_dpp v9, v9 row_shr:1 row_mask:0xf bank_mask:0xf
	s_delay_alu instid0(VALU_DEP_1) | instskip(NEXT) | instid1(VALU_DEP_1)
	v_cndmask_b32_e64 v9, v9, 0, vcc_lo
	v_add_nc_u16 v8, v8, v9
	s_delay_alu instid0(VALU_DEP_1) | instskip(NEXT) | instid1(VALU_DEP_1)
	v_and_b32_e32 v9, 0xff, v8
	v_mov_b32_dpp v9, v9 row_shr:2 row_mask:0xf bank_mask:0xf
	s_delay_alu instid0(VALU_DEP_1) | instskip(NEXT) | instid1(VALU_DEP_1)
	v_cndmask_b32_e64 v9, 0, v9, s0
	v_add_nc_u16 v8, v8, v9
	s_delay_alu instid0(VALU_DEP_1) | instskip(NEXT) | instid1(VALU_DEP_1)
	v_and_b32_e32 v9, 0xff, v8
	v_mov_b32_dpp v9, v9 row_shr:4 row_mask:0xf bank_mask:0xf
	s_delay_alu instid0(VALU_DEP_1) | instskip(NEXT) | instid1(VALU_DEP_1)
	v_cndmask_b32_e64 v9, 0, v9, s1
	;; [unrolled: 6-line block ×3, first 2 shown]
	v_add_nc_u16 v8, v8, v9
	s_delay_alu instid0(VALU_DEP_1) | instskip(SKIP_3) | instid1(VALU_DEP_1)
	v_and_b32_e32 v9, 0xff, v8
	ds_swizzle_b32 v9, v9 offset:swizzle(BROADCAST,32,15)
	s_waitcnt lgkmcnt(0)
	v_cndmask_b32_e64 v9, v9, 0, s3
	v_add_nc_u16 v8, v8, v9
	s_and_saveexec_b32 s14, s4
	s_cbranch_execz .LBB206_4
; %bb.3:                                ;   in Loop: Header=BB206_2 Depth=1
	ds_store_b8 v3, v8
.LBB206_4:                              ;   in Loop: Header=BB206_2 Depth=1
	s_or_b32 exec_lo, exec_lo, s14
	s_waitcnt lgkmcnt(0)
	s_barrier
	buffer_gl0_inv
	s_and_saveexec_b32 s14, s5
	s_cbranch_execz .LBB206_6
; %bb.5:                                ;   in Loop: Header=BB206_2 Depth=1
	ds_load_u8 v9, v0
	s_waitcnt lgkmcnt(0)
	v_and_b32_e32 v10, 0xff, v9
	s_delay_alu instid0(VALU_DEP_1) | instskip(NEXT) | instid1(VALU_DEP_1)
	v_mov_b32_dpp v10, v10 row_shr:1 row_mask:0xf bank_mask:0xf
	v_cndmask_b32_e64 v10, v10, 0, s9
	s_delay_alu instid0(VALU_DEP_1) | instskip(NEXT) | instid1(VALU_DEP_1)
	v_add_nc_u16 v9, v10, v9
	v_and_b32_e32 v10, 0xff, v9
	s_delay_alu instid0(VALU_DEP_1) | instskip(NEXT) | instid1(VALU_DEP_1)
	v_mov_b32_dpp v10, v10 row_shr:2 row_mask:0xf bank_mask:0xf
	v_cndmask_b32_e64 v10, 0, v10, s10
	s_delay_alu instid0(VALU_DEP_1) | instskip(NEXT) | instid1(VALU_DEP_1)
	v_add_nc_u16 v9, v9, v10
	v_and_b32_e32 v10, 0xff, v9
	s_delay_alu instid0(VALU_DEP_1) | instskip(NEXT) | instid1(VALU_DEP_1)
	v_mov_b32_dpp v10, v10 row_shr:4 row_mask:0xf bank_mask:0xf
	v_cndmask_b32_e64 v10, 0, v10, s11
	s_delay_alu instid0(VALU_DEP_1)
	v_add_nc_u16 v9, v9, v10
	ds_store_b8 v0, v9
.LBB206_6:                              ;   in Loop: Header=BB206_2 Depth=1
	s_or_b32 exec_lo, exec_lo, s14
	v_mov_b32_e32 v9, s12
	s_waitcnt lgkmcnt(0)
	s_barrier
	buffer_gl0_inv
	s_and_saveexec_b32 s14, s6
	s_cbranch_execz .LBB206_1
; %bb.7:                                ;   in Loop: Header=BB206_2 Depth=1
	ds_load_u8 v9, v5
	s_waitcnt lgkmcnt(0)
	v_add_nc_u16 v9, v9, s12
	s_branch .LBB206_1
.LBB206_8:
	v_add_co_u32 v0, s0, s18, v1
	s_delay_alu instid0(VALU_DEP_1)
	v_add_co_ci_u32_e64 v1, null, s19, 0, s0
	v_or_b32_e32 v2, v6, v7
	global_store_b32 v[0:1], v2, off
	s_nop 0
	s_sendmsg sendmsg(MSG_DEALLOC_VGPRS)
	s_endpgm
	.section	.rodata,"a",@progbits
	.p2align	6, 0x0
	.amdhsa_kernel _Z6kernelI14exclusive_scanILN6hipcub18BlockScanAlgorithmE0EEhLj256ELj4ELj100EEvPKT0_PS4_S4_
		.amdhsa_group_segment_fixed_size 8
		.amdhsa_private_segment_fixed_size 0
		.amdhsa_kernarg_size 280
		.amdhsa_user_sgpr_count 15
		.amdhsa_user_sgpr_dispatch_ptr 0
		.amdhsa_user_sgpr_queue_ptr 0
		.amdhsa_user_sgpr_kernarg_segment_ptr 1
		.amdhsa_user_sgpr_dispatch_id 0
		.amdhsa_user_sgpr_private_segment_size 0
		.amdhsa_wavefront_size32 1
		.amdhsa_uses_dynamic_stack 0
		.amdhsa_enable_private_segment 0
		.amdhsa_system_sgpr_workgroup_id_x 1
		.amdhsa_system_sgpr_workgroup_id_y 0
		.amdhsa_system_sgpr_workgroup_id_z 0
		.amdhsa_system_sgpr_workgroup_info 0
		.amdhsa_system_vgpr_workitem_id 0
		.amdhsa_next_free_vgpr 11
		.amdhsa_next_free_sgpr 20
		.amdhsa_reserve_vcc 1
		.amdhsa_float_round_mode_32 0
		.amdhsa_float_round_mode_16_64 0
		.amdhsa_float_denorm_mode_32 3
		.amdhsa_float_denorm_mode_16_64 3
		.amdhsa_dx10_clamp 1
		.amdhsa_ieee_mode 1
		.amdhsa_fp16_overflow 0
		.amdhsa_workgroup_processor_mode 1
		.amdhsa_memory_ordered 1
		.amdhsa_forward_progress 0
		.amdhsa_shared_vgpr_count 0
		.amdhsa_exception_fp_ieee_invalid_op 0
		.amdhsa_exception_fp_denorm_src 0
		.amdhsa_exception_fp_ieee_div_zero 0
		.amdhsa_exception_fp_ieee_overflow 0
		.amdhsa_exception_fp_ieee_underflow 0
		.amdhsa_exception_fp_ieee_inexact 0
		.amdhsa_exception_int_div_zero 0
	.end_amdhsa_kernel
	.section	.text._Z6kernelI14exclusive_scanILN6hipcub18BlockScanAlgorithmE0EEhLj256ELj4ELj100EEvPKT0_PS4_S4_,"axG",@progbits,_Z6kernelI14exclusive_scanILN6hipcub18BlockScanAlgorithmE0EEhLj256ELj4ELj100EEvPKT0_PS4_S4_,comdat
.Lfunc_end206:
	.size	_Z6kernelI14exclusive_scanILN6hipcub18BlockScanAlgorithmE0EEhLj256ELj4ELj100EEvPKT0_PS4_S4_, .Lfunc_end206-_Z6kernelI14exclusive_scanILN6hipcub18BlockScanAlgorithmE0EEhLj256ELj4ELj100EEvPKT0_PS4_S4_
                                        ; -- End function
	.section	.AMDGPU.csdata,"",@progbits
; Kernel info:
; codeLenInByte = 924
; NumSgprs: 22
; NumVgprs: 11
; ScratchSize: 0
; MemoryBound: 0
; FloatMode: 240
; IeeeMode: 1
; LDSByteSize: 8 bytes/workgroup (compile time only)
; SGPRBlocks: 2
; VGPRBlocks: 1
; NumSGPRsForWavesPerEU: 22
; NumVGPRsForWavesPerEU: 11
; Occupancy: 16
; WaveLimiterHint : 0
; COMPUTE_PGM_RSRC2:SCRATCH_EN: 0
; COMPUTE_PGM_RSRC2:USER_SGPR: 15
; COMPUTE_PGM_RSRC2:TRAP_HANDLER: 0
; COMPUTE_PGM_RSRC2:TGID_X_EN: 1
; COMPUTE_PGM_RSRC2:TGID_Y_EN: 0
; COMPUTE_PGM_RSRC2:TGID_Z_EN: 0
; COMPUTE_PGM_RSRC2:TIDIG_COMP_CNT: 0
	.section	.text._Z6kernelI14exclusive_scanILN6hipcub18BlockScanAlgorithmE0EEhLj256ELj8ELj100EEvPKT0_PS4_S4_,"axG",@progbits,_Z6kernelI14exclusive_scanILN6hipcub18BlockScanAlgorithmE0EEhLj256ELj8ELj100EEvPKT0_PS4_S4_,comdat
	.protected	_Z6kernelI14exclusive_scanILN6hipcub18BlockScanAlgorithmE0EEhLj256ELj8ELj100EEvPKT0_PS4_S4_ ; -- Begin function _Z6kernelI14exclusive_scanILN6hipcub18BlockScanAlgorithmE0EEhLj256ELj8ELj100EEvPKT0_PS4_S4_
	.globl	_Z6kernelI14exclusive_scanILN6hipcub18BlockScanAlgorithmE0EEhLj256ELj8ELj100EEvPKT0_PS4_S4_
	.p2align	8
	.type	_Z6kernelI14exclusive_scanILN6hipcub18BlockScanAlgorithmE0EEhLj256ELj8ELj100EEvPKT0_PS4_S4_,@function
_Z6kernelI14exclusive_scanILN6hipcub18BlockScanAlgorithmE0EEhLj256ELj8ELj100EEvPKT0_PS4_S4_: ; @_Z6kernelI14exclusive_scanILN6hipcub18BlockScanAlgorithmE0EEhLj256ELj8ELj100EEvPKT0_PS4_S4_
; %bb.0:
	s_clause 0x1
	s_load_b32 s2, s[0:1], 0x24
	s_load_b128 s[16:19], s[0:1], 0x0
	v_mbcnt_lo_u32_b32 v6, -1, 0
	s_load_b32 s12, s[0:1], 0x10
	v_or_b32_e32 v8, 31, v0
	v_cmp_gt_u32_e64 s5, 8, v0
	v_cmp_lt_u32_e64 s6, 31, v0
	v_add_nc_u32_e32 v7, -1, v6
	v_and_b32_e32 v4, 15, v6
	v_and_b32_e32 v5, 16, v6
	v_cmp_eq_u32_e64 s7, 0, v6
	v_cmp_eq_u32_e64 s8, 0, v0
	v_cmp_gt_i32_e64 s4, 0, v7
	v_cmp_eq_u32_e32 vcc_lo, 0, v4
	v_cmp_lt_u32_e64 s0, 1, v4
	v_cmp_lt_u32_e64 s1, 3, v4
	v_cmp_eq_u32_e64 s3, 0, v5
	v_cndmask_b32_e64 v5, v7, v6, s4
	v_and_b32_e32 v7, 7, v6
	v_cmp_eq_u32_e64 s4, v8, v0
	s_waitcnt lgkmcnt(0)
	s_and_b32 s2, s2, 0xffff
	s_movk_i32 s13, 0x64
	s_mul_i32 s15, s15, s2
	v_cmp_lt_u32_e64 s2, 7, v4
	v_add_lshl_u32 v3, s15, v0, 3
	v_lshrrev_b32_e32 v4, 5, v0
	v_lshlrev_b32_e32 v5, 2, v5
	v_cmp_eq_u32_e64 s9, 0, v7
	v_cmp_lt_u32_e64 s10, 1, v7
	global_load_b64 v[1:2], v3, s[16:17]
	v_cmp_lt_u32_e64 s11, 3, v7
	v_add_nc_u32_e32 v6, -1, v4
	s_branch .LBB207_2
.LBB207_1:                              ;   in Loop: Header=BB207_2 Depth=1
	s_or_b32 exec_lo, exec_lo, s14
	s_delay_alu instid0(VALU_DEP_1) | instskip(SKIP_1) | instid1(SALU_CYCLE_1)
	v_add_nc_u16 v12, v13, v12
	s_add_i32 s13, s13, -1
	s_cmp_lg_u32 s13, 0
	s_delay_alu instid0(VALU_DEP_1) | instskip(SKIP_3) | instid1(VALU_DEP_1)
	v_and_b32_e32 v12, 0xff, v12
	ds_bpermute_b32 v12, v5, v12
	s_waitcnt lgkmcnt(0)
	v_cndmask_b32_e64 v12, v12, v13, s7
	v_cndmask_b32_e64 v12, v12, s12, s8
	s_delay_alu instid0(VALU_DEP_1) | instskip(SKIP_1) | instid1(VALU_DEP_2)
	v_add_nc_u16 v1, v12, v1
	v_and_b32_e32 v12, 0xff, v12
	v_add_nc_u16 v8, v1, v8
	v_lshlrev_b16 v1, 8, v1
	s_delay_alu instid0(VALU_DEP_2) | instskip(SKIP_1) | instid1(VALU_DEP_3)
	v_add_nc_u16 v9, v8, v9
	v_and_b32_e32 v8, 0xff, v8
	v_or_b32_e32 v1, v12, v1
	s_delay_alu instid0(VALU_DEP_3) | instskip(SKIP_1) | instid1(VALU_DEP_2)
	v_add_nc_u16 v10, v9, v10
	v_lshlrev_b16 v9, 8, v9
	v_add_nc_u16 v2, v10, v2
	v_and_b32_e32 v10, 0xff, v10
	s_delay_alu instid0(VALU_DEP_3) | instskip(NEXT) | instid1(VALU_DEP_3)
	v_or_b32_e32 v8, v8, v9
	v_add_nc_u16 v11, v2, v11
	v_lshlrev_b16 v2, 8, v2
	s_delay_alu instid0(VALU_DEP_3) | instskip(NEXT) | instid1(VALU_DEP_3)
	v_lshlrev_b32_e32 v8, 16, v8
	v_add_nc_u16 v7, v11, v7
	v_and_b32_e32 v11, 0xff, v11
	s_delay_alu instid0(VALU_DEP_4) | instskip(NEXT) | instid1(VALU_DEP_3)
	v_or_b32_e32 v2, v10, v2
	v_lshlrev_b16 v7, 8, v7
	s_delay_alu instid0(VALU_DEP_2) | instskip(NEXT) | instid1(VALU_DEP_2)
	v_and_b32_e32 v9, 0xffff, v2
	v_or_b32_e32 v10, v11, v7
	v_and_b32_e32 v7, 0xffff, v1
	s_delay_alu instid0(VALU_DEP_2) | instskip(NEXT) | instid1(VALU_DEP_2)
	v_lshlrev_b32_e32 v10, 16, v10
	v_or_b32_e32 v1, v7, v8
	s_delay_alu instid0(VALU_DEP_2)
	v_or_b32_e32 v2, v9, v10
	s_cbranch_scc0 .LBB207_8
.LBB207_2:                              ; =>This Inner Loop Header: Depth=1
	s_waitcnt vmcnt(0)
	s_delay_alu instid0(VALU_DEP_2)
	v_lshrrev_b32_e32 v8, 8, v1
	v_lshrrev_b32_e32 v9, 16, v1
	;; [unrolled: 1-line block ×5, first 2 shown]
	v_add_nc_u16 v7, v8, v1
	s_delay_alu instid0(VALU_DEP_1) | instskip(NEXT) | instid1(VALU_DEP_1)
	v_add_nc_u16 v7, v7, v9
	v_add_nc_u16 v7, v7, v10
	s_delay_alu instid0(VALU_DEP_1) | instskip(SKIP_1) | instid1(VALU_DEP_2)
	v_add_nc_u16 v12, v7, v2
	v_lshrrev_b32_e32 v7, 16, v2
	v_add_nc_u16 v12, v12, v11
	s_delay_alu instid0(VALU_DEP_1) | instskip(NEXT) | instid1(VALU_DEP_1)
	v_add_nc_u16 v12, v12, v7
	v_add_nc_u16 v12, v12, v13
	s_delay_alu instid0(VALU_DEP_1) | instskip(NEXT) | instid1(VALU_DEP_1)
	v_and_b32_e32 v13, 0xff, v12
	v_mov_b32_dpp v13, v13 row_shr:1 row_mask:0xf bank_mask:0xf
	s_delay_alu instid0(VALU_DEP_1) | instskip(NEXT) | instid1(VALU_DEP_1)
	v_cndmask_b32_e64 v13, v13, 0, vcc_lo
	v_add_nc_u16 v12, v12, v13
	s_delay_alu instid0(VALU_DEP_1) | instskip(NEXT) | instid1(VALU_DEP_1)
	v_and_b32_e32 v13, 0xff, v12
	v_mov_b32_dpp v13, v13 row_shr:2 row_mask:0xf bank_mask:0xf
	s_delay_alu instid0(VALU_DEP_1) | instskip(NEXT) | instid1(VALU_DEP_1)
	v_cndmask_b32_e64 v13, 0, v13, s0
	v_add_nc_u16 v12, v12, v13
	s_delay_alu instid0(VALU_DEP_1) | instskip(NEXT) | instid1(VALU_DEP_1)
	v_and_b32_e32 v13, 0xff, v12
	v_mov_b32_dpp v13, v13 row_shr:4 row_mask:0xf bank_mask:0xf
	s_delay_alu instid0(VALU_DEP_1) | instskip(NEXT) | instid1(VALU_DEP_1)
	v_cndmask_b32_e64 v13, 0, v13, s1
	;; [unrolled: 6-line block ×3, first 2 shown]
	v_add_nc_u16 v12, v12, v13
	s_delay_alu instid0(VALU_DEP_1) | instskip(SKIP_3) | instid1(VALU_DEP_1)
	v_and_b32_e32 v13, 0xff, v12
	ds_swizzle_b32 v13, v13 offset:swizzle(BROADCAST,32,15)
	s_waitcnt lgkmcnt(0)
	v_cndmask_b32_e64 v13, v13, 0, s3
	v_add_nc_u16 v12, v12, v13
	s_and_saveexec_b32 s14, s4
	s_cbranch_execz .LBB207_4
; %bb.3:                                ;   in Loop: Header=BB207_2 Depth=1
	ds_store_b8 v4, v12
.LBB207_4:                              ;   in Loop: Header=BB207_2 Depth=1
	s_or_b32 exec_lo, exec_lo, s14
	s_waitcnt lgkmcnt(0)
	s_barrier
	buffer_gl0_inv
	s_and_saveexec_b32 s14, s5
	s_cbranch_execz .LBB207_6
; %bb.5:                                ;   in Loop: Header=BB207_2 Depth=1
	ds_load_u8 v13, v0
	s_waitcnt lgkmcnt(0)
	v_and_b32_e32 v14, 0xff, v13
	s_delay_alu instid0(VALU_DEP_1) | instskip(NEXT) | instid1(VALU_DEP_1)
	v_mov_b32_dpp v14, v14 row_shr:1 row_mask:0xf bank_mask:0xf
	v_cndmask_b32_e64 v14, v14, 0, s9
	s_delay_alu instid0(VALU_DEP_1) | instskip(NEXT) | instid1(VALU_DEP_1)
	v_add_nc_u16 v13, v14, v13
	v_and_b32_e32 v14, 0xff, v13
	s_delay_alu instid0(VALU_DEP_1) | instskip(NEXT) | instid1(VALU_DEP_1)
	v_mov_b32_dpp v14, v14 row_shr:2 row_mask:0xf bank_mask:0xf
	v_cndmask_b32_e64 v14, 0, v14, s10
	s_delay_alu instid0(VALU_DEP_1) | instskip(NEXT) | instid1(VALU_DEP_1)
	v_add_nc_u16 v13, v13, v14
	v_and_b32_e32 v14, 0xff, v13
	s_delay_alu instid0(VALU_DEP_1) | instskip(NEXT) | instid1(VALU_DEP_1)
	v_mov_b32_dpp v14, v14 row_shr:4 row_mask:0xf bank_mask:0xf
	v_cndmask_b32_e64 v14, 0, v14, s11
	s_delay_alu instid0(VALU_DEP_1)
	v_add_nc_u16 v13, v13, v14
	ds_store_b8 v0, v13
.LBB207_6:                              ;   in Loop: Header=BB207_2 Depth=1
	s_or_b32 exec_lo, exec_lo, s14
	v_mov_b32_e32 v13, s12
	s_waitcnt lgkmcnt(0)
	s_barrier
	buffer_gl0_inv
	s_and_saveexec_b32 s14, s6
	s_cbranch_execz .LBB207_1
; %bb.7:                                ;   in Loop: Header=BB207_2 Depth=1
	ds_load_u8 v13, v6
	s_waitcnt lgkmcnt(0)
	v_add_nc_u16 v13, v13, s12
	s_branch .LBB207_1
.LBB207_8:
	v_add_co_u32 v0, s0, s18, v3
	s_delay_alu instid0(VALU_DEP_1)
	v_add_co_ci_u32_e64 v1, null, s19, 0, s0
	v_or_b32_e32 v3, v9, v10
	v_or_b32_e32 v2, v7, v8
	global_store_b64 v[0:1], v[2:3], off
	s_nop 0
	s_sendmsg sendmsg(MSG_DEALLOC_VGPRS)
	s_endpgm
	.section	.rodata,"a",@progbits
	.p2align	6, 0x0
	.amdhsa_kernel _Z6kernelI14exclusive_scanILN6hipcub18BlockScanAlgorithmE0EEhLj256ELj8ELj100EEvPKT0_PS4_S4_
		.amdhsa_group_segment_fixed_size 8
		.amdhsa_private_segment_fixed_size 0
		.amdhsa_kernarg_size 280
		.amdhsa_user_sgpr_count 15
		.amdhsa_user_sgpr_dispatch_ptr 0
		.amdhsa_user_sgpr_queue_ptr 0
		.amdhsa_user_sgpr_kernarg_segment_ptr 1
		.amdhsa_user_sgpr_dispatch_id 0
		.amdhsa_user_sgpr_private_segment_size 0
		.amdhsa_wavefront_size32 1
		.amdhsa_uses_dynamic_stack 0
		.amdhsa_enable_private_segment 0
		.amdhsa_system_sgpr_workgroup_id_x 1
		.amdhsa_system_sgpr_workgroup_id_y 0
		.amdhsa_system_sgpr_workgroup_id_z 0
		.amdhsa_system_sgpr_workgroup_info 0
		.amdhsa_system_vgpr_workitem_id 0
		.amdhsa_next_free_vgpr 15
		.amdhsa_next_free_sgpr 20
		.amdhsa_reserve_vcc 1
		.amdhsa_float_round_mode_32 0
		.amdhsa_float_round_mode_16_64 0
		.amdhsa_float_denorm_mode_32 3
		.amdhsa_float_denorm_mode_16_64 3
		.amdhsa_dx10_clamp 1
		.amdhsa_ieee_mode 1
		.amdhsa_fp16_overflow 0
		.amdhsa_workgroup_processor_mode 1
		.amdhsa_memory_ordered 1
		.amdhsa_forward_progress 0
		.amdhsa_shared_vgpr_count 0
		.amdhsa_exception_fp_ieee_invalid_op 0
		.amdhsa_exception_fp_denorm_src 0
		.amdhsa_exception_fp_ieee_div_zero 0
		.amdhsa_exception_fp_ieee_overflow 0
		.amdhsa_exception_fp_ieee_underflow 0
		.amdhsa_exception_fp_ieee_inexact 0
		.amdhsa_exception_int_div_zero 0
	.end_amdhsa_kernel
	.section	.text._Z6kernelI14exclusive_scanILN6hipcub18BlockScanAlgorithmE0EEhLj256ELj8ELj100EEvPKT0_PS4_S4_,"axG",@progbits,_Z6kernelI14exclusive_scanILN6hipcub18BlockScanAlgorithmE0EEhLj256ELj8ELj100EEvPKT0_PS4_S4_,comdat
.Lfunc_end207:
	.size	_Z6kernelI14exclusive_scanILN6hipcub18BlockScanAlgorithmE0EEhLj256ELj8ELj100EEvPKT0_PS4_S4_, .Lfunc_end207-_Z6kernelI14exclusive_scanILN6hipcub18BlockScanAlgorithmE0EEhLj256ELj8ELj100EEvPKT0_PS4_S4_
                                        ; -- End function
	.section	.AMDGPU.csdata,"",@progbits
; Kernel info:
; codeLenInByte = 1084
; NumSgprs: 22
; NumVgprs: 15
; ScratchSize: 0
; MemoryBound: 0
; FloatMode: 240
; IeeeMode: 1
; LDSByteSize: 8 bytes/workgroup (compile time only)
; SGPRBlocks: 2
; VGPRBlocks: 1
; NumSGPRsForWavesPerEU: 22
; NumVGPRsForWavesPerEU: 15
; Occupancy: 16
; WaveLimiterHint : 0
; COMPUTE_PGM_RSRC2:SCRATCH_EN: 0
; COMPUTE_PGM_RSRC2:USER_SGPR: 15
; COMPUTE_PGM_RSRC2:TRAP_HANDLER: 0
; COMPUTE_PGM_RSRC2:TGID_X_EN: 1
; COMPUTE_PGM_RSRC2:TGID_Y_EN: 0
; COMPUTE_PGM_RSRC2:TGID_Z_EN: 0
; COMPUTE_PGM_RSRC2:TIDIG_COMP_CNT: 0
	.section	.text._Z6kernelI14exclusive_scanILN6hipcub18BlockScanAlgorithmE0EEhLj256ELj11ELj100EEvPKT0_PS4_S4_,"axG",@progbits,_Z6kernelI14exclusive_scanILN6hipcub18BlockScanAlgorithmE0EEhLj256ELj11ELj100EEvPKT0_PS4_S4_,comdat
	.protected	_Z6kernelI14exclusive_scanILN6hipcub18BlockScanAlgorithmE0EEhLj256ELj11ELj100EEvPKT0_PS4_S4_ ; -- Begin function _Z6kernelI14exclusive_scanILN6hipcub18BlockScanAlgorithmE0EEhLj256ELj11ELj100EEvPKT0_PS4_S4_
	.globl	_Z6kernelI14exclusive_scanILN6hipcub18BlockScanAlgorithmE0EEhLj256ELj11ELj100EEvPKT0_PS4_S4_
	.p2align	8
	.type	_Z6kernelI14exclusive_scanILN6hipcub18BlockScanAlgorithmE0EEhLj256ELj11ELj100EEvPKT0_PS4_S4_,@function
_Z6kernelI14exclusive_scanILN6hipcub18BlockScanAlgorithmE0EEhLj256ELj11ELj100EEvPKT0_PS4_S4_: ; @_Z6kernelI14exclusive_scanILN6hipcub18BlockScanAlgorithmE0EEhLj256ELj11ELj100EEvPKT0_PS4_S4_
; %bb.0:
	s_load_b32 s2, s[0:1], 0x24
	v_mbcnt_lo_u32_b32 v24, -1, 0
	v_lshrrev_b32_e32 v13, 5, v0
	v_or_b32_e32 v27, 31, v0
	v_cmp_gt_u32_e32 vcc_lo, 8, v0
	s_load_b32 s16, s[0:1], 0x10
	v_add_nc_u32_e32 v28, -1, v24
	v_and_b32_e32 v25, 15, v24
	v_and_b32_e32 v26, 16, v24
	;; [unrolled: 1-line block ×3, first 2 shown]
	v_cmp_eq_u32_e64 s8, v27, v0
	v_cmp_gt_i32_e64 s9, 0, v28
	v_cmp_eq_u32_e64 s3, 0, v25
	v_cmp_lt_u32_e64 s4, 1, v25
	v_cmp_lt_u32_e64 s5, 3, v25
	;; [unrolled: 1-line block ×3, first 2 shown]
	v_cmp_eq_u32_e64 s7, 0, v26
	v_cmp_lt_u32_e64 s10, 1, v29
	v_cmp_lt_u32_e64 s11, 3, v29
	s_waitcnt lgkmcnt(0)
	s_and_b32 s2, s2, 0xffff
	s_delay_alu instid0(SALU_CYCLE_1)
	v_mad_u64_u32 v[1:2], null, s15, s2, v[0:1]
	s_load_b128 s[12:15], s[0:1], 0x0
	v_cmp_eq_u32_e64 s1, 0, v24
	v_cndmask_b32_e64 v24, v28, v24, s9
	v_cmp_lt_u32_e64 s0, 31, v0
	v_cmp_eq_u32_e64 s2, 0, v0
	v_cmp_eq_u32_e64 s9, 0, v29
	v_mul_lo_u32 v10, v1, 11
	s_delay_alu instid0(VALU_DEP_1)
	v_add_nc_u32_e32 v9, 1, v10
	v_add_nc_u32_e32 v8, 3, v10
	;; [unrolled: 1-line block ×7, first 2 shown]
	s_waitcnt lgkmcnt(0)
	s_clause 0x7
	global_load_u8 v16, v9, s[12:13]
	global_load_u8 v17, v8, s[12:13]
	;; [unrolled: 1-line block ×8, first 2 shown]
	v_add_nc_u32_e32 v6, 8, v10
	v_add_nc_u32_e32 v4, 9, v10
	;; [unrolled: 1-line block ×3, first 2 shown]
	s_clause 0x2
	global_load_u8 v14, v6, s[12:13]
	global_load_u8 v12, v4, s[12:13]
	global_load_u8 v15, v2, s[12:13]
	s_movk_i32 s12, 0x64
	s_waitcnt vmcnt(10)
	v_lshlrev_b16 v16, 8, v16
	s_waitcnt vmcnt(9)
	v_lshlrev_b16 v17, 8, v17
	;; [unrolled: 2-line block ×4, first 2 shown]
	s_waitcnt vmcnt(6)
	v_or_b32_e32 v16, v20, v16
	s_waitcnt vmcnt(5)
	v_or_b32_e32 v17, v21, v17
	;; [unrolled: 2-line block ×4, first 2 shown]
	v_and_b32_e32 v20, 0xffff, v16
	v_lshlrev_b32_e32 v21, 16, v17
	v_and_b32_e32 v18, 0xffff, v18
	s_delay_alu instid0(VALU_DEP_4) | instskip(SKIP_3) | instid1(VALU_DEP_4)
	v_lshlrev_b32_e32 v22, 16, v19
	v_add_nc_u32_e32 v16, -1, v13
	v_lshlrev_b32_e32 v17, 2, v24
	v_or_b32_e32 v19, v20, v21
	v_or_b32_e32 v18, v18, v22
.LBB208_1:                              ; =>This Inner Loop Header: Depth=1
	s_delay_alu instid0(VALU_DEP_2) | instskip(SKIP_2) | instid1(VALU_DEP_4)
	v_lshrrev_b32_e32 v23, 8, v19
	v_lshrrev_b32_e32 v22, 16, v19
	;; [unrolled: 1-line block ×5, first 2 shown]
	v_add_nc_u16 v20, v23, v19
	s_delay_alu instid0(VALU_DEP_1) | instskip(NEXT) | instid1(VALU_DEP_1)
	v_add_nc_u16 v20, v20, v22
	v_add_nc_u16 v20, v20, v26
	s_delay_alu instid0(VALU_DEP_1) | instskip(NEXT) | instid1(VALU_DEP_1)
	v_add_nc_u16 v20, v20, v18
	v_add_nc_u16 v20, v20, v28
	s_delay_alu instid0(VALU_DEP_1) | instskip(SKIP_1) | instid1(VALU_DEP_1)
	v_add_nc_u16 v24, v20, v21
	v_lshrrev_b32_e32 v20, 24, v18
	v_add_nc_u16 v24, v24, v20
	s_waitcnt vmcnt(2)
	s_delay_alu instid0(VALU_DEP_1) | instskip(SKIP_1) | instid1(VALU_DEP_1)
	v_add_nc_u16 v24, v24, v14
	s_waitcnt vmcnt(1)
	v_add_nc_u16 v24, v24, v12
	s_waitcnt vmcnt(0)
	s_delay_alu instid0(VALU_DEP_1) | instskip(NEXT) | instid1(VALU_DEP_1)
	v_add_nc_u16 v15, v24, v15
	v_and_b32_e32 v24, 0xff, v15
	s_delay_alu instid0(VALU_DEP_1) | instskip(NEXT) | instid1(VALU_DEP_1)
	v_mov_b32_dpp v24, v24 row_shr:1 row_mask:0xf bank_mask:0xf
	v_cndmask_b32_e64 v24, v24, 0, s3
	s_delay_alu instid0(VALU_DEP_1) | instskip(NEXT) | instid1(VALU_DEP_1)
	v_add_nc_u16 v15, v15, v24
	v_and_b32_e32 v24, 0xff, v15
	s_delay_alu instid0(VALU_DEP_1) | instskip(NEXT) | instid1(VALU_DEP_1)
	v_mov_b32_dpp v24, v24 row_shr:2 row_mask:0xf bank_mask:0xf
	v_cndmask_b32_e64 v24, 0, v24, s4
	;; [unrolled: 6-line block ×4, first 2 shown]
	s_delay_alu instid0(VALU_DEP_1) | instskip(NEXT) | instid1(VALU_DEP_1)
	v_add_nc_u16 v15, v15, v24
	v_and_b32_e32 v24, 0xff, v15
	ds_swizzle_b32 v24, v24 offset:swizzle(BROADCAST,32,15)
	s_waitcnt lgkmcnt(0)
	v_cndmask_b32_e64 v24, v24, 0, s7
	s_delay_alu instid0(VALU_DEP_1)
	v_add_nc_u16 v15, v15, v24
	s_and_saveexec_b32 s13, s8
	s_cbranch_execz .LBB208_3
; %bb.2:                                ;   in Loop: Header=BB208_1 Depth=1
	ds_store_b8 v13, v15
.LBB208_3:                              ;   in Loop: Header=BB208_1 Depth=1
	s_or_b32 exec_lo, exec_lo, s13
	s_waitcnt lgkmcnt(0)
	s_barrier
	buffer_gl0_inv
	s_and_saveexec_b32 s13, vcc_lo
	s_cbranch_execz .LBB208_5
; %bb.4:                                ;   in Loop: Header=BB208_1 Depth=1
	ds_load_u8 v24, v0
	s_waitcnt lgkmcnt(0)
	v_and_b32_e32 v25, 0xff, v24
	s_delay_alu instid0(VALU_DEP_1) | instskip(NEXT) | instid1(VALU_DEP_1)
	v_mov_b32_dpp v25, v25 row_shr:1 row_mask:0xf bank_mask:0xf
	v_cndmask_b32_e64 v25, v25, 0, s9
	s_delay_alu instid0(VALU_DEP_1) | instskip(NEXT) | instid1(VALU_DEP_1)
	v_add_nc_u16 v24, v25, v24
	v_and_b32_e32 v25, 0xff, v24
	s_delay_alu instid0(VALU_DEP_1) | instskip(NEXT) | instid1(VALU_DEP_1)
	v_mov_b32_dpp v25, v25 row_shr:2 row_mask:0xf bank_mask:0xf
	v_cndmask_b32_e64 v25, 0, v25, s10
	s_delay_alu instid0(VALU_DEP_1) | instskip(NEXT) | instid1(VALU_DEP_1)
	v_add_nc_u16 v24, v24, v25
	v_and_b32_e32 v25, 0xff, v24
	s_delay_alu instid0(VALU_DEP_1) | instskip(NEXT) | instid1(VALU_DEP_1)
	v_mov_b32_dpp v25, v25 row_shr:4 row_mask:0xf bank_mask:0xf
	v_cndmask_b32_e64 v25, 0, v25, s11
	s_delay_alu instid0(VALU_DEP_1)
	v_add_nc_u16 v24, v24, v25
	ds_store_b8 v0, v24
.LBB208_5:                              ;   in Loop: Header=BB208_1 Depth=1
	s_or_b32 exec_lo, exec_lo, s13
	v_mov_b32_e32 v24, s16
	s_waitcnt lgkmcnt(0)
	s_barrier
	buffer_gl0_inv
	s_and_saveexec_b32 s13, s0
	s_cbranch_execz .LBB208_7
; %bb.6:                                ;   in Loop: Header=BB208_1 Depth=1
	ds_load_u8 v24, v16
	s_waitcnt lgkmcnt(0)
	v_add_nc_u16 v24, v24, s16
.LBB208_7:                              ;   in Loop: Header=BB208_1 Depth=1
	s_or_b32 exec_lo, exec_lo, s13
	s_delay_alu instid0(VALU_DEP_1) | instskip(SKIP_1) | instid1(SALU_CYCLE_1)
	v_add_nc_u16 v15, v24, v15
	s_add_i32 s12, s12, -1
	s_cmp_lg_u32 s12, 0
	s_delay_alu instid0(VALU_DEP_1) | instskip(SKIP_3) | instid1(VALU_DEP_1)
	v_and_b32_e32 v15, 0xff, v15
	ds_bpermute_b32 v15, v17, v15
	s_waitcnt lgkmcnt(0)
	v_cndmask_b32_e64 v15, v15, v24, s1
	v_cndmask_b32_e64 v24, v15, s16, s2
	s_delay_alu instid0(VALU_DEP_1) | instskip(SKIP_1) | instid1(VALU_DEP_2)
	v_add_nc_u16 v25, v24, v19
	v_and_b32_e32 v15, 0xff, v24
	v_add_nc_u16 v23, v25, v23
	s_delay_alu instid0(VALU_DEP_1) | instskip(SKIP_1) | instid1(VALU_DEP_2)
	v_add_nc_u16 v22, v23, v22
	v_and_b32_e32 v19, 0xff, v23
	v_add_nc_u16 v26, v22, v26
	v_lshlrev_b16 v29, 8, v22
	s_delay_alu instid0(VALU_DEP_2) | instskip(SKIP_2) | instid1(VALU_DEP_3)
	v_add_nc_u16 v27, v26, v18
	v_lshlrev_b16 v18, 8, v25
	v_and_b32_e32 v30, 0xff, v26
	v_add_nc_u16 v28, v27, v28
	v_lshlrev_b16 v31, 8, v27
	s_delay_alu instid0(VALU_DEP_4) | instskip(SKIP_1) | instid1(VALU_DEP_4)
	v_or_b32_e32 v15, v15, v18
	v_or_b32_e32 v18, v19, v29
	v_add_nc_u16 v21, v28, v21
	v_and_b32_e32 v32, 0xff, v28
	v_or_b32_e32 v19, v30, v31
	v_and_b32_e32 v15, 0xffff, v15
	v_lshlrev_b32_e32 v18, 16, v18
	v_lshlrev_b16 v33, 8, v21
	v_add_nc_u16 v20, v21, v20
	v_and_b32_e32 v31, 0xffff, v19
	s_delay_alu instid0(VALU_DEP_4) | instskip(NEXT) | instid1(VALU_DEP_4)
	v_or_b32_e32 v19, v15, v18
	v_or_b32_e32 v30, v32, v33
	s_delay_alu instid0(VALU_DEP_4) | instskip(NEXT) | instid1(VALU_DEP_2)
	v_add_nc_u16 v29, v20, v14
	v_lshlrev_b32_e32 v14, 16, v30
	s_delay_alu instid0(VALU_DEP_2) | instskip(NEXT) | instid1(VALU_DEP_2)
	v_add_nc_u16 v15, v29, v12
	v_or_b32_e32 v18, v31, v14
	s_cbranch_scc0 .LBB208_9
; %bb.8:                                ;   in Loop: Header=BB208_1 Depth=1
	v_mov_b32_e32 v14, v20
	v_mov_b32_e32 v12, v29
	s_branch .LBB208_1
.LBB208_9:
	v_add_co_u32 v12, s0, s14, v10
	s_delay_alu instid0(VALU_DEP_1) | instskip(SKIP_1) | instid1(VALU_DEP_1)
	v_add_co_ci_u32_e64 v13, null, s15, 0, s0
	v_add_co_u32 v9, s0, s14, v9
	v_add_co_ci_u32_e64 v10, null, s15, 0, s0
	v_add_co_u32 v16, s0, s14, v11
	s_delay_alu instid0(VALU_DEP_1) | instskip(SKIP_1) | instid1(VALU_DEP_1)
	v_add_co_ci_u32_e64 v17, null, s15, 0, s0
	v_add_co_u32 v18, s0, s14, v8
	v_add_co_ci_u32_e64 v19, null, s15, 0, s0
	;; [unrolled: 5-line block ×5, first 2 shown]
	v_add_co_u32 v34, s0, s14, v2
	s_delay_alu instid0(VALU_DEP_1)
	v_add_co_ci_u32_e64 v35, null, s15, 0, s0
	s_clause 0xa
	global_store_b8 v[12:13], v24, off
	global_store_b8 v[9:10], v25, off
	;; [unrolled: 1-line block ×11, first 2 shown]
	s_nop 0
	s_sendmsg sendmsg(MSG_DEALLOC_VGPRS)
	s_endpgm
	.section	.rodata,"a",@progbits
	.p2align	6, 0x0
	.amdhsa_kernel _Z6kernelI14exclusive_scanILN6hipcub18BlockScanAlgorithmE0EEhLj256ELj11ELj100EEvPKT0_PS4_S4_
		.amdhsa_group_segment_fixed_size 8
		.amdhsa_private_segment_fixed_size 0
		.amdhsa_kernarg_size 280
		.amdhsa_user_sgpr_count 15
		.amdhsa_user_sgpr_dispatch_ptr 0
		.amdhsa_user_sgpr_queue_ptr 0
		.amdhsa_user_sgpr_kernarg_segment_ptr 1
		.amdhsa_user_sgpr_dispatch_id 0
		.amdhsa_user_sgpr_private_segment_size 0
		.amdhsa_wavefront_size32 1
		.amdhsa_uses_dynamic_stack 0
		.amdhsa_enable_private_segment 0
		.amdhsa_system_sgpr_workgroup_id_x 1
		.amdhsa_system_sgpr_workgroup_id_y 0
		.amdhsa_system_sgpr_workgroup_id_z 0
		.amdhsa_system_sgpr_workgroup_info 0
		.amdhsa_system_vgpr_workitem_id 0
		.amdhsa_next_free_vgpr 36
		.amdhsa_next_free_sgpr 17
		.amdhsa_reserve_vcc 1
		.amdhsa_float_round_mode_32 0
		.amdhsa_float_round_mode_16_64 0
		.amdhsa_float_denorm_mode_32 3
		.amdhsa_float_denorm_mode_16_64 3
		.amdhsa_dx10_clamp 1
		.amdhsa_ieee_mode 1
		.amdhsa_fp16_overflow 0
		.amdhsa_workgroup_processor_mode 1
		.amdhsa_memory_ordered 1
		.amdhsa_forward_progress 0
		.amdhsa_shared_vgpr_count 0
		.amdhsa_exception_fp_ieee_invalid_op 0
		.amdhsa_exception_fp_denorm_src 0
		.amdhsa_exception_fp_ieee_div_zero 0
		.amdhsa_exception_fp_ieee_overflow 0
		.amdhsa_exception_fp_ieee_underflow 0
		.amdhsa_exception_fp_ieee_inexact 0
		.amdhsa_exception_int_div_zero 0
	.end_amdhsa_kernel
	.section	.text._Z6kernelI14exclusive_scanILN6hipcub18BlockScanAlgorithmE0EEhLj256ELj11ELj100EEvPKT0_PS4_S4_,"axG",@progbits,_Z6kernelI14exclusive_scanILN6hipcub18BlockScanAlgorithmE0EEhLj256ELj11ELj100EEvPKT0_PS4_S4_,comdat
.Lfunc_end208:
	.size	_Z6kernelI14exclusive_scanILN6hipcub18BlockScanAlgorithmE0EEhLj256ELj11ELj100EEvPKT0_PS4_S4_, .Lfunc_end208-_Z6kernelI14exclusive_scanILN6hipcub18BlockScanAlgorithmE0EEhLj256ELj11ELj100EEvPKT0_PS4_S4_
                                        ; -- End function
	.section	.AMDGPU.csdata,"",@progbits
; Kernel info:
; codeLenInByte = 1656
; NumSgprs: 19
; NumVgprs: 36
; ScratchSize: 0
; MemoryBound: 0
; FloatMode: 240
; IeeeMode: 1
; LDSByteSize: 8 bytes/workgroup (compile time only)
; SGPRBlocks: 2
; VGPRBlocks: 4
; NumSGPRsForWavesPerEU: 19
; NumVGPRsForWavesPerEU: 36
; Occupancy: 16
; WaveLimiterHint : 0
; COMPUTE_PGM_RSRC2:SCRATCH_EN: 0
; COMPUTE_PGM_RSRC2:USER_SGPR: 15
; COMPUTE_PGM_RSRC2:TRAP_HANDLER: 0
; COMPUTE_PGM_RSRC2:TGID_X_EN: 1
; COMPUTE_PGM_RSRC2:TGID_Y_EN: 0
; COMPUTE_PGM_RSRC2:TGID_Z_EN: 0
; COMPUTE_PGM_RSRC2:TIDIG_COMP_CNT: 0
	.section	.text._Z6kernelI14exclusive_scanILN6hipcub18BlockScanAlgorithmE0EEhLj256ELj16ELj100EEvPKT0_PS4_S4_,"axG",@progbits,_Z6kernelI14exclusive_scanILN6hipcub18BlockScanAlgorithmE0EEhLj256ELj16ELj100EEvPKT0_PS4_S4_,comdat
	.protected	_Z6kernelI14exclusive_scanILN6hipcub18BlockScanAlgorithmE0EEhLj256ELj16ELj100EEvPKT0_PS4_S4_ ; -- Begin function _Z6kernelI14exclusive_scanILN6hipcub18BlockScanAlgorithmE0EEhLj256ELj16ELj100EEvPKT0_PS4_S4_
	.globl	_Z6kernelI14exclusive_scanILN6hipcub18BlockScanAlgorithmE0EEhLj256ELj16ELj100EEvPKT0_PS4_S4_
	.p2align	8
	.type	_Z6kernelI14exclusive_scanILN6hipcub18BlockScanAlgorithmE0EEhLj256ELj16ELj100EEvPKT0_PS4_S4_,@function
_Z6kernelI14exclusive_scanILN6hipcub18BlockScanAlgorithmE0EEhLj256ELj16ELj100EEvPKT0_PS4_S4_: ; @_Z6kernelI14exclusive_scanILN6hipcub18BlockScanAlgorithmE0EEhLj256ELj16ELj100EEvPKT0_PS4_S4_
; %bb.0:
	s_clause 0x1
	s_load_b32 s2, s[0:1], 0x24
	s_load_b128 s[16:19], s[0:1], 0x0
	v_mbcnt_lo_u32_b32 v8, -1, 0
	s_load_b32 s12, s[0:1], 0x10
	v_or_b32_e32 v10, 31, v0
	v_cmp_gt_u32_e64 s5, 8, v0
	v_cmp_lt_u32_e64 s6, 31, v0
	v_add_nc_u32_e32 v9, -1, v8
	v_and_b32_e32 v6, 15, v8
	v_and_b32_e32 v7, 16, v8
	v_cmp_eq_u32_e64 s7, 0, v8
	v_cmp_eq_u32_e64 s8, 0, v0
	v_cmp_gt_i32_e64 s4, 0, v9
	v_cmp_eq_u32_e32 vcc_lo, 0, v6
	v_cmp_lt_u32_e64 s0, 1, v6
	v_cmp_lt_u32_e64 s1, 3, v6
	v_cmp_eq_u32_e64 s3, 0, v7
	v_cndmask_b32_e64 v7, v9, v8, s4
	v_and_b32_e32 v9, 7, v8
	v_cmp_eq_u32_e64 s4, v10, v0
	s_waitcnt lgkmcnt(0)
	s_and_b32 s2, s2, 0xffff
	s_movk_i32 s13, 0x64
	s_mul_i32 s15, s15, s2
	v_cmp_lt_u32_e64 s2, 7, v6
	v_add_lshl_u32 v5, s15, v0, 4
	v_lshrrev_b32_e32 v6, 5, v0
	v_lshlrev_b32_e32 v7, 2, v7
	v_cmp_eq_u32_e64 s9, 0, v9
	v_cmp_lt_u32_e64 s10, 1, v9
	global_load_b128 v[1:4], v5, s[16:17]
	v_cmp_lt_u32_e64 s11, 3, v9
	v_add_nc_u32_e32 v8, -1, v6
	s_branch .LBB209_2
.LBB209_1:                              ;   in Loop: Header=BB209_2 Depth=1
	s_or_b32 exec_lo, exec_lo, s14
	s_delay_alu instid0(VALU_DEP_1) | instskip(SKIP_1) | instid1(SALU_CYCLE_1)
	v_add_nc_u16 v20, v21, v20
	s_add_i32 s13, s13, -1
	s_cmp_lg_u32 s13, 0
	s_delay_alu instid0(VALU_DEP_1) | instskip(SKIP_3) | instid1(VALU_DEP_1)
	v_and_b32_e32 v20, 0xff, v20
	ds_bpermute_b32 v20, v7, v20
	s_waitcnt lgkmcnt(0)
	v_cndmask_b32_e64 v20, v20, v21, s7
	v_cndmask_b32_e64 v20, v20, s12, s8
	s_delay_alu instid0(VALU_DEP_1) | instskip(SKIP_1) | instid1(VALU_DEP_2)
	v_add_nc_u16 v1, v20, v1
	v_and_b32_e32 v20, 0xff, v20
	v_add_nc_u16 v12, v1, v12
	v_lshlrev_b16 v1, 8, v1
	s_delay_alu instid0(VALU_DEP_2) | instskip(SKIP_1) | instid1(VALU_DEP_3)
	v_add_nc_u16 v13, v12, v13
	v_and_b32_e32 v12, 0xff, v12
	v_or_b32_e32 v1, v20, v1
	s_delay_alu instid0(VALU_DEP_3) | instskip(SKIP_1) | instid1(VALU_DEP_2)
	v_add_nc_u16 v14, v13, v14
	v_lshlrev_b16 v13, 8, v13
	v_add_nc_u16 v2, v14, v2
	v_and_b32_e32 v14, 0xff, v14
	s_delay_alu instid0(VALU_DEP_3) | instskip(NEXT) | instid1(VALU_DEP_3)
	v_or_b32_e32 v12, v12, v13
	v_add_nc_u16 v15, v2, v15
	v_lshlrev_b16 v2, 8, v2
	s_delay_alu instid0(VALU_DEP_3) | instskip(NEXT) | instid1(VALU_DEP_3)
	v_lshlrev_b32_e32 v12, 16, v12
	v_add_nc_u16 v17, v15, v17
	s_delay_alu instid0(VALU_DEP_3) | instskip(NEXT) | instid1(VALU_DEP_2)
	v_or_b32_e32 v2, v14, v2
	v_add_nc_u16 v18, v17, v18
	s_delay_alu instid0(VALU_DEP_2) | instskip(NEXT) | instid1(VALU_DEP_2)
	v_and_b32_e32 v13, 0xffff, v2
	v_add_nc_u16 v3, v18, v3
	v_and_b32_e32 v14, 0xff, v18
	s_delay_alu instid0(VALU_DEP_2) | instskip(SKIP_1) | instid1(VALU_DEP_2)
	v_add_nc_u16 v19, v3, v19
	v_lshlrev_b16 v3, 8, v3
	v_add_nc_u16 v16, v19, v16
	s_delay_alu instid0(VALU_DEP_2) | instskip(NEXT) | instid1(VALU_DEP_2)
	v_or_b32_e32 v3, v14, v3
	v_add_nc_u16 v21, v16, v11
	v_and_b32_e32 v11, 0xffff, v1
	v_and_b32_e32 v1, 0xff, v15
	;; [unrolled: 1-line block ×3, first 2 shown]
	v_lshlrev_b16 v16, 8, v16
	v_add_nc_u16 v4, v21, v4
	s_delay_alu instid0(VALU_DEP_2) | instskip(NEXT) | instid1(VALU_DEP_2)
	v_or_b32_e32 v14, v15, v16
	v_add_nc_u16 v2, v4, v10
	v_lshlrev_b16 v10, 8, v17
	v_and_b32_e32 v17, 0xff, v21
	v_lshlrev_b16 v4, 8, v4
	v_lshlrev_b32_e32 v14, 16, v14
	v_add_nc_u16 v9, v2, v9
	v_and_b32_e32 v2, 0xff, v2
	v_or_b32_e32 v1, v1, v10
	v_or_b32_e32 v4, v17, v4
	v_and_b32_e32 v10, 0xffff, v3
	v_lshlrev_b16 v9, 8, v9
	s_delay_alu instid0(VALU_DEP_3) | instskip(NEXT) | instid1(VALU_DEP_3)
	v_and_b32_e32 v15, 0xffff, v4
	v_or_b32_e32 v3, v10, v14
	s_delay_alu instid0(VALU_DEP_3) | instskip(SKIP_2) | instid1(VALU_DEP_3)
	v_or_b32_e32 v2, v2, v9
	v_lshlrev_b32_e32 v9, 16, v1
	v_or_b32_e32 v1, v11, v12
	v_lshlrev_b32_e32 v16, 16, v2
	s_delay_alu instid0(VALU_DEP_3) | instskip(NEXT) | instid1(VALU_DEP_2)
	v_or_b32_e32 v2, v13, v9
	v_or_b32_e32 v4, v15, v16
	s_cbranch_scc0 .LBB209_8
.LBB209_2:                              ; =>This Inner Loop Header: Depth=1
	s_waitcnt vmcnt(0)
	v_lshrrev_b32_e32 v12, 8, v1
	v_lshrrev_b32_e32 v13, 16, v1
	;; [unrolled: 1-line block ×5, first 2 shown]
	v_add_nc_u16 v9, v12, v1
	v_lshrrev_b32_e32 v18, 24, v2
	v_lshrrev_b32_e32 v19, 8, v3
	;; [unrolled: 1-line block ×4, first 2 shown]
	v_add_nc_u16 v9, v9, v13
	v_lshrrev_b32_e32 v10, 8, v4
	v_lshrrev_b32_e32 v21, 24, v4
	s_delay_alu instid0(VALU_DEP_3) | instskip(NEXT) | instid1(VALU_DEP_1)
	v_add_nc_u16 v9, v9, v14
	v_add_nc_u16 v9, v9, v2
	s_delay_alu instid0(VALU_DEP_1) | instskip(NEXT) | instid1(VALU_DEP_1)
	v_add_nc_u16 v9, v9, v15
	v_add_nc_u16 v9, v9, v17
	s_delay_alu instid0(VALU_DEP_1) | instskip(NEXT) | instid1(VALU_DEP_1)
	;; [unrolled: 3-line block ×4, first 2 shown]
	v_add_nc_u16 v9, v9, v11
	v_add_nc_u16 v20, v9, v4
	v_lshrrev_b32_e32 v9, 16, v4
	s_delay_alu instid0(VALU_DEP_2) | instskip(NEXT) | instid1(VALU_DEP_1)
	v_add_nc_u16 v20, v20, v10
	v_add_nc_u16 v20, v20, v9
	s_delay_alu instid0(VALU_DEP_1) | instskip(NEXT) | instid1(VALU_DEP_1)
	v_add_nc_u16 v20, v20, v21
	v_and_b32_e32 v21, 0xff, v20
	s_delay_alu instid0(VALU_DEP_1) | instskip(NEXT) | instid1(VALU_DEP_1)
	v_mov_b32_dpp v21, v21 row_shr:1 row_mask:0xf bank_mask:0xf
	v_cndmask_b32_e64 v21, v21, 0, vcc_lo
	s_delay_alu instid0(VALU_DEP_1) | instskip(NEXT) | instid1(VALU_DEP_1)
	v_add_nc_u16 v20, v20, v21
	v_and_b32_e32 v21, 0xff, v20
	s_delay_alu instid0(VALU_DEP_1) | instskip(NEXT) | instid1(VALU_DEP_1)
	v_mov_b32_dpp v21, v21 row_shr:2 row_mask:0xf bank_mask:0xf
	v_cndmask_b32_e64 v21, 0, v21, s0
	s_delay_alu instid0(VALU_DEP_1) | instskip(NEXT) | instid1(VALU_DEP_1)
	v_add_nc_u16 v20, v20, v21
	v_and_b32_e32 v21, 0xff, v20
	s_delay_alu instid0(VALU_DEP_1) | instskip(NEXT) | instid1(VALU_DEP_1)
	v_mov_b32_dpp v21, v21 row_shr:4 row_mask:0xf bank_mask:0xf
	v_cndmask_b32_e64 v21, 0, v21, s1
	;; [unrolled: 6-line block ×3, first 2 shown]
	s_delay_alu instid0(VALU_DEP_1) | instskip(NEXT) | instid1(VALU_DEP_1)
	v_add_nc_u16 v20, v20, v21
	v_and_b32_e32 v21, 0xff, v20
	ds_swizzle_b32 v21, v21 offset:swizzle(BROADCAST,32,15)
	s_waitcnt lgkmcnt(0)
	v_cndmask_b32_e64 v21, v21, 0, s3
	s_delay_alu instid0(VALU_DEP_1)
	v_add_nc_u16 v20, v20, v21
	s_and_saveexec_b32 s14, s4
	s_cbranch_execz .LBB209_4
; %bb.3:                                ;   in Loop: Header=BB209_2 Depth=1
	ds_store_b8 v6, v20
.LBB209_4:                              ;   in Loop: Header=BB209_2 Depth=1
	s_or_b32 exec_lo, exec_lo, s14
	s_waitcnt lgkmcnt(0)
	s_barrier
	buffer_gl0_inv
	s_and_saveexec_b32 s14, s5
	s_cbranch_execz .LBB209_6
; %bb.5:                                ;   in Loop: Header=BB209_2 Depth=1
	ds_load_u8 v21, v0
	s_waitcnt lgkmcnt(0)
	v_and_b32_e32 v22, 0xff, v21
	s_delay_alu instid0(VALU_DEP_1) | instskip(NEXT) | instid1(VALU_DEP_1)
	v_mov_b32_dpp v22, v22 row_shr:1 row_mask:0xf bank_mask:0xf
	v_cndmask_b32_e64 v22, v22, 0, s9
	s_delay_alu instid0(VALU_DEP_1) | instskip(NEXT) | instid1(VALU_DEP_1)
	v_add_nc_u16 v21, v22, v21
	v_and_b32_e32 v22, 0xff, v21
	s_delay_alu instid0(VALU_DEP_1) | instskip(NEXT) | instid1(VALU_DEP_1)
	v_mov_b32_dpp v22, v22 row_shr:2 row_mask:0xf bank_mask:0xf
	v_cndmask_b32_e64 v22, 0, v22, s10
	s_delay_alu instid0(VALU_DEP_1) | instskip(NEXT) | instid1(VALU_DEP_1)
	v_add_nc_u16 v21, v21, v22
	v_and_b32_e32 v22, 0xff, v21
	s_delay_alu instid0(VALU_DEP_1) | instskip(NEXT) | instid1(VALU_DEP_1)
	v_mov_b32_dpp v22, v22 row_shr:4 row_mask:0xf bank_mask:0xf
	v_cndmask_b32_e64 v22, 0, v22, s11
	s_delay_alu instid0(VALU_DEP_1)
	v_add_nc_u16 v21, v21, v22
	ds_store_b8 v0, v21
.LBB209_6:                              ;   in Loop: Header=BB209_2 Depth=1
	s_or_b32 exec_lo, exec_lo, s14
	v_mov_b32_e32 v21, s12
	s_waitcnt lgkmcnt(0)
	s_barrier
	buffer_gl0_inv
	s_and_saveexec_b32 s14, s6
	s_cbranch_execz .LBB209_1
; %bb.7:                                ;   in Loop: Header=BB209_2 Depth=1
	ds_load_u8 v21, v8
	s_waitcnt lgkmcnt(0)
	v_add_nc_u16 v21, v21, s12
	s_branch .LBB209_1
.LBB209_8:
	v_add_co_u32 v4, s0, s18, v5
	s_delay_alu instid0(VALU_DEP_1)
	v_add_co_ci_u32_e64 v5, null, s19, 0, s0
	v_or_b32_e32 v3, v15, v16
	v_or_b32_e32 v2, v10, v14
	;; [unrolled: 1-line block ×4, first 2 shown]
	global_store_b128 v[4:5], v[0:3], off
	s_nop 0
	s_sendmsg sendmsg(MSG_DEALLOC_VGPRS)
	s_endpgm
	.section	.rodata,"a",@progbits
	.p2align	6, 0x0
	.amdhsa_kernel _Z6kernelI14exclusive_scanILN6hipcub18BlockScanAlgorithmE0EEhLj256ELj16ELj100EEvPKT0_PS4_S4_
		.amdhsa_group_segment_fixed_size 8
		.amdhsa_private_segment_fixed_size 0
		.amdhsa_kernarg_size 280
		.amdhsa_user_sgpr_count 15
		.amdhsa_user_sgpr_dispatch_ptr 0
		.amdhsa_user_sgpr_queue_ptr 0
		.amdhsa_user_sgpr_kernarg_segment_ptr 1
		.amdhsa_user_sgpr_dispatch_id 0
		.amdhsa_user_sgpr_private_segment_size 0
		.amdhsa_wavefront_size32 1
		.amdhsa_uses_dynamic_stack 0
		.amdhsa_enable_private_segment 0
		.amdhsa_system_sgpr_workgroup_id_x 1
		.amdhsa_system_sgpr_workgroup_id_y 0
		.amdhsa_system_sgpr_workgroup_id_z 0
		.amdhsa_system_sgpr_workgroup_info 0
		.amdhsa_system_vgpr_workitem_id 0
		.amdhsa_next_free_vgpr 23
		.amdhsa_next_free_sgpr 20
		.amdhsa_reserve_vcc 1
		.amdhsa_float_round_mode_32 0
		.amdhsa_float_round_mode_16_64 0
		.amdhsa_float_denorm_mode_32 3
		.amdhsa_float_denorm_mode_16_64 3
		.amdhsa_dx10_clamp 1
		.amdhsa_ieee_mode 1
		.amdhsa_fp16_overflow 0
		.amdhsa_workgroup_processor_mode 1
		.amdhsa_memory_ordered 1
		.amdhsa_forward_progress 0
		.amdhsa_shared_vgpr_count 0
		.amdhsa_exception_fp_ieee_invalid_op 0
		.amdhsa_exception_fp_denorm_src 0
		.amdhsa_exception_fp_ieee_div_zero 0
		.amdhsa_exception_fp_ieee_overflow 0
		.amdhsa_exception_fp_ieee_underflow 0
		.amdhsa_exception_fp_ieee_inexact 0
		.amdhsa_exception_int_div_zero 0
	.end_amdhsa_kernel
	.section	.text._Z6kernelI14exclusive_scanILN6hipcub18BlockScanAlgorithmE0EEhLj256ELj16ELj100EEvPKT0_PS4_S4_,"axG",@progbits,_Z6kernelI14exclusive_scanILN6hipcub18BlockScanAlgorithmE0EEhLj256ELj16ELj100EEvPKT0_PS4_S4_,comdat
.Lfunc_end209:
	.size	_Z6kernelI14exclusive_scanILN6hipcub18BlockScanAlgorithmE0EEhLj256ELj16ELj100EEvPKT0_PS4_S4_, .Lfunc_end209-_Z6kernelI14exclusive_scanILN6hipcub18BlockScanAlgorithmE0EEhLj256ELj16ELj100EEvPKT0_PS4_S4_
                                        ; -- End function
	.section	.AMDGPU.csdata,"",@progbits
; Kernel info:
; codeLenInByte = 1384
; NumSgprs: 22
; NumVgprs: 23
; ScratchSize: 0
; MemoryBound: 0
; FloatMode: 240
; IeeeMode: 1
; LDSByteSize: 8 bytes/workgroup (compile time only)
; SGPRBlocks: 2
; VGPRBlocks: 2
; NumSGPRsForWavesPerEU: 22
; NumVGPRsForWavesPerEU: 23
; Occupancy: 16
; WaveLimiterHint : 0
; COMPUTE_PGM_RSRC2:SCRATCH_EN: 0
; COMPUTE_PGM_RSRC2:USER_SGPR: 15
; COMPUTE_PGM_RSRC2:TRAP_HANDLER: 0
; COMPUTE_PGM_RSRC2:TGID_X_EN: 1
; COMPUTE_PGM_RSRC2:TGID_Y_EN: 0
; COMPUTE_PGM_RSRC2:TGID_Z_EN: 0
; COMPUTE_PGM_RSRC2:TIDIG_COMP_CNT: 0
	.section	.text._Z6kernelI14exclusive_scanILN6hipcub18BlockScanAlgorithmE0EEN15benchmark_utils11custom_typeIffEELj256ELj1ELj100EEvPKT0_PS7_S7_,"axG",@progbits,_Z6kernelI14exclusive_scanILN6hipcub18BlockScanAlgorithmE0EEN15benchmark_utils11custom_typeIffEELj256ELj1ELj100EEvPKT0_PS7_S7_,comdat
	.protected	_Z6kernelI14exclusive_scanILN6hipcub18BlockScanAlgorithmE0EEN15benchmark_utils11custom_typeIffEELj256ELj1ELj100EEvPKT0_PS7_S7_ ; -- Begin function _Z6kernelI14exclusive_scanILN6hipcub18BlockScanAlgorithmE0EEN15benchmark_utils11custom_typeIffEELj256ELj1ELj100EEvPKT0_PS7_S7_
	.globl	_Z6kernelI14exclusive_scanILN6hipcub18BlockScanAlgorithmE0EEN15benchmark_utils11custom_typeIffEELj256ELj1ELj100EEvPKT0_PS7_S7_
	.p2align	8
	.type	_Z6kernelI14exclusive_scanILN6hipcub18BlockScanAlgorithmE0EEN15benchmark_utils11custom_typeIffEELj256ELj1ELj100EEvPKT0_PS7_S7_,@function
_Z6kernelI14exclusive_scanILN6hipcub18BlockScanAlgorithmE0EEN15benchmark_utils11custom_typeIffEELj256ELj1ELj100EEvPKT0_PS7_S7_: ; @_Z6kernelI14exclusive_scanILN6hipcub18BlockScanAlgorithmE0EEN15benchmark_utils11custom_typeIffEELj256ELj1ELj100EEvPKT0_PS7_S7_
; %bb.0:
	s_clause 0x1
	s_load_b32 s2, s[0:1], 0x24
	s_load_b128 s[16:19], s[0:1], 0x0
	v_mbcnt_lo_u32_b32 v5, -1, 0
	s_load_b64 s[12:13], s[0:1], 0x10
	v_or_b32_e32 v8, 31, v0
	v_cmp_lt_u32_e64 s6, 31, v0
	s_movk_i32 s11, 0x64
	v_add_nc_u32_e32 v9, -1, v5
	v_and_b32_e32 v6, 15, v5
	v_cmp_eq_u32_e64 s4, v8, v0
	v_lshrrev_b32_e32 v8, 2, v0
	v_cmp_eq_u32_e64 s7, 0, v5
	v_cmp_gt_i32_e64 s5, 0, v9
	v_cmp_lt_u32_e64 s0, 1, v6
	v_cmp_lt_u32_e64 s1, 3, v6
	v_and_b32_e32 v8, 56, v8
	v_and_b32_e32 v7, 16, v5
	s_waitcnt lgkmcnt(0)
	s_and_b32 s2, s2, 0xffff
	s_delay_alu instid0(VALU_DEP_1) | instskip(SKIP_3) | instid1(VALU_DEP_2)
	v_cmp_ne_u32_e64 s3, 0, v7
	v_mad_u64_u32 v[1:2], null, s15, s2, v[0:1]
	v_mov_b32_e32 v2, 0
	v_cmp_lt_u32_e64 s2, 7, v6
	v_lshlrev_b64 v[1:2], 3, v[1:2]
	s_delay_alu instid0(VALU_DEP_1) | instskip(NEXT) | instid1(VALU_DEP_2)
	v_add_co_u32 v3, vcc_lo, s16, v1
	v_add_co_ci_u32_e32 v4, vcc_lo, s17, v2, vcc_lo
	v_cmp_ne_u32_e32 vcc_lo, 0, v6
	v_cndmask_b32_e64 v6, v9, v5, s5
	v_and_b32_e32 v9, 7, v5
	global_load_b64 v[3:4], v[3:4], off
	v_cmp_gt_u32_e64 s5, 8, v0
	v_lshlrev_b32_e32 v0, 3, v0
	v_lshlrev_b32_e32 v7, 2, v6
	v_cmp_ne_u32_e64 s8, 0, v9
	v_cmp_lt_u32_e64 s9, 1, v9
	v_cmp_lt_u32_e64 s10, 3, v9
	v_add_nc_u32_e32 v9, -8, v8
	s_branch .LBB210_2
.LBB210_1:                              ;   in Loop: Header=BB210_2 Depth=1
	s_or_b32 exec_lo, exec_lo, s14
	s_delay_alu instid0(VALU_DEP_1) | instskip(SKIP_1) | instid1(SALU_CYCLE_1)
	v_dual_add_f32 v4, v4, v6 :: v_dual_add_f32 v3, v3, v5
	s_add_i32 s11, s11, -1
	s_cmp_lg_u32 s11, 0
	ds_bpermute_b32 v4, v7, v4
	ds_bpermute_b32 v3, v7, v3
	s_waitcnt lgkmcnt(1)
	v_cndmask_b32_e64 v4, v4, v6, s7
	s_waitcnt lgkmcnt(0)
	v_cndmask_b32_e64 v3, v3, v5, s7
	s_cbranch_scc0 .LBB210_22
.LBB210_2:                              ; =>This Inner Loop Header: Depth=1
	s_waitcnt vmcnt(0)
	s_delay_alu instid0(VALU_DEP_1)
	v_mov_b32_dpp v5, v3 row_shr:1 row_mask:0xf bank_mask:0xf
	v_mov_b32_dpp v6, v4 row_shr:1 row_mask:0xf bank_mask:0xf
	s_and_saveexec_b32 s14, vcc_lo
; %bb.3:                                ;   in Loop: Header=BB210_2 Depth=1
	s_delay_alu instid0(VALU_DEP_1)
	v_dual_add_f32 v4, v4, v6 :: v_dual_add_f32 v3, v3, v5
; %bb.4:                                ;   in Loop: Header=BB210_2 Depth=1
	s_or_b32 exec_lo, exec_lo, s14
	s_delay_alu instid0(VALU_DEP_1) | instskip(NEXT) | instid1(VALU_DEP_2)
	v_mov_b32_dpp v5, v3 row_shr:2 row_mask:0xf bank_mask:0xf
	v_mov_b32_dpp v6, v4 row_shr:2 row_mask:0xf bank_mask:0xf
	s_and_saveexec_b32 s14, s0
; %bb.5:                                ;   in Loop: Header=BB210_2 Depth=1
	s_delay_alu instid0(VALU_DEP_1)
	v_dual_add_f32 v4, v4, v6 :: v_dual_add_f32 v3, v3, v5
; %bb.6:                                ;   in Loop: Header=BB210_2 Depth=1
	s_or_b32 exec_lo, exec_lo, s14
	s_delay_alu instid0(VALU_DEP_1) | instskip(NEXT) | instid1(VALU_DEP_2)
	v_mov_b32_dpp v5, v3 row_shr:4 row_mask:0xf bank_mask:0xf
	v_mov_b32_dpp v6, v4 row_shr:4 row_mask:0xf bank_mask:0xf
	s_and_saveexec_b32 s14, s1
; %bb.7:                                ;   in Loop: Header=BB210_2 Depth=1
	s_delay_alu instid0(VALU_DEP_1)
	v_dual_add_f32 v4, v4, v6 :: v_dual_add_f32 v3, v3, v5
; %bb.8:                                ;   in Loop: Header=BB210_2 Depth=1
	s_or_b32 exec_lo, exec_lo, s14
	s_delay_alu instid0(VALU_DEP_1) | instskip(NEXT) | instid1(VALU_DEP_2)
	v_mov_b32_dpp v5, v3 row_shr:8 row_mask:0xf bank_mask:0xf
	v_mov_b32_dpp v6, v4 row_shr:8 row_mask:0xf bank_mask:0xf
	s_and_saveexec_b32 s14, s2
; %bb.9:                                ;   in Loop: Header=BB210_2 Depth=1
	s_delay_alu instid0(VALU_DEP_1)
	v_dual_add_f32 v4, v4, v6 :: v_dual_add_f32 v3, v3, v5
; %bb.10:                               ;   in Loop: Header=BB210_2 Depth=1
	s_or_b32 exec_lo, exec_lo, s14
	ds_swizzle_b32 v6, v3 offset:swizzle(BROADCAST,32,15)
	ds_swizzle_b32 v5, v4 offset:swizzle(BROADCAST,32,15)
	s_and_saveexec_b32 s14, s3
	s_cbranch_execz .LBB210_12
; %bb.11:                               ;   in Loop: Header=BB210_2 Depth=1
	s_waitcnt lgkmcnt(0)
	v_dual_add_f32 v3, v3, v6 :: v_dual_add_f32 v4, v4, v5
.LBB210_12:                             ;   in Loop: Header=BB210_2 Depth=1
	s_or_b32 exec_lo, exec_lo, s14
	s_and_saveexec_b32 s14, s4
	s_cbranch_execz .LBB210_14
; %bb.13:                               ;   in Loop: Header=BB210_2 Depth=1
	ds_store_b64 v8, v[3:4]
.LBB210_14:                             ;   in Loop: Header=BB210_2 Depth=1
	s_or_b32 exec_lo, exec_lo, s14
	s_waitcnt lgkmcnt(0)
	s_barrier
	buffer_gl0_inv
	s_and_saveexec_b32 s14, s5
	s_cbranch_execz .LBB210_20
; %bb.15:                               ;   in Loop: Header=BB210_2 Depth=1
	ds_load_b64 v[5:6], v0
	s_waitcnt lgkmcnt(0)
	v_mov_b32_dpp v10, v5 row_shr:1 row_mask:0xf bank_mask:0xf
	v_mov_b32_dpp v11, v6 row_shr:1 row_mask:0xf bank_mask:0xf
	s_and_saveexec_b32 s15, s8
; %bb.16:                               ;   in Loop: Header=BB210_2 Depth=1
	s_delay_alu instid0(VALU_DEP_1)
	v_dual_add_f32 v6, v6, v11 :: v_dual_add_f32 v5, v5, v10
; %bb.17:                               ;   in Loop: Header=BB210_2 Depth=1
	s_or_b32 exec_lo, exec_lo, s15
	s_delay_alu instid0(VALU_DEP_1) | instskip(NEXT) | instid1(VALU_DEP_2)
	v_mov_b32_dpp v10, v5 row_shr:2 row_mask:0xf bank_mask:0xf
	v_mov_b32_dpp v11, v6 row_shr:2 row_mask:0xf bank_mask:0xf
	s_and_saveexec_b32 s15, s9
; %bb.18:                               ;   in Loop: Header=BB210_2 Depth=1
	s_delay_alu instid0(VALU_DEP_1)
	v_dual_add_f32 v6, v6, v11 :: v_dual_add_f32 v5, v5, v10
; %bb.19:                               ;   in Loop: Header=BB210_2 Depth=1
	s_or_b32 exec_lo, exec_lo, s15
	s_delay_alu instid0(VALU_DEP_1) | instskip(NEXT) | instid1(VALU_DEP_2)
	v_mov_b32_dpp v10, v5 row_shr:4 row_mask:0xf bank_mask:0xf
	v_mov_b32_dpp v11, v6 row_shr:4 row_mask:0xf bank_mask:0xf
	s_delay_alu instid0(VALU_DEP_1) | instskip(NEXT) | instid1(VALU_DEP_1)
	v_dual_add_f32 v10, v5, v10 :: v_dual_add_f32 v11, v6, v11
	v_cndmask_b32_e64 v5, v5, v10, s10
	s_delay_alu instid0(VALU_DEP_2)
	v_cndmask_b32_e64 v6, v6, v11, s10
	ds_store_b64 v0, v[5:6]
.LBB210_20:                             ;   in Loop: Header=BB210_2 Depth=1
	s_or_b32 exec_lo, exec_lo, s14
	v_dual_mov_b32 v5, s12 :: v_dual_mov_b32 v6, s13
	s_waitcnt lgkmcnt(0)
	s_barrier
	buffer_gl0_inv
	s_and_saveexec_b32 s14, s6
	s_cbranch_execz .LBB210_1
; %bb.21:                               ;   in Loop: Header=BB210_2 Depth=1
	ds_load_b64 v[5:6], v9
	s_waitcnt lgkmcnt(0)
	v_dual_add_f32 v5, s12, v5 :: v_dual_add_f32 v6, s13, v6
	s_branch .LBB210_1
.LBB210_22:
	v_add_co_u32 v0, vcc_lo, s18, v1
	v_add_co_ci_u32_e32 v1, vcc_lo, s19, v2, vcc_lo
	global_store_b64 v[0:1], v[3:4], off
	s_nop 0
	s_sendmsg sendmsg(MSG_DEALLOC_VGPRS)
	s_endpgm
	.section	.rodata,"a",@progbits
	.p2align	6, 0x0
	.amdhsa_kernel _Z6kernelI14exclusive_scanILN6hipcub18BlockScanAlgorithmE0EEN15benchmark_utils11custom_typeIffEELj256ELj1ELj100EEvPKT0_PS7_S7_
		.amdhsa_group_segment_fixed_size 64
		.amdhsa_private_segment_fixed_size 0
		.amdhsa_kernarg_size 280
		.amdhsa_user_sgpr_count 15
		.amdhsa_user_sgpr_dispatch_ptr 0
		.amdhsa_user_sgpr_queue_ptr 0
		.amdhsa_user_sgpr_kernarg_segment_ptr 1
		.amdhsa_user_sgpr_dispatch_id 0
		.amdhsa_user_sgpr_private_segment_size 0
		.amdhsa_wavefront_size32 1
		.amdhsa_uses_dynamic_stack 0
		.amdhsa_enable_private_segment 0
		.amdhsa_system_sgpr_workgroup_id_x 1
		.amdhsa_system_sgpr_workgroup_id_y 0
		.amdhsa_system_sgpr_workgroup_id_z 0
		.amdhsa_system_sgpr_workgroup_info 0
		.amdhsa_system_vgpr_workitem_id 0
		.amdhsa_next_free_vgpr 12
		.amdhsa_next_free_sgpr 20
		.amdhsa_reserve_vcc 1
		.amdhsa_float_round_mode_32 0
		.amdhsa_float_round_mode_16_64 0
		.amdhsa_float_denorm_mode_32 3
		.amdhsa_float_denorm_mode_16_64 3
		.amdhsa_dx10_clamp 1
		.amdhsa_ieee_mode 1
		.amdhsa_fp16_overflow 0
		.amdhsa_workgroup_processor_mode 1
		.amdhsa_memory_ordered 1
		.amdhsa_forward_progress 0
		.amdhsa_shared_vgpr_count 0
		.amdhsa_exception_fp_ieee_invalid_op 0
		.amdhsa_exception_fp_denorm_src 0
		.amdhsa_exception_fp_ieee_div_zero 0
		.amdhsa_exception_fp_ieee_overflow 0
		.amdhsa_exception_fp_ieee_underflow 0
		.amdhsa_exception_fp_ieee_inexact 0
		.amdhsa_exception_int_div_zero 0
	.end_amdhsa_kernel
	.section	.text._Z6kernelI14exclusive_scanILN6hipcub18BlockScanAlgorithmE0EEN15benchmark_utils11custom_typeIffEELj256ELj1ELj100EEvPKT0_PS7_S7_,"axG",@progbits,_Z6kernelI14exclusive_scanILN6hipcub18BlockScanAlgorithmE0EEN15benchmark_utils11custom_typeIffEELj256ELj1ELj100EEvPKT0_PS7_S7_,comdat
.Lfunc_end210:
	.size	_Z6kernelI14exclusive_scanILN6hipcub18BlockScanAlgorithmE0EEN15benchmark_utils11custom_typeIffEELj256ELj1ELj100EEvPKT0_PS7_S7_, .Lfunc_end210-_Z6kernelI14exclusive_scanILN6hipcub18BlockScanAlgorithmE0EEN15benchmark_utils11custom_typeIffEELj256ELj1ELj100EEvPKT0_PS7_S7_
                                        ; -- End function
	.section	.AMDGPU.csdata,"",@progbits
; Kernel info:
; codeLenInByte = 808
; NumSgprs: 22
; NumVgprs: 12
; ScratchSize: 0
; MemoryBound: 0
; FloatMode: 240
; IeeeMode: 1
; LDSByteSize: 64 bytes/workgroup (compile time only)
; SGPRBlocks: 2
; VGPRBlocks: 1
; NumSGPRsForWavesPerEU: 22
; NumVGPRsForWavesPerEU: 12
; Occupancy: 16
; WaveLimiterHint : 0
; COMPUTE_PGM_RSRC2:SCRATCH_EN: 0
; COMPUTE_PGM_RSRC2:USER_SGPR: 15
; COMPUTE_PGM_RSRC2:TRAP_HANDLER: 0
; COMPUTE_PGM_RSRC2:TGID_X_EN: 1
; COMPUTE_PGM_RSRC2:TGID_Y_EN: 0
; COMPUTE_PGM_RSRC2:TGID_Z_EN: 0
; COMPUTE_PGM_RSRC2:TIDIG_COMP_CNT: 0
	.section	.text._Z6kernelI14exclusive_scanILN6hipcub18BlockScanAlgorithmE0EEN15benchmark_utils11custom_typeIffEELj256ELj4ELj100EEvPKT0_PS7_S7_,"axG",@progbits,_Z6kernelI14exclusive_scanILN6hipcub18BlockScanAlgorithmE0EEN15benchmark_utils11custom_typeIffEELj256ELj4ELj100EEvPKT0_PS7_S7_,comdat
	.protected	_Z6kernelI14exclusive_scanILN6hipcub18BlockScanAlgorithmE0EEN15benchmark_utils11custom_typeIffEELj256ELj4ELj100EEvPKT0_PS7_S7_ ; -- Begin function _Z6kernelI14exclusive_scanILN6hipcub18BlockScanAlgorithmE0EEN15benchmark_utils11custom_typeIffEELj256ELj4ELj100EEvPKT0_PS7_S7_
	.globl	_Z6kernelI14exclusive_scanILN6hipcub18BlockScanAlgorithmE0EEN15benchmark_utils11custom_typeIffEELj256ELj4ELj100EEvPKT0_PS7_S7_
	.p2align	8
	.type	_Z6kernelI14exclusive_scanILN6hipcub18BlockScanAlgorithmE0EEN15benchmark_utils11custom_typeIffEELj256ELj4ELj100EEvPKT0_PS7_S7_,@function
_Z6kernelI14exclusive_scanILN6hipcub18BlockScanAlgorithmE0EEN15benchmark_utils11custom_typeIffEELj256ELj4ELj100EEvPKT0_PS7_S7_: ; @_Z6kernelI14exclusive_scanILN6hipcub18BlockScanAlgorithmE0EEN15benchmark_utils11custom_typeIffEELj256ELj4ELj100EEvPKT0_PS7_S7_
; %bb.0:
	s_clause 0x1
	s_load_b32 s2, s[0:1], 0x24
	s_load_b128 s[16:19], s[0:1], 0x0
	v_mbcnt_lo_u32_b32 v9, -1, 0
	v_mov_b32_e32 v2, 0
	s_load_b64 s[12:13], s[0:1], 0x10
	v_or_b32_e32 v15, 31, v0
	v_cmp_gt_u32_e64 s5, 8, v0
	v_and_b32_e32 v11, 16, v9
	v_add_nc_u32_e32 v12, -1, v9
	v_and_b32_e32 v10, 15, v9
	v_cmp_lt_u32_e64 s6, 31, v0
	v_cmp_eq_u32_e64 s7, 0, v9
	v_cmp_ne_u32_e64 s3, 0, v11
	v_cmp_gt_i32_e64 s4, 0, v12
	v_cmp_lt_u32_e64 s0, 1, v10
	v_cmp_lt_u32_e64 s1, 3, v10
	v_lshrrev_b32_e32 v11, 2, v0
	v_cmp_eq_u32_e64 s8, 0, v0
	s_movk_i32 s14, 0x64
	s_waitcnt lgkmcnt(0)
	s_and_b32 s2, s2, 0xffff
	v_and_b32_e32 v16, 56, v11
	s_mul_i32 s15, s15, s2
	v_cmp_lt_u32_e64 s2, 7, v10
	v_add_lshl_u32 v1, s15, v0, 2
	s_delay_alu instid0(VALU_DEP_3) | instskip(NEXT) | instid1(VALU_DEP_2)
	v_add_nc_u32_e32 v17, -8, v16
	v_lshlrev_b64 v[13:14], 3, v[1:2]
	s_delay_alu instid0(VALU_DEP_1) | instskip(NEXT) | instid1(VALU_DEP_2)
	v_add_co_u32 v1, vcc_lo, s16, v13
	v_add_co_ci_u32_e32 v2, vcc_lo, s17, v14, vcc_lo
	v_cmp_ne_u32_e32 vcc_lo, 0, v10
	v_cndmask_b32_e64 v10, v12, v9, s4
	v_cmp_eq_u32_e64 s4, v15, v0
	s_clause 0x1
	global_load_b128 v[5:8], v[1:2], off
	global_load_b128 v[1:4], v[1:2], off offset:16
	v_lshlrev_b32_e32 v0, 3, v0
	v_lshlrev_b32_e32 v15, 2, v10
	v_and_b32_e32 v10, 7, v9
	s_delay_alu instid0(VALU_DEP_1)
	v_cmp_ne_u32_e64 s9, 0, v10
	v_cmp_lt_u32_e64 s10, 1, v10
	v_cmp_lt_u32_e64 s11, 3, v10
.LBB211_1:                              ; =>This Inner Loop Header: Depth=1
	s_waitcnt vmcnt(1)
	s_delay_alu instid0(VALU_DEP_1) | instskip(SKIP_1) | instid1(VALU_DEP_1)
	v_dual_add_f32 v9, v7, v5 :: v_dual_add_f32 v10, v8, v6
	s_waitcnt vmcnt(0)
	v_dual_add_f32 v9, v1, v9 :: v_dual_add_f32 v10, v2, v10
	s_delay_alu instid0(VALU_DEP_1) | instskip(NEXT) | instid1(VALU_DEP_1)
	v_dual_add_f32 v3, v3, v9 :: v_dual_add_f32 v4, v4, v10
	v_mov_b32_dpp v9, v3 row_shr:1 row_mask:0xf bank_mask:0xf
	s_delay_alu instid0(VALU_DEP_2)
	v_mov_b32_dpp v10, v4 row_shr:1 row_mask:0xf bank_mask:0xf
	s_and_saveexec_b32 s15, vcc_lo
; %bb.2:                                ;   in Loop: Header=BB211_1 Depth=1
	s_delay_alu instid0(VALU_DEP_1)
	v_dual_add_f32 v4, v4, v10 :: v_dual_add_f32 v3, v3, v9
; %bb.3:                                ;   in Loop: Header=BB211_1 Depth=1
	s_or_b32 exec_lo, exec_lo, s15
	s_delay_alu instid0(VALU_DEP_1) | instskip(NEXT) | instid1(VALU_DEP_2)
	v_mov_b32_dpp v9, v3 row_shr:2 row_mask:0xf bank_mask:0xf
	v_mov_b32_dpp v10, v4 row_shr:2 row_mask:0xf bank_mask:0xf
	s_and_saveexec_b32 s15, s0
; %bb.4:                                ;   in Loop: Header=BB211_1 Depth=1
	s_delay_alu instid0(VALU_DEP_1)
	v_dual_add_f32 v4, v4, v10 :: v_dual_add_f32 v3, v3, v9
; %bb.5:                                ;   in Loop: Header=BB211_1 Depth=1
	s_or_b32 exec_lo, exec_lo, s15
	s_delay_alu instid0(VALU_DEP_1) | instskip(NEXT) | instid1(VALU_DEP_2)
	v_mov_b32_dpp v9, v3 row_shr:4 row_mask:0xf bank_mask:0xf
	v_mov_b32_dpp v10, v4 row_shr:4 row_mask:0xf bank_mask:0xf
	s_and_saveexec_b32 s15, s1
	;; [unrolled: 9-line block ×3, first 2 shown]
; %bb.8:                                ;   in Loop: Header=BB211_1 Depth=1
	s_delay_alu instid0(VALU_DEP_1)
	v_dual_add_f32 v4, v4, v10 :: v_dual_add_f32 v3, v3, v9
; %bb.9:                                ;   in Loop: Header=BB211_1 Depth=1
	s_or_b32 exec_lo, exec_lo, s15
	ds_swizzle_b32 v10, v3 offset:swizzle(BROADCAST,32,15)
	ds_swizzle_b32 v9, v4 offset:swizzle(BROADCAST,32,15)
	s_and_saveexec_b32 s15, s3
	s_cbranch_execz .LBB211_11
; %bb.10:                               ;   in Loop: Header=BB211_1 Depth=1
	s_waitcnt lgkmcnt(0)
	v_dual_add_f32 v3, v3, v10 :: v_dual_add_f32 v4, v4, v9
.LBB211_11:                             ;   in Loop: Header=BB211_1 Depth=1
	s_or_b32 exec_lo, exec_lo, s15
	s_and_saveexec_b32 s15, s4
	s_cbranch_execz .LBB211_13
; %bb.12:                               ;   in Loop: Header=BB211_1 Depth=1
	ds_store_b64 v16, v[3:4]
.LBB211_13:                             ;   in Loop: Header=BB211_1 Depth=1
	s_or_b32 exec_lo, exec_lo, s15
	s_waitcnt lgkmcnt(0)
	s_barrier
	buffer_gl0_inv
	s_and_saveexec_b32 s15, s5
	s_cbranch_execz .LBB211_19
; %bb.14:                               ;   in Loop: Header=BB211_1 Depth=1
	ds_load_b64 v[9:10], v0
	s_waitcnt lgkmcnt(0)
	v_mov_b32_dpp v11, v9 row_shr:1 row_mask:0xf bank_mask:0xf
	v_mov_b32_dpp v12, v10 row_shr:1 row_mask:0xf bank_mask:0xf
	s_and_saveexec_b32 s16, s9
; %bb.15:                               ;   in Loop: Header=BB211_1 Depth=1
	s_delay_alu instid0(VALU_DEP_1)
	v_dual_add_f32 v10, v10, v12 :: v_dual_add_f32 v9, v9, v11
; %bb.16:                               ;   in Loop: Header=BB211_1 Depth=1
	s_or_b32 exec_lo, exec_lo, s16
	s_delay_alu instid0(VALU_DEP_1) | instskip(NEXT) | instid1(VALU_DEP_2)
	v_mov_b32_dpp v11, v9 row_shr:2 row_mask:0xf bank_mask:0xf
	v_mov_b32_dpp v12, v10 row_shr:2 row_mask:0xf bank_mask:0xf
	s_and_saveexec_b32 s16, s10
; %bb.17:                               ;   in Loop: Header=BB211_1 Depth=1
	s_delay_alu instid0(VALU_DEP_1)
	v_dual_add_f32 v10, v10, v12 :: v_dual_add_f32 v9, v9, v11
; %bb.18:                               ;   in Loop: Header=BB211_1 Depth=1
	s_or_b32 exec_lo, exec_lo, s16
	s_delay_alu instid0(VALU_DEP_1) | instskip(NEXT) | instid1(VALU_DEP_2)
	v_mov_b32_dpp v11, v9 row_shr:4 row_mask:0xf bank_mask:0xf
	v_mov_b32_dpp v12, v10 row_shr:4 row_mask:0xf bank_mask:0xf
	s_delay_alu instid0(VALU_DEP_1) | instskip(NEXT) | instid1(VALU_DEP_1)
	v_dual_add_f32 v11, v9, v11 :: v_dual_add_f32 v12, v10, v12
	v_cndmask_b32_e64 v9, v9, v11, s11
	s_delay_alu instid0(VALU_DEP_2)
	v_cndmask_b32_e64 v10, v10, v12, s11
	ds_store_b64 v0, v[9:10]
.LBB211_19:                             ;   in Loop: Header=BB211_1 Depth=1
	s_or_b32 exec_lo, exec_lo, s15
	v_dual_mov_b32 v9, s12 :: v_dual_mov_b32 v10, s13
	s_waitcnt lgkmcnt(0)
	s_barrier
	buffer_gl0_inv
	s_and_saveexec_b32 s15, s6
	s_cbranch_execz .LBB211_21
; %bb.20:                               ;   in Loop: Header=BB211_1 Depth=1
	ds_load_b64 v[9:10], v17
	s_waitcnt lgkmcnt(0)
	v_dual_add_f32 v9, s12, v9 :: v_dual_add_f32 v10, s13, v10
.LBB211_21:                             ;   in Loop: Header=BB211_1 Depth=1
	s_or_b32 exec_lo, exec_lo, s15
	s_delay_alu instid0(VALU_DEP_1) | instskip(SKIP_1) | instid1(SALU_CYCLE_1)
	v_dual_add_f32 v3, v3, v9 :: v_dual_add_f32 v4, v4, v10
	s_add_i32 s14, s14, -1
	s_cmp_lg_u32 s14, 0
	ds_bpermute_b32 v3, v15, v3
	ds_bpermute_b32 v4, v15, v4
	s_waitcnt lgkmcnt(1)
	v_cndmask_b32_e64 v3, v3, v9, s7
	s_waitcnt lgkmcnt(0)
	v_cndmask_b32_e64 v4, v4, v10, s7
	s_delay_alu instid0(VALU_DEP_2) | instskip(NEXT) | instid1(VALU_DEP_2)
	v_cndmask_b32_e64 v9, v3, s12, s8
	v_cndmask_b32_e64 v10, v4, s13, s8
	s_delay_alu instid0(VALU_DEP_1) | instskip(NEXT) | instid1(VALU_DEP_1)
	v_dual_add_f32 v11, v5, v9 :: v_dual_add_f32 v12, v6, v10
	v_dual_add_f32 v5, v7, v11 :: v_dual_add_f32 v6, v8, v12
	s_delay_alu instid0(VALU_DEP_1)
	v_dual_add_f32 v3, v1, v5 :: v_dual_add_f32 v4, v2, v6
	s_cbranch_scc0 .LBB211_23
; %bb.22:                               ;   in Loop: Header=BB211_1 Depth=1
	v_dual_mov_b32 v2, v6 :: v_dual_mov_b32 v1, v5
	v_dual_mov_b32 v8, v12 :: v_dual_mov_b32 v7, v11
	;; [unrolled: 1-line block ×3, first 2 shown]
	s_branch .LBB211_1
.LBB211_23:
	v_add_co_u32 v0, vcc_lo, s18, v13
	v_add_co_ci_u32_e32 v1, vcc_lo, s19, v14, vcc_lo
	s_delay_alu instid0(VALU_DEP_3)
	v_dual_mov_b32 v7, v3 :: v_dual_mov_b32 v8, v4
	s_clause 0x1
	global_store_b128 v[0:1], v[9:12], off
	global_store_b128 v[0:1], v[5:8], off offset:16
	s_nop 0
	s_sendmsg sendmsg(MSG_DEALLOC_VGPRS)
	s_endpgm
	.section	.rodata,"a",@progbits
	.p2align	6, 0x0
	.amdhsa_kernel _Z6kernelI14exclusive_scanILN6hipcub18BlockScanAlgorithmE0EEN15benchmark_utils11custom_typeIffEELj256ELj4ELj100EEvPKT0_PS7_S7_
		.amdhsa_group_segment_fixed_size 64
		.amdhsa_private_segment_fixed_size 0
		.amdhsa_kernarg_size 280
		.amdhsa_user_sgpr_count 15
		.amdhsa_user_sgpr_dispatch_ptr 0
		.amdhsa_user_sgpr_queue_ptr 0
		.amdhsa_user_sgpr_kernarg_segment_ptr 1
		.amdhsa_user_sgpr_dispatch_id 0
		.amdhsa_user_sgpr_private_segment_size 0
		.amdhsa_wavefront_size32 1
		.amdhsa_uses_dynamic_stack 0
		.amdhsa_enable_private_segment 0
		.amdhsa_system_sgpr_workgroup_id_x 1
		.amdhsa_system_sgpr_workgroup_id_y 0
		.amdhsa_system_sgpr_workgroup_id_z 0
		.amdhsa_system_sgpr_workgroup_info 0
		.amdhsa_system_vgpr_workitem_id 0
		.amdhsa_next_free_vgpr 18
		.amdhsa_next_free_sgpr 20
		.amdhsa_reserve_vcc 1
		.amdhsa_float_round_mode_32 0
		.amdhsa_float_round_mode_16_64 0
		.amdhsa_float_denorm_mode_32 3
		.amdhsa_float_denorm_mode_16_64 3
		.amdhsa_dx10_clamp 1
		.amdhsa_ieee_mode 1
		.amdhsa_fp16_overflow 0
		.amdhsa_workgroup_processor_mode 1
		.amdhsa_memory_ordered 1
		.amdhsa_forward_progress 0
		.amdhsa_shared_vgpr_count 0
		.amdhsa_exception_fp_ieee_invalid_op 0
		.amdhsa_exception_fp_denorm_src 0
		.amdhsa_exception_fp_ieee_div_zero 0
		.amdhsa_exception_fp_ieee_overflow 0
		.amdhsa_exception_fp_ieee_underflow 0
		.amdhsa_exception_fp_ieee_inexact 0
		.amdhsa_exception_int_div_zero 0
	.end_amdhsa_kernel
	.section	.text._Z6kernelI14exclusive_scanILN6hipcub18BlockScanAlgorithmE0EEN15benchmark_utils11custom_typeIffEELj256ELj4ELj100EEvPKT0_PS7_S7_,"axG",@progbits,_Z6kernelI14exclusive_scanILN6hipcub18BlockScanAlgorithmE0EEN15benchmark_utils11custom_typeIffEELj256ELj4ELj100EEvPKT0_PS7_S7_,comdat
.Lfunc_end211:
	.size	_Z6kernelI14exclusive_scanILN6hipcub18BlockScanAlgorithmE0EEN15benchmark_utils11custom_typeIffEELj256ELj4ELj100EEvPKT0_PS7_S7_, .Lfunc_end211-_Z6kernelI14exclusive_scanILN6hipcub18BlockScanAlgorithmE0EEN15benchmark_utils11custom_typeIffEELj256ELj4ELj100EEvPKT0_PS7_S7_
                                        ; -- End function
	.section	.AMDGPU.csdata,"",@progbits
; Kernel info:
; codeLenInByte = 968
; NumSgprs: 22
; NumVgprs: 18
; ScratchSize: 0
; MemoryBound: 0
; FloatMode: 240
; IeeeMode: 1
; LDSByteSize: 64 bytes/workgroup (compile time only)
; SGPRBlocks: 2
; VGPRBlocks: 2
; NumSGPRsForWavesPerEU: 22
; NumVGPRsForWavesPerEU: 18
; Occupancy: 16
; WaveLimiterHint : 0
; COMPUTE_PGM_RSRC2:SCRATCH_EN: 0
; COMPUTE_PGM_RSRC2:USER_SGPR: 15
; COMPUTE_PGM_RSRC2:TRAP_HANDLER: 0
; COMPUTE_PGM_RSRC2:TGID_X_EN: 1
; COMPUTE_PGM_RSRC2:TGID_Y_EN: 0
; COMPUTE_PGM_RSRC2:TGID_Z_EN: 0
; COMPUTE_PGM_RSRC2:TIDIG_COMP_CNT: 0
	.section	.text._Z6kernelI14exclusive_scanILN6hipcub18BlockScanAlgorithmE0EEN15benchmark_utils11custom_typeIffEELj256ELj8ELj100EEvPKT0_PS7_S7_,"axG",@progbits,_Z6kernelI14exclusive_scanILN6hipcub18BlockScanAlgorithmE0EEN15benchmark_utils11custom_typeIffEELj256ELj8ELj100EEvPKT0_PS7_S7_,comdat
	.protected	_Z6kernelI14exclusive_scanILN6hipcub18BlockScanAlgorithmE0EEN15benchmark_utils11custom_typeIffEELj256ELj8ELj100EEvPKT0_PS7_S7_ ; -- Begin function _Z6kernelI14exclusive_scanILN6hipcub18BlockScanAlgorithmE0EEN15benchmark_utils11custom_typeIffEELj256ELj8ELj100EEvPKT0_PS7_S7_
	.globl	_Z6kernelI14exclusive_scanILN6hipcub18BlockScanAlgorithmE0EEN15benchmark_utils11custom_typeIffEELj256ELj8ELj100EEvPKT0_PS7_S7_
	.p2align	8
	.type	_Z6kernelI14exclusive_scanILN6hipcub18BlockScanAlgorithmE0EEN15benchmark_utils11custom_typeIffEELj256ELj8ELj100EEvPKT0_PS7_S7_,@function
_Z6kernelI14exclusive_scanILN6hipcub18BlockScanAlgorithmE0EEN15benchmark_utils11custom_typeIffEELj256ELj8ELj100EEvPKT0_PS7_S7_: ; @_Z6kernelI14exclusive_scanILN6hipcub18BlockScanAlgorithmE0EEN15benchmark_utils11custom_typeIffEELj256ELj8ELj100EEvPKT0_PS7_S7_
; %bb.0:
	s_clause 0x1
	s_load_b32 s2, s[0:1], 0x24
	s_load_b128 s[16:19], s[0:1], 0x0
	v_mbcnt_lo_u32_b32 v17, -1, 0
	v_mov_b32_e32 v2, 0
	s_load_b64 s[12:13], s[0:1], 0x10
	v_or_b32_e32 v23, 31, v0
	v_cmp_gt_u32_e64 s5, 8, v0
	v_and_b32_e32 v19, 16, v17
	v_add_nc_u32_e32 v20, -1, v17
	v_and_b32_e32 v18, 15, v17
	v_cmp_lt_u32_e64 s6, 31, v0
	v_cmp_eq_u32_e64 s7, 0, v17
	v_cmp_ne_u32_e64 s3, 0, v19
	v_cmp_gt_i32_e64 s4, 0, v20
	v_cmp_lt_u32_e64 s0, 1, v18
	v_cmp_lt_u32_e64 s1, 3, v18
	v_lshrrev_b32_e32 v19, 2, v0
	v_cmp_eq_u32_e64 s8, 0, v0
	s_movk_i32 s14, 0x64
	s_waitcnt lgkmcnt(0)
	s_and_b32 s2, s2, 0xffff
	v_and_b32_e32 v24, 56, v19
	s_mul_i32 s15, s15, s2
	v_cmp_lt_u32_e64 s2, 7, v18
	v_add_lshl_u32 v1, s15, v0, 3
	s_delay_alu instid0(VALU_DEP_3) | instskip(NEXT) | instid1(VALU_DEP_2)
	v_add_nc_u32_e32 v25, -8, v24
	v_lshlrev_b64 v[21:22], 3, v[1:2]
	s_delay_alu instid0(VALU_DEP_1) | instskip(NEXT) | instid1(VALU_DEP_2)
	v_add_co_u32 v1, vcc_lo, s16, v21
	v_add_co_ci_u32_e32 v2, vcc_lo, s17, v22, vcc_lo
	v_cmp_ne_u32_e32 vcc_lo, 0, v18
	v_cndmask_b32_e64 v18, v20, v17, s4
	v_cmp_eq_u32_e64 s4, v23, v0
	s_clause 0x3
	global_load_b128 v[13:16], v[1:2], off
	global_load_b128 v[9:12], v[1:2], off offset:16
	global_load_b128 v[5:8], v[1:2], off offset:32
	;; [unrolled: 1-line block ×3, first 2 shown]
	v_lshlrev_b32_e32 v0, 3, v0
	v_lshlrev_b32_e32 v23, 2, v18
	v_and_b32_e32 v18, 7, v17
	s_delay_alu instid0(VALU_DEP_1)
	v_cmp_ne_u32_e64 s9, 0, v18
	v_cmp_lt_u32_e64 s10, 1, v18
	v_cmp_lt_u32_e64 s11, 3, v18
.LBB212_1:                              ; =>This Inner Loop Header: Depth=1
	s_waitcnt vmcnt(3)
	s_delay_alu instid0(VALU_DEP_1) | instskip(SKIP_1) | instid1(VALU_DEP_1)
	v_dual_add_f32 v17, v15, v13 :: v_dual_add_f32 v18, v16, v14
	s_waitcnt vmcnt(2)
	v_dual_add_f32 v17, v9, v17 :: v_dual_add_f32 v18, v10, v18
	s_delay_alu instid0(VALU_DEP_1) | instskip(SKIP_1) | instid1(VALU_DEP_1)
	v_dual_add_f32 v17, v11, v17 :: v_dual_add_f32 v18, v12, v18
	s_waitcnt vmcnt(1)
	v_dual_add_f32 v17, v5, v17 :: v_dual_add_f32 v18, v6, v18
	;; [unrolled: 4-line block ×3, first 2 shown]
	s_delay_alu instid0(VALU_DEP_1) | instskip(NEXT) | instid1(VALU_DEP_1)
	v_dual_add_f32 v3, v3, v17 :: v_dual_add_f32 v4, v4, v18
	v_mov_b32_dpp v17, v3 row_shr:1 row_mask:0xf bank_mask:0xf
	s_delay_alu instid0(VALU_DEP_2)
	v_mov_b32_dpp v18, v4 row_shr:1 row_mask:0xf bank_mask:0xf
	s_and_saveexec_b32 s15, vcc_lo
; %bb.2:                                ;   in Loop: Header=BB212_1 Depth=1
	s_delay_alu instid0(VALU_DEP_1)
	v_dual_add_f32 v4, v4, v18 :: v_dual_add_f32 v3, v3, v17
; %bb.3:                                ;   in Loop: Header=BB212_1 Depth=1
	s_or_b32 exec_lo, exec_lo, s15
	s_delay_alu instid0(VALU_DEP_1) | instskip(NEXT) | instid1(VALU_DEP_2)
	v_mov_b32_dpp v17, v3 row_shr:2 row_mask:0xf bank_mask:0xf
	v_mov_b32_dpp v18, v4 row_shr:2 row_mask:0xf bank_mask:0xf
	s_and_saveexec_b32 s15, s0
; %bb.4:                                ;   in Loop: Header=BB212_1 Depth=1
	s_delay_alu instid0(VALU_DEP_1)
	v_dual_add_f32 v4, v4, v18 :: v_dual_add_f32 v3, v3, v17
; %bb.5:                                ;   in Loop: Header=BB212_1 Depth=1
	s_or_b32 exec_lo, exec_lo, s15
	s_delay_alu instid0(VALU_DEP_1) | instskip(NEXT) | instid1(VALU_DEP_2)
	v_mov_b32_dpp v17, v3 row_shr:4 row_mask:0xf bank_mask:0xf
	v_mov_b32_dpp v18, v4 row_shr:4 row_mask:0xf bank_mask:0xf
	s_and_saveexec_b32 s15, s1
	;; [unrolled: 9-line block ×3, first 2 shown]
; %bb.8:                                ;   in Loop: Header=BB212_1 Depth=1
	s_delay_alu instid0(VALU_DEP_1)
	v_dual_add_f32 v4, v4, v18 :: v_dual_add_f32 v3, v3, v17
; %bb.9:                                ;   in Loop: Header=BB212_1 Depth=1
	s_or_b32 exec_lo, exec_lo, s15
	ds_swizzle_b32 v18, v3 offset:swizzle(BROADCAST,32,15)
	ds_swizzle_b32 v17, v4 offset:swizzle(BROADCAST,32,15)
	s_and_saveexec_b32 s15, s3
	s_cbranch_execz .LBB212_11
; %bb.10:                               ;   in Loop: Header=BB212_1 Depth=1
	s_waitcnt lgkmcnt(0)
	v_dual_add_f32 v3, v3, v18 :: v_dual_add_f32 v4, v4, v17
.LBB212_11:                             ;   in Loop: Header=BB212_1 Depth=1
	s_or_b32 exec_lo, exec_lo, s15
	s_and_saveexec_b32 s15, s4
	s_cbranch_execz .LBB212_13
; %bb.12:                               ;   in Loop: Header=BB212_1 Depth=1
	ds_store_b64 v24, v[3:4]
.LBB212_13:                             ;   in Loop: Header=BB212_1 Depth=1
	s_or_b32 exec_lo, exec_lo, s15
	s_waitcnt lgkmcnt(0)
	s_barrier
	buffer_gl0_inv
	s_and_saveexec_b32 s15, s5
	s_cbranch_execz .LBB212_19
; %bb.14:                               ;   in Loop: Header=BB212_1 Depth=1
	ds_load_b64 v[17:18], v0
	s_waitcnt lgkmcnt(0)
	v_mov_b32_dpp v19, v17 row_shr:1 row_mask:0xf bank_mask:0xf
	v_mov_b32_dpp v20, v18 row_shr:1 row_mask:0xf bank_mask:0xf
	s_and_saveexec_b32 s16, s9
; %bb.15:                               ;   in Loop: Header=BB212_1 Depth=1
	s_delay_alu instid0(VALU_DEP_1)
	v_dual_add_f32 v18, v18, v20 :: v_dual_add_f32 v17, v17, v19
; %bb.16:                               ;   in Loop: Header=BB212_1 Depth=1
	s_or_b32 exec_lo, exec_lo, s16
	s_delay_alu instid0(VALU_DEP_1) | instskip(NEXT) | instid1(VALU_DEP_2)
	v_mov_b32_dpp v19, v17 row_shr:2 row_mask:0xf bank_mask:0xf
	v_mov_b32_dpp v20, v18 row_shr:2 row_mask:0xf bank_mask:0xf
	s_and_saveexec_b32 s16, s10
; %bb.17:                               ;   in Loop: Header=BB212_1 Depth=1
	s_delay_alu instid0(VALU_DEP_1)
	v_dual_add_f32 v18, v18, v20 :: v_dual_add_f32 v17, v17, v19
; %bb.18:                               ;   in Loop: Header=BB212_1 Depth=1
	s_or_b32 exec_lo, exec_lo, s16
	s_delay_alu instid0(VALU_DEP_1) | instskip(NEXT) | instid1(VALU_DEP_2)
	v_mov_b32_dpp v19, v17 row_shr:4 row_mask:0xf bank_mask:0xf
	v_mov_b32_dpp v20, v18 row_shr:4 row_mask:0xf bank_mask:0xf
	s_delay_alu instid0(VALU_DEP_1) | instskip(NEXT) | instid1(VALU_DEP_1)
	v_dual_add_f32 v19, v17, v19 :: v_dual_add_f32 v20, v18, v20
	v_cndmask_b32_e64 v17, v17, v19, s11
	s_delay_alu instid0(VALU_DEP_2)
	v_cndmask_b32_e64 v18, v18, v20, s11
	ds_store_b64 v0, v[17:18]
.LBB212_19:                             ;   in Loop: Header=BB212_1 Depth=1
	s_or_b32 exec_lo, exec_lo, s15
	v_dual_mov_b32 v17, s12 :: v_dual_mov_b32 v18, s13
	s_waitcnt lgkmcnt(0)
	s_barrier
	buffer_gl0_inv
	s_and_saveexec_b32 s15, s6
	s_cbranch_execz .LBB212_21
; %bb.20:                               ;   in Loop: Header=BB212_1 Depth=1
	ds_load_b64 v[17:18], v25
	s_waitcnt lgkmcnt(0)
	v_dual_add_f32 v17, s12, v17 :: v_dual_add_f32 v18, s13, v18
.LBB212_21:                             ;   in Loop: Header=BB212_1 Depth=1
	s_or_b32 exec_lo, exec_lo, s15
	s_delay_alu instid0(VALU_DEP_1) | instskip(SKIP_1) | instid1(SALU_CYCLE_1)
	v_dual_add_f32 v3, v3, v17 :: v_dual_add_f32 v4, v4, v18
	s_add_i32 s14, s14, -1
	s_cmp_lg_u32 s14, 0
	ds_bpermute_b32 v3, v23, v3
	ds_bpermute_b32 v4, v23, v4
	s_waitcnt lgkmcnt(1)
	v_cndmask_b32_e64 v3, v3, v17, s7
	s_waitcnt lgkmcnt(0)
	v_cndmask_b32_e64 v4, v4, v18, s7
	s_delay_alu instid0(VALU_DEP_2) | instskip(NEXT) | instid1(VALU_DEP_2)
	v_cndmask_b32_e64 v17, v3, s12, s8
	v_cndmask_b32_e64 v18, v4, s13, s8
	s_delay_alu instid0(VALU_DEP_1) | instskip(NEXT) | instid1(VALU_DEP_1)
	v_dual_add_f32 v19, v13, v17 :: v_dual_add_f32 v20, v14, v18
	v_dual_add_f32 v13, v15, v19 :: v_dual_add_f32 v14, v16, v20
	s_delay_alu instid0(VALU_DEP_1) | instskip(NEXT) | instid1(VALU_DEP_1)
	v_dual_add_f32 v15, v9, v13 :: v_dual_add_f32 v16, v10, v14
	v_dual_add_f32 v9, v11, v15 :: v_dual_add_f32 v10, v12, v16
	;; [unrolled: 3-line block ×3, first 2 shown]
	s_delay_alu instid0(VALU_DEP_1)
	v_dual_add_f32 v3, v1, v5 :: v_dual_add_f32 v4, v2, v6
	s_cbranch_scc0 .LBB212_23
; %bb.22:                               ;   in Loop: Header=BB212_1 Depth=1
	v_dual_mov_b32 v2, v6 :: v_dual_mov_b32 v1, v5
	v_dual_mov_b32 v8, v12 :: v_dual_mov_b32 v7, v11
	;; [unrolled: 1-line block ×7, first 2 shown]
	s_branch .LBB212_1
.LBB212_23:
	v_add_co_u32 v0, vcc_lo, s18, v21
	v_add_co_ci_u32_e32 v1, vcc_lo, s19, v22, vcc_lo
	s_delay_alu instid0(VALU_DEP_3)
	v_dual_mov_b32 v7, v3 :: v_dual_mov_b32 v8, v4
	s_clause 0x3
	global_store_b128 v[0:1], v[17:20], off
	global_store_b128 v[0:1], v[13:16], off offset:16
	global_store_b128 v[0:1], v[9:12], off offset:32
	;; [unrolled: 1-line block ×3, first 2 shown]
	s_nop 0
	s_sendmsg sendmsg(MSG_DEALLOC_VGPRS)
	s_endpgm
	.section	.rodata,"a",@progbits
	.p2align	6, 0x0
	.amdhsa_kernel _Z6kernelI14exclusive_scanILN6hipcub18BlockScanAlgorithmE0EEN15benchmark_utils11custom_typeIffEELj256ELj8ELj100EEvPKT0_PS7_S7_
		.amdhsa_group_segment_fixed_size 64
		.amdhsa_private_segment_fixed_size 0
		.amdhsa_kernarg_size 280
		.amdhsa_user_sgpr_count 15
		.amdhsa_user_sgpr_dispatch_ptr 0
		.amdhsa_user_sgpr_queue_ptr 0
		.amdhsa_user_sgpr_kernarg_segment_ptr 1
		.amdhsa_user_sgpr_dispatch_id 0
		.amdhsa_user_sgpr_private_segment_size 0
		.amdhsa_wavefront_size32 1
		.amdhsa_uses_dynamic_stack 0
		.amdhsa_enable_private_segment 0
		.amdhsa_system_sgpr_workgroup_id_x 1
		.amdhsa_system_sgpr_workgroup_id_y 0
		.amdhsa_system_sgpr_workgroup_id_z 0
		.amdhsa_system_sgpr_workgroup_info 0
		.amdhsa_system_vgpr_workitem_id 0
		.amdhsa_next_free_vgpr 26
		.amdhsa_next_free_sgpr 20
		.amdhsa_reserve_vcc 1
		.amdhsa_float_round_mode_32 0
		.amdhsa_float_round_mode_16_64 0
		.amdhsa_float_denorm_mode_32 3
		.amdhsa_float_denorm_mode_16_64 3
		.amdhsa_dx10_clamp 1
		.amdhsa_ieee_mode 1
		.amdhsa_fp16_overflow 0
		.amdhsa_workgroup_processor_mode 1
		.amdhsa_memory_ordered 1
		.amdhsa_forward_progress 0
		.amdhsa_shared_vgpr_count 0
		.amdhsa_exception_fp_ieee_invalid_op 0
		.amdhsa_exception_fp_denorm_src 0
		.amdhsa_exception_fp_ieee_div_zero 0
		.amdhsa_exception_fp_ieee_overflow 0
		.amdhsa_exception_fp_ieee_underflow 0
		.amdhsa_exception_fp_ieee_inexact 0
		.amdhsa_exception_int_div_zero 0
	.end_amdhsa_kernel
	.section	.text._Z6kernelI14exclusive_scanILN6hipcub18BlockScanAlgorithmE0EEN15benchmark_utils11custom_typeIffEELj256ELj8ELj100EEvPKT0_PS7_S7_,"axG",@progbits,_Z6kernelI14exclusive_scanILN6hipcub18BlockScanAlgorithmE0EEN15benchmark_utils11custom_typeIffEELj256ELj8ELj100EEvPKT0_PS7_S7_,comdat
.Lfunc_end212:
	.size	_Z6kernelI14exclusive_scanILN6hipcub18BlockScanAlgorithmE0EEN15benchmark_utils11custom_typeIffEELj256ELj8ELj100EEvPKT0_PS7_S7_, .Lfunc_end212-_Z6kernelI14exclusive_scanILN6hipcub18BlockScanAlgorithmE0EEN15benchmark_utils11custom_typeIffEELj256ELj8ELj100EEvPKT0_PS7_S7_
                                        ; -- End function
	.section	.AMDGPU.csdata,"",@progbits
; Kernel info:
; codeLenInByte = 1120
; NumSgprs: 22
; NumVgprs: 26
; ScratchSize: 0
; MemoryBound: 0
; FloatMode: 240
; IeeeMode: 1
; LDSByteSize: 64 bytes/workgroup (compile time only)
; SGPRBlocks: 2
; VGPRBlocks: 3
; NumSGPRsForWavesPerEU: 22
; NumVGPRsForWavesPerEU: 26
; Occupancy: 16
; WaveLimiterHint : 0
; COMPUTE_PGM_RSRC2:SCRATCH_EN: 0
; COMPUTE_PGM_RSRC2:USER_SGPR: 15
; COMPUTE_PGM_RSRC2:TRAP_HANDLER: 0
; COMPUTE_PGM_RSRC2:TGID_X_EN: 1
; COMPUTE_PGM_RSRC2:TGID_Y_EN: 0
; COMPUTE_PGM_RSRC2:TGID_Z_EN: 0
; COMPUTE_PGM_RSRC2:TIDIG_COMP_CNT: 0
	.section	.text._Z6kernelI14exclusive_scanILN6hipcub18BlockScanAlgorithmE0EEN15benchmark_utils11custom_typeIddEELj256ELj1ELj100EEvPKT0_PS7_S7_,"axG",@progbits,_Z6kernelI14exclusive_scanILN6hipcub18BlockScanAlgorithmE0EEN15benchmark_utils11custom_typeIddEELj256ELj1ELj100EEvPKT0_PS7_S7_,comdat
	.protected	_Z6kernelI14exclusive_scanILN6hipcub18BlockScanAlgorithmE0EEN15benchmark_utils11custom_typeIddEELj256ELj1ELj100EEvPKT0_PS7_S7_ ; -- Begin function _Z6kernelI14exclusive_scanILN6hipcub18BlockScanAlgorithmE0EEN15benchmark_utils11custom_typeIddEELj256ELj1ELj100EEvPKT0_PS7_S7_
	.globl	_Z6kernelI14exclusive_scanILN6hipcub18BlockScanAlgorithmE0EEN15benchmark_utils11custom_typeIddEELj256ELj1ELj100EEvPKT0_PS7_S7_
	.p2align	8
	.type	_Z6kernelI14exclusive_scanILN6hipcub18BlockScanAlgorithmE0EEN15benchmark_utils11custom_typeIddEELj256ELj1ELj100EEvPKT0_PS7_S7_,@function
_Z6kernelI14exclusive_scanILN6hipcub18BlockScanAlgorithmE0EEN15benchmark_utils11custom_typeIddEELj256ELj1ELj100EEvPKT0_PS7_S7_: ; @_Z6kernelI14exclusive_scanILN6hipcub18BlockScanAlgorithmE0EEN15benchmark_utils11custom_typeIddEELj256ELj1ELj100EEvPKT0_PS7_S7_
; %bb.0:
	s_clause 0x1
	s_load_b32 s2, s[0:1], 0x2c
	s_load_b256 s[16:23], s[0:1], 0x0
	v_mbcnt_lo_u32_b32 v5, -1, 0
	v_or_b32_e32 v8, 31, v0
	v_cmp_lt_u32_e64 s6, 31, v0
	s_movk_i32 s11, 0x64
	s_delay_alu instid0(VALU_DEP_3)
	v_add_nc_u32_e32 v11, -1, v5
	v_and_b32_e32 v6, 15, v5
	v_cmp_eq_u32_e64 s4, v8, v0
	v_and_b32_e32 v8, 7, v5
	v_cmp_eq_u32_e64 s7, 0, v5
	v_cmp_gt_i32_e64 s5, 0, v11
	v_cmp_lt_u32_e64 s1, 3, v6
	v_and_b32_e32 v7, 16, v5
	v_cmp_ne_u32_e64 s8, 0, v8
	v_cmp_lt_u32_e64 s9, 1, v8
	v_cmp_lt_u32_e64 s10, 3, v8
	s_delay_alu instid0(VALU_DEP_4)
	v_cmp_ne_u32_e64 s3, 0, v7
	s_waitcnt lgkmcnt(0)
	s_and_b32 s0, s2, 0xffff
	v_lshrrev_b32_e32 v7, 1, v0
	v_mad_u64_u32 v[1:2], null, s15, s0, v[0:1]
	v_mov_b32_e32 v2, 0
	v_cmp_lt_u32_e64 s0, 1, v6
	v_cmp_lt_u32_e64 s2, 7, v6
	v_and_b32_e32 v16, 0x70, v7
	s_delay_alu instid0(VALU_DEP_4) | instskip(NEXT) | instid1(VALU_DEP_2)
	v_lshlrev_b64 v[9:10], 4, v[1:2]
	v_add_nc_u32_e32 v17, -16, v16
	s_delay_alu instid0(VALU_DEP_2) | instskip(NEXT) | instid1(VALU_DEP_3)
	v_add_co_u32 v1, vcc_lo, s16, v9
	v_add_co_ci_u32_e32 v2, vcc_lo, s17, v10, vcc_lo
	v_cmp_ne_u32_e32 vcc_lo, 0, v6
	v_cndmask_b32_e64 v6, v11, v5, s5
	v_cmp_gt_u32_e64 s5, 8, v0
	global_load_b128 v[1:4], v[1:2], off
	v_lshlrev_b32_e32 v0, 4, v0
	v_lshlrev_b32_e32 v15, 2, v6
	s_branch .LBB213_2
.LBB213_1:                              ;   in Loop: Header=BB213_2 Depth=1
	s_or_b32 exec_lo, exec_lo, s12
	s_delay_alu instid0(VALU_DEP_1) | instskip(NEXT) | instid1(VALU_DEP_3)
	v_add_f64 v[3:4], v[3:4], v[7:8]
	v_add_f64 v[1:2], v[1:2], v[5:6]
	s_add_i32 s11, s11, -1
	s_delay_alu instid0(SALU_CYCLE_1)
	s_cmp_lg_u32 s11, 0
	ds_bpermute_b32 v4, v15, v4
	ds_bpermute_b32 v3, v15, v3
	;; [unrolled: 1-line block ×4, first 2 shown]
	s_waitcnt lgkmcnt(3)
	v_cndmask_b32_e64 v4, v4, v8, s7
	s_waitcnt lgkmcnt(2)
	v_cndmask_b32_e64 v3, v3, v7, s7
	;; [unrolled: 2-line block ×4, first 2 shown]
	s_cbranch_scc0 .LBB213_24
.LBB213_2:                              ; =>This Inner Loop Header: Depth=1
	s_waitcnt vmcnt(0)
	s_delay_alu instid0(VALU_DEP_1)
	v_mov_b32_dpp v5, v1 row_shr:1 row_mask:0xf bank_mask:0xf
	v_mov_b32_dpp v6, v2 row_shr:1 row_mask:0xf bank_mask:0xf
	;; [unrolled: 1-line block ×4, first 2 shown]
	s_and_saveexec_b32 s12, vcc_lo
; %bb.3:                                ;   in Loop: Header=BB213_2 Depth=1
	s_delay_alu instid0(VALU_DEP_1)
	v_add_f64 v[3:4], v[3:4], v[7:8]
	v_add_f64 v[1:2], v[1:2], v[5:6]
; %bb.4:                                ;   in Loop: Header=BB213_2 Depth=1
	s_or_b32 exec_lo, exec_lo, s12
	s_delay_alu instid0(VALU_DEP_1) | instskip(NEXT) | instid1(VALU_DEP_2)
	v_mov_b32_dpp v5, v1 row_shr:2 row_mask:0xf bank_mask:0xf
	v_mov_b32_dpp v6, v2 row_shr:2 row_mask:0xf bank_mask:0xf
	s_delay_alu instid0(VALU_DEP_4)
	v_mov_b32_dpp v7, v3 row_shr:2 row_mask:0xf bank_mask:0xf
	v_mov_b32_dpp v8, v4 row_shr:2 row_mask:0xf bank_mask:0xf
	s_and_saveexec_b32 s12, s0
; %bb.5:                                ;   in Loop: Header=BB213_2 Depth=1
	s_delay_alu instid0(VALU_DEP_1)
	v_add_f64 v[3:4], v[3:4], v[7:8]
	v_add_f64 v[1:2], v[1:2], v[5:6]
; %bb.6:                                ;   in Loop: Header=BB213_2 Depth=1
	s_or_b32 exec_lo, exec_lo, s12
	s_delay_alu instid0(VALU_DEP_1) | instskip(NEXT) | instid1(VALU_DEP_2)
	v_mov_b32_dpp v5, v1 row_shr:4 row_mask:0xf bank_mask:0xf
	v_mov_b32_dpp v6, v2 row_shr:4 row_mask:0xf bank_mask:0xf
	s_delay_alu instid0(VALU_DEP_4)
	v_mov_b32_dpp v7, v3 row_shr:4 row_mask:0xf bank_mask:0xf
	v_mov_b32_dpp v8, v4 row_shr:4 row_mask:0xf bank_mask:0xf
	s_and_saveexec_b32 s12, s1
	;; [unrolled: 13-line block ×3, first 2 shown]
; %bb.9:                                ;   in Loop: Header=BB213_2 Depth=1
	s_delay_alu instid0(VALU_DEP_1)
	v_add_f64 v[3:4], v[3:4], v[7:8]
	v_add_f64 v[1:2], v[1:2], v[5:6]
; %bb.10:                               ;   in Loop: Header=BB213_2 Depth=1
	s_or_b32 exec_lo, exec_lo, s12
	ds_swizzle_b32 v5, v1 offset:swizzle(BROADCAST,32,15)
	ds_swizzle_b32 v6, v2 offset:swizzle(BROADCAST,32,15)
	;; [unrolled: 1-line block ×4, first 2 shown]
	s_and_saveexec_b32 s12, s3
	s_cbranch_execz .LBB213_12
; %bb.11:                               ;   in Loop: Header=BB213_2 Depth=1
	s_waitcnt lgkmcnt(0)
	v_add_f64 v[3:4], v[3:4], v[7:8]
	v_add_f64 v[1:2], v[1:2], v[5:6]
.LBB213_12:                             ;   in Loop: Header=BB213_2 Depth=1
	s_or_b32 exec_lo, exec_lo, s12
	s_and_saveexec_b32 s12, s4
	s_cbranch_execz .LBB213_14
; %bb.13:                               ;   in Loop: Header=BB213_2 Depth=1
	ds_store_2addr_b64 v16, v[1:2], v[3:4] offset1:1
.LBB213_14:                             ;   in Loop: Header=BB213_2 Depth=1
	s_or_b32 exec_lo, exec_lo, s12
	s_waitcnt lgkmcnt(0)
	s_barrier
	buffer_gl0_inv
	s_and_saveexec_b32 s12, s5
	s_cbranch_execz .LBB213_22
; %bb.15:                               ;   in Loop: Header=BB213_2 Depth=1
	ds_load_2addr_b64 v[5:8], v0 offset1:1
	s_waitcnt lgkmcnt(0)
	v_mov_b32_dpp v11, v5 row_shr:1 row_mask:0xf bank_mask:0xf
	v_mov_b32_dpp v12, v6 row_shr:1 row_mask:0xf bank_mask:0xf
	;; [unrolled: 1-line block ×4, first 2 shown]
	s_and_saveexec_b32 s13, s8
; %bb.16:                               ;   in Loop: Header=BB213_2 Depth=1
	s_delay_alu instid0(VALU_DEP_1)
	v_add_f64 v[7:8], v[7:8], v[13:14]
	v_add_f64 v[5:6], v[5:6], v[11:12]
; %bb.17:                               ;   in Loop: Header=BB213_2 Depth=1
	s_or_b32 exec_lo, exec_lo, s13
	s_delay_alu instid0(VALU_DEP_1) | instskip(NEXT) | instid1(VALU_DEP_2)
	v_mov_b32_dpp v11, v5 row_shr:2 row_mask:0xf bank_mask:0xf
	v_mov_b32_dpp v12, v6 row_shr:2 row_mask:0xf bank_mask:0xf
	s_delay_alu instid0(VALU_DEP_4)
	v_mov_b32_dpp v13, v7 row_shr:2 row_mask:0xf bank_mask:0xf
	v_mov_b32_dpp v14, v8 row_shr:2 row_mask:0xf bank_mask:0xf
	s_and_saveexec_b32 s13, s9
; %bb.18:                               ;   in Loop: Header=BB213_2 Depth=1
	s_delay_alu instid0(VALU_DEP_1)
	v_add_f64 v[7:8], v[7:8], v[13:14]
	v_add_f64 v[5:6], v[5:6], v[11:12]
; %bb.19:                               ;   in Loop: Header=BB213_2 Depth=1
	s_or_b32 exec_lo, exec_lo, s13
	s_delay_alu instid0(VALU_DEP_1) | instskip(NEXT) | instid1(VALU_DEP_2)
	v_mov_b32_dpp v11, v5 row_shr:4 row_mask:0xf bank_mask:0xf
	v_mov_b32_dpp v12, v6 row_shr:4 row_mask:0xf bank_mask:0xf
	s_delay_alu instid0(VALU_DEP_4)
	v_mov_b32_dpp v13, v7 row_shr:4 row_mask:0xf bank_mask:0xf
	v_mov_b32_dpp v14, v8 row_shr:4 row_mask:0xf bank_mask:0xf
	s_and_saveexec_b32 s13, s10
; %bb.20:                               ;   in Loop: Header=BB213_2 Depth=1
	s_delay_alu instid0(VALU_DEP_1)
	v_add_f64 v[7:8], v[7:8], v[13:14]
	v_add_f64 v[5:6], v[5:6], v[11:12]
; %bb.21:                               ;   in Loop: Header=BB213_2 Depth=1
	s_or_b32 exec_lo, exec_lo, s13
	ds_store_2addr_b64 v0, v[5:6], v[7:8] offset1:1
.LBB213_22:                             ;   in Loop: Header=BB213_2 Depth=1
	s_or_b32 exec_lo, exec_lo, s12
	v_dual_mov_b32 v5, s20 :: v_dual_mov_b32 v6, s21
	v_dual_mov_b32 v7, s22 :: v_dual_mov_b32 v8, s23
	s_waitcnt lgkmcnt(0)
	s_barrier
	buffer_gl0_inv
	s_and_saveexec_b32 s12, s6
	s_cbranch_execz .LBB213_1
; %bb.23:                               ;   in Loop: Header=BB213_2 Depth=1
	ds_load_2addr_b64 v[5:8], v17 offset1:1
	s_waitcnt lgkmcnt(0)
	v_add_f64 v[5:6], s[20:21], v[5:6]
	v_add_f64 v[7:8], s[22:23], v[7:8]
	s_branch .LBB213_1
.LBB213_24:
	v_add_co_u32 v5, vcc_lo, s18, v9
	v_add_co_ci_u32_e32 v6, vcc_lo, s19, v10, vcc_lo
	global_store_b128 v[5:6], v[1:4], off
	s_nop 0
	s_sendmsg sendmsg(MSG_DEALLOC_VGPRS)
	s_endpgm
	.section	.rodata,"a",@progbits
	.p2align	6, 0x0
	.amdhsa_kernel _Z6kernelI14exclusive_scanILN6hipcub18BlockScanAlgorithmE0EEN15benchmark_utils11custom_typeIddEELj256ELj1ELj100EEvPKT0_PS7_S7_
		.amdhsa_group_segment_fixed_size 128
		.amdhsa_private_segment_fixed_size 0
		.amdhsa_kernarg_size 288
		.amdhsa_user_sgpr_count 15
		.amdhsa_user_sgpr_dispatch_ptr 0
		.amdhsa_user_sgpr_queue_ptr 0
		.amdhsa_user_sgpr_kernarg_segment_ptr 1
		.amdhsa_user_sgpr_dispatch_id 0
		.amdhsa_user_sgpr_private_segment_size 0
		.amdhsa_wavefront_size32 1
		.amdhsa_uses_dynamic_stack 0
		.amdhsa_enable_private_segment 0
		.amdhsa_system_sgpr_workgroup_id_x 1
		.amdhsa_system_sgpr_workgroup_id_y 0
		.amdhsa_system_sgpr_workgroup_id_z 0
		.amdhsa_system_sgpr_workgroup_info 0
		.amdhsa_system_vgpr_workitem_id 0
		.amdhsa_next_free_vgpr 18
		.amdhsa_next_free_sgpr 24
		.amdhsa_reserve_vcc 1
		.amdhsa_float_round_mode_32 0
		.amdhsa_float_round_mode_16_64 0
		.amdhsa_float_denorm_mode_32 3
		.amdhsa_float_denorm_mode_16_64 3
		.amdhsa_dx10_clamp 1
		.amdhsa_ieee_mode 1
		.amdhsa_fp16_overflow 0
		.amdhsa_workgroup_processor_mode 1
		.amdhsa_memory_ordered 1
		.amdhsa_forward_progress 0
		.amdhsa_shared_vgpr_count 0
		.amdhsa_exception_fp_ieee_invalid_op 0
		.amdhsa_exception_fp_denorm_src 0
		.amdhsa_exception_fp_ieee_div_zero 0
		.amdhsa_exception_fp_ieee_overflow 0
		.amdhsa_exception_fp_ieee_underflow 0
		.amdhsa_exception_fp_ieee_inexact 0
		.amdhsa_exception_int_div_zero 0
	.end_amdhsa_kernel
	.section	.text._Z6kernelI14exclusive_scanILN6hipcub18BlockScanAlgorithmE0EEN15benchmark_utils11custom_typeIddEELj256ELj1ELj100EEvPKT0_PS7_S7_,"axG",@progbits,_Z6kernelI14exclusive_scanILN6hipcub18BlockScanAlgorithmE0EEN15benchmark_utils11custom_typeIddEELj256ELj1ELj100EEvPKT0_PS7_S7_,comdat
.Lfunc_end213:
	.size	_Z6kernelI14exclusive_scanILN6hipcub18BlockScanAlgorithmE0EEN15benchmark_utils11custom_typeIddEELj256ELj1ELj100EEvPKT0_PS7_S7_, .Lfunc_end213-_Z6kernelI14exclusive_scanILN6hipcub18BlockScanAlgorithmE0EEN15benchmark_utils11custom_typeIddEELj256ELj1ELj100EEvPKT0_PS7_S7_
                                        ; -- End function
	.section	.AMDGPU.csdata,"",@progbits
; Kernel info:
; codeLenInByte = 1080
; NumSgprs: 26
; NumVgprs: 18
; ScratchSize: 0
; MemoryBound: 0
; FloatMode: 240
; IeeeMode: 1
; LDSByteSize: 128 bytes/workgroup (compile time only)
; SGPRBlocks: 3
; VGPRBlocks: 2
; NumSGPRsForWavesPerEU: 26
; NumVGPRsForWavesPerEU: 18
; Occupancy: 16
; WaveLimiterHint : 0
; COMPUTE_PGM_RSRC2:SCRATCH_EN: 0
; COMPUTE_PGM_RSRC2:USER_SGPR: 15
; COMPUTE_PGM_RSRC2:TRAP_HANDLER: 0
; COMPUTE_PGM_RSRC2:TGID_X_EN: 1
; COMPUTE_PGM_RSRC2:TGID_Y_EN: 0
; COMPUTE_PGM_RSRC2:TGID_Z_EN: 0
; COMPUTE_PGM_RSRC2:TIDIG_COMP_CNT: 0
	.section	.text._Z6kernelI14exclusive_scanILN6hipcub18BlockScanAlgorithmE0EEN15benchmark_utils11custom_typeIddEELj256ELj4ELj100EEvPKT0_PS7_S7_,"axG",@progbits,_Z6kernelI14exclusive_scanILN6hipcub18BlockScanAlgorithmE0EEN15benchmark_utils11custom_typeIddEELj256ELj4ELj100EEvPKT0_PS7_S7_,comdat
	.protected	_Z6kernelI14exclusive_scanILN6hipcub18BlockScanAlgorithmE0EEN15benchmark_utils11custom_typeIddEELj256ELj4ELj100EEvPKT0_PS7_S7_ ; -- Begin function _Z6kernelI14exclusive_scanILN6hipcub18BlockScanAlgorithmE0EEN15benchmark_utils11custom_typeIddEELj256ELj4ELj100EEvPKT0_PS7_S7_
	.globl	_Z6kernelI14exclusive_scanILN6hipcub18BlockScanAlgorithmE0EEN15benchmark_utils11custom_typeIddEELj256ELj4ELj100EEvPKT0_PS7_S7_
	.p2align	8
	.type	_Z6kernelI14exclusive_scanILN6hipcub18BlockScanAlgorithmE0EEN15benchmark_utils11custom_typeIddEELj256ELj4ELj100EEvPKT0_PS7_S7_,@function
_Z6kernelI14exclusive_scanILN6hipcub18BlockScanAlgorithmE0EEN15benchmark_utils11custom_typeIddEELj256ELj4ELj100EEvPKT0_PS7_S7_: ; @_Z6kernelI14exclusive_scanILN6hipcub18BlockScanAlgorithmE0EEN15benchmark_utils11custom_typeIddEELj256ELj4ELj100EEvPKT0_PS7_S7_
; %bb.0:
	s_clause 0x1
	s_load_b32 s2, s[0:1], 0x2c
	s_load_b256 s[16:23], s[0:1], 0x0
	v_mbcnt_lo_u32_b32 v17, -1, 0
	v_mov_b32_e32 v2, 0
	v_or_b32_e32 v23, 31, v0
	v_cmp_gt_u32_e64 s5, 8, v0
	v_cmp_lt_u32_e64 s6, 31, v0
	v_and_b32_e32 v19, 16, v17
	v_add_nc_u32_e32 v20, -1, v17
	v_and_b32_e32 v18, 15, v17
	v_cmp_eq_u32_e64 s7, 0, v17
	v_cmp_eq_u32_e64 s8, 0, v0
	v_cmp_ne_u32_e64 s3, 0, v19
	v_cmp_gt_i32_e64 s4, 0, v20
	v_cmp_lt_u32_e64 s1, 3, v18
	v_lshrrev_b32_e32 v19, 1, v0
	s_movk_i32 s12, 0x64
	s_delay_alu instid0(VALU_DEP_1)
	v_and_b32_e32 v28, 0x70, v19
	s_waitcnt lgkmcnt(0)
	s_and_b32 s0, s2, 0xffff
	v_cmp_lt_u32_e64 s2, 7, v18
	s_mul_i32 s15, s15, s0
	v_cmp_lt_u32_e64 s0, 1, v18
	v_add_lshl_u32 v1, s15, v0, 2
	v_add_nc_u32_e32 v29, -16, v28
	s_delay_alu instid0(VALU_DEP_2) | instskip(NEXT) | instid1(VALU_DEP_1)
	v_lshlrev_b64 v[21:22], 4, v[1:2]
	v_add_co_u32 v9, vcc_lo, s16, v21
	s_delay_alu instid0(VALU_DEP_2)
	v_add_co_ci_u32_e32 v10, vcc_lo, s17, v22, vcc_lo
	v_cmp_ne_u32_e32 vcc_lo, 0, v18
	v_cndmask_b32_e64 v18, v20, v17, s4
	s_clause 0x3
	global_load_b128 v[13:16], v[9:10], off offset:48
	global_load_b128 v[1:4], v[9:10], off offset:32
	;; [unrolled: 1-line block ×3, first 2 shown]
	global_load_b128 v[9:12], v[9:10], off
	v_cmp_eq_u32_e64 s4, v23, v0
	v_lshlrev_b32_e32 v0, 4, v0
	v_lshlrev_b32_e32 v27, 2, v18
	v_and_b32_e32 v18, 7, v17
	s_delay_alu instid0(VALU_DEP_1)
	v_cmp_ne_u32_e64 s9, 0, v18
	v_cmp_lt_u32_e64 s10, 1, v18
	v_cmp_lt_u32_e64 s11, 3, v18
.LBB214_1:                              ; =>This Inner Loop Header: Depth=1
	s_waitcnt vmcnt(0)
	s_delay_alu instid0(VALU_DEP_1) | instskip(SKIP_1) | instid1(VALU_DEP_2)
	v_add_f64 v[17:18], v[5:6], v[9:10]
	v_add_f64 v[19:20], v[7:8], v[11:12]
	;; [unrolled: 1-line block ×3, first 2 shown]
	s_delay_alu instid0(VALU_DEP_2) | instskip(NEXT) | instid1(VALU_DEP_2)
	v_add_f64 v[19:20], v[3:4], v[19:20]
	v_add_f64 v[17:18], v[13:14], v[17:18]
	s_delay_alu instid0(VALU_DEP_2) | instskip(NEXT) | instid1(VALU_DEP_2)
	v_add_f64 v[19:20], v[15:16], v[19:20]
	v_mov_b32_dpp v13, v17 row_shr:1 row_mask:0xf bank_mask:0xf
	s_delay_alu instid0(VALU_DEP_3) | instskip(NEXT) | instid1(VALU_DEP_3)
	v_mov_b32_dpp v14, v18 row_shr:1 row_mask:0xf bank_mask:0xf
	v_mov_b32_dpp v15, v19 row_shr:1 row_mask:0xf bank_mask:0xf
	s_delay_alu instid0(VALU_DEP_4)
	v_mov_b32_dpp v16, v20 row_shr:1 row_mask:0xf bank_mask:0xf
	s_and_saveexec_b32 s13, vcc_lo
; %bb.2:                                ;   in Loop: Header=BB214_1 Depth=1
	s_delay_alu instid0(VALU_DEP_1)
	v_add_f64 v[19:20], v[19:20], v[15:16]
	v_add_f64 v[17:18], v[17:18], v[13:14]
; %bb.3:                                ;   in Loop: Header=BB214_1 Depth=1
	s_or_b32 exec_lo, exec_lo, s13
	s_delay_alu instid0(VALU_DEP_1) | instskip(NEXT) | instid1(VALU_DEP_2)
	v_mov_b32_dpp v13, v17 row_shr:2 row_mask:0xf bank_mask:0xf
	v_mov_b32_dpp v14, v18 row_shr:2 row_mask:0xf bank_mask:0xf
	s_delay_alu instid0(VALU_DEP_4)
	v_mov_b32_dpp v15, v19 row_shr:2 row_mask:0xf bank_mask:0xf
	v_mov_b32_dpp v16, v20 row_shr:2 row_mask:0xf bank_mask:0xf
	s_and_saveexec_b32 s13, s0
; %bb.4:                                ;   in Loop: Header=BB214_1 Depth=1
	s_delay_alu instid0(VALU_DEP_1)
	v_add_f64 v[19:20], v[19:20], v[15:16]
	v_add_f64 v[17:18], v[17:18], v[13:14]
; %bb.5:                                ;   in Loop: Header=BB214_1 Depth=1
	s_or_b32 exec_lo, exec_lo, s13
	s_delay_alu instid0(VALU_DEP_1) | instskip(NEXT) | instid1(VALU_DEP_2)
	v_mov_b32_dpp v13, v17 row_shr:4 row_mask:0xf bank_mask:0xf
	v_mov_b32_dpp v14, v18 row_shr:4 row_mask:0xf bank_mask:0xf
	s_delay_alu instid0(VALU_DEP_4)
	v_mov_b32_dpp v15, v19 row_shr:4 row_mask:0xf bank_mask:0xf
	v_mov_b32_dpp v16, v20 row_shr:4 row_mask:0xf bank_mask:0xf
	s_and_saveexec_b32 s13, s1
	;; [unrolled: 13-line block ×3, first 2 shown]
; %bb.8:                                ;   in Loop: Header=BB214_1 Depth=1
	s_delay_alu instid0(VALU_DEP_1)
	v_add_f64 v[19:20], v[19:20], v[15:16]
	v_add_f64 v[17:18], v[17:18], v[13:14]
; %bb.9:                                ;   in Loop: Header=BB214_1 Depth=1
	s_or_b32 exec_lo, exec_lo, s13
	ds_swizzle_b32 v13, v17 offset:swizzle(BROADCAST,32,15)
	ds_swizzle_b32 v14, v18 offset:swizzle(BROADCAST,32,15)
	;; [unrolled: 1-line block ×4, first 2 shown]
	s_and_saveexec_b32 s13, s3
	s_cbranch_execz .LBB214_11
; %bb.10:                               ;   in Loop: Header=BB214_1 Depth=1
	s_waitcnt lgkmcnt(0)
	v_add_f64 v[19:20], v[19:20], v[15:16]
	v_add_f64 v[17:18], v[17:18], v[13:14]
.LBB214_11:                             ;   in Loop: Header=BB214_1 Depth=1
	s_or_b32 exec_lo, exec_lo, s13
	s_and_saveexec_b32 s13, s4
	s_cbranch_execz .LBB214_13
; %bb.12:                               ;   in Loop: Header=BB214_1 Depth=1
	ds_store_2addr_b64 v28, v[17:18], v[19:20] offset1:1
.LBB214_13:                             ;   in Loop: Header=BB214_1 Depth=1
	s_or_b32 exec_lo, exec_lo, s13
	s_waitcnt lgkmcnt(0)
	s_barrier
	buffer_gl0_inv
	s_and_saveexec_b32 s13, s5
	s_cbranch_execz .LBB214_21
; %bb.14:                               ;   in Loop: Header=BB214_1 Depth=1
	ds_load_2addr_b64 v[13:16], v0 offset1:1
	s_waitcnt lgkmcnt(0)
	v_mov_b32_dpp v23, v13 row_shr:1 row_mask:0xf bank_mask:0xf
	v_mov_b32_dpp v24, v14 row_shr:1 row_mask:0xf bank_mask:0xf
	;; [unrolled: 1-line block ×4, first 2 shown]
	s_and_saveexec_b32 s14, s9
; %bb.15:                               ;   in Loop: Header=BB214_1 Depth=1
	s_delay_alu instid0(VALU_DEP_1)
	v_add_f64 v[15:16], v[15:16], v[25:26]
	v_add_f64 v[13:14], v[13:14], v[23:24]
; %bb.16:                               ;   in Loop: Header=BB214_1 Depth=1
	s_or_b32 exec_lo, exec_lo, s14
	s_delay_alu instid0(VALU_DEP_1) | instskip(NEXT) | instid1(VALU_DEP_2)
	v_mov_b32_dpp v23, v13 row_shr:2 row_mask:0xf bank_mask:0xf
	v_mov_b32_dpp v24, v14 row_shr:2 row_mask:0xf bank_mask:0xf
	s_delay_alu instid0(VALU_DEP_4)
	v_mov_b32_dpp v25, v15 row_shr:2 row_mask:0xf bank_mask:0xf
	v_mov_b32_dpp v26, v16 row_shr:2 row_mask:0xf bank_mask:0xf
	s_and_saveexec_b32 s14, s10
; %bb.17:                               ;   in Loop: Header=BB214_1 Depth=1
	s_delay_alu instid0(VALU_DEP_1)
	v_add_f64 v[15:16], v[15:16], v[25:26]
	v_add_f64 v[13:14], v[13:14], v[23:24]
; %bb.18:                               ;   in Loop: Header=BB214_1 Depth=1
	s_or_b32 exec_lo, exec_lo, s14
	s_delay_alu instid0(VALU_DEP_1) | instskip(NEXT) | instid1(VALU_DEP_2)
	v_mov_b32_dpp v23, v13 row_shr:4 row_mask:0xf bank_mask:0xf
	v_mov_b32_dpp v24, v14 row_shr:4 row_mask:0xf bank_mask:0xf
	s_delay_alu instid0(VALU_DEP_4)
	v_mov_b32_dpp v25, v15 row_shr:4 row_mask:0xf bank_mask:0xf
	v_mov_b32_dpp v26, v16 row_shr:4 row_mask:0xf bank_mask:0xf
	s_and_saveexec_b32 s14, s11
; %bb.19:                               ;   in Loop: Header=BB214_1 Depth=1
	s_delay_alu instid0(VALU_DEP_1)
	v_add_f64 v[15:16], v[15:16], v[25:26]
	v_add_f64 v[13:14], v[13:14], v[23:24]
; %bb.20:                               ;   in Loop: Header=BB214_1 Depth=1
	s_or_b32 exec_lo, exec_lo, s14
	ds_store_2addr_b64 v0, v[13:14], v[15:16] offset1:1
.LBB214_21:                             ;   in Loop: Header=BB214_1 Depth=1
	s_or_b32 exec_lo, exec_lo, s13
	v_dual_mov_b32 v13, s20 :: v_dual_mov_b32 v14, s21
	v_dual_mov_b32 v15, s22 :: v_dual_mov_b32 v16, s23
	s_waitcnt lgkmcnt(0)
	s_barrier
	buffer_gl0_inv
	s_and_saveexec_b32 s13, s6
	s_cbranch_execz .LBB214_23
; %bb.22:                               ;   in Loop: Header=BB214_1 Depth=1
	ds_load_2addr_b64 v[13:16], v29 offset1:1
	s_waitcnt lgkmcnt(0)
	v_add_f64 v[13:14], s[20:21], v[13:14]
	v_add_f64 v[15:16], s[22:23], v[15:16]
.LBB214_23:                             ;   in Loop: Header=BB214_1 Depth=1
	s_or_b32 exec_lo, exec_lo, s13
	s_delay_alu instid0(VALU_DEP_1) | instskip(NEXT) | instid1(VALU_DEP_3)
	v_add_f64 v[19:20], v[19:20], v[15:16]
	v_add_f64 v[17:18], v[17:18], v[13:14]
	s_add_i32 s12, s12, -1
	s_delay_alu instid0(SALU_CYCLE_1)
	s_cmp_lg_u32 s12, 0
	ds_bpermute_b32 v20, v27, v20
	ds_bpermute_b32 v18, v27, v18
	;; [unrolled: 1-line block ×4, first 2 shown]
	s_waitcnt lgkmcnt(3)
	v_cndmask_b32_e64 v16, v20, v16, s7
	s_waitcnt lgkmcnt(2)
	v_cndmask_b32_e64 v14, v18, v14, s7
	;; [unrolled: 2-line block ×4, first 2 shown]
	v_cndmask_b32_e64 v20, v16, s23, s8
	v_cndmask_b32_e64 v18, v14, s21, s8
	;; [unrolled: 1-line block ×3, first 2 shown]
	s_delay_alu instid0(VALU_DEP_4) | instskip(NEXT) | instid1(VALU_DEP_2)
	v_cndmask_b32_e64 v19, v15, s22, s8
	v_add_f64 v[9:10], v[9:10], v[17:18]
	s_delay_alu instid0(VALU_DEP_2) | instskip(NEXT) | instid1(VALU_DEP_2)
	v_add_f64 v[11:12], v[11:12], v[19:20]
	v_add_f64 v[5:6], v[5:6], v[9:10]
	s_delay_alu instid0(VALU_DEP_2) | instskip(NEXT) | instid1(VALU_DEP_2)
	v_add_f64 v[7:8], v[7:8], v[11:12]
	v_add_f64 v[13:14], v[1:2], v[5:6]
	s_delay_alu instid0(VALU_DEP_2)
	v_add_f64 v[15:16], v[3:4], v[7:8]
	s_cbranch_scc0 .LBB214_25
; %bb.24:                               ;   in Loop: Header=BB214_1 Depth=1
	v_dual_mov_b32 v3, v7 :: v_dual_mov_b32 v4, v8
	v_dual_mov_b32 v1, v5 :: v_dual_mov_b32 v2, v6
	;; [unrolled: 1-line block ×6, first 2 shown]
	s_branch .LBB214_1
.LBB214_25:
	v_add_co_u32 v0, vcc_lo, s18, v21
	v_add_co_ci_u32_e32 v1, vcc_lo, s19, v22, vcc_lo
	s_clause 0x3
	global_store_b128 v[0:1], v[17:20], off
	global_store_b128 v[0:1], v[9:12], off offset:16
	global_store_b128 v[0:1], v[5:8], off offset:32
	global_store_b128 v[0:1], v[13:16], off offset:48
	s_nop 0
	s_sendmsg sendmsg(MSG_DEALLOC_VGPRS)
	s_endpgm
	.section	.rodata,"a",@progbits
	.p2align	6, 0x0
	.amdhsa_kernel _Z6kernelI14exclusive_scanILN6hipcub18BlockScanAlgorithmE0EEN15benchmark_utils11custom_typeIddEELj256ELj4ELj100EEvPKT0_PS7_S7_
		.amdhsa_group_segment_fixed_size 128
		.amdhsa_private_segment_fixed_size 0
		.amdhsa_kernarg_size 288
		.amdhsa_user_sgpr_count 15
		.amdhsa_user_sgpr_dispatch_ptr 0
		.amdhsa_user_sgpr_queue_ptr 0
		.amdhsa_user_sgpr_kernarg_segment_ptr 1
		.amdhsa_user_sgpr_dispatch_id 0
		.amdhsa_user_sgpr_private_segment_size 0
		.amdhsa_wavefront_size32 1
		.amdhsa_uses_dynamic_stack 0
		.amdhsa_enable_private_segment 0
		.amdhsa_system_sgpr_workgroup_id_x 1
		.amdhsa_system_sgpr_workgroup_id_y 0
		.amdhsa_system_sgpr_workgroup_id_z 0
		.amdhsa_system_sgpr_workgroup_info 0
		.amdhsa_system_vgpr_workitem_id 0
		.amdhsa_next_free_vgpr 30
		.amdhsa_next_free_sgpr 24
		.amdhsa_reserve_vcc 1
		.amdhsa_float_round_mode_32 0
		.amdhsa_float_round_mode_16_64 0
		.amdhsa_float_denorm_mode_32 3
		.amdhsa_float_denorm_mode_16_64 3
		.amdhsa_dx10_clamp 1
		.amdhsa_ieee_mode 1
		.amdhsa_fp16_overflow 0
		.amdhsa_workgroup_processor_mode 1
		.amdhsa_memory_ordered 1
		.amdhsa_forward_progress 0
		.amdhsa_shared_vgpr_count 0
		.amdhsa_exception_fp_ieee_invalid_op 0
		.amdhsa_exception_fp_denorm_src 0
		.amdhsa_exception_fp_ieee_div_zero 0
		.amdhsa_exception_fp_ieee_overflow 0
		.amdhsa_exception_fp_ieee_underflow 0
		.amdhsa_exception_fp_ieee_inexact 0
		.amdhsa_exception_int_div_zero 0
	.end_amdhsa_kernel
	.section	.text._Z6kernelI14exclusive_scanILN6hipcub18BlockScanAlgorithmE0EEN15benchmark_utils11custom_typeIddEELj256ELj4ELj100EEvPKT0_PS7_S7_,"axG",@progbits,_Z6kernelI14exclusive_scanILN6hipcub18BlockScanAlgorithmE0EEN15benchmark_utils11custom_typeIddEELj256ELj4ELj100EEvPKT0_PS7_S7_,comdat
.Lfunc_end214:
	.size	_Z6kernelI14exclusive_scanILN6hipcub18BlockScanAlgorithmE0EEN15benchmark_utils11custom_typeIddEELj256ELj4ELj100EEvPKT0_PS7_S7_, .Lfunc_end214-_Z6kernelI14exclusive_scanILN6hipcub18BlockScanAlgorithmE0EEN15benchmark_utils11custom_typeIddEELj256ELj4ELj100EEvPKT0_PS7_S7_
                                        ; -- End function
	.section	.AMDGPU.csdata,"",@progbits
; Kernel info:
; codeLenInByte = 1352
; NumSgprs: 26
; NumVgprs: 30
; ScratchSize: 0
; MemoryBound: 0
; FloatMode: 240
; IeeeMode: 1
; LDSByteSize: 128 bytes/workgroup (compile time only)
; SGPRBlocks: 3
; VGPRBlocks: 3
; NumSGPRsForWavesPerEU: 26
; NumVGPRsForWavesPerEU: 30
; Occupancy: 16
; WaveLimiterHint : 0
; COMPUTE_PGM_RSRC2:SCRATCH_EN: 0
; COMPUTE_PGM_RSRC2:USER_SGPR: 15
; COMPUTE_PGM_RSRC2:TRAP_HANDLER: 0
; COMPUTE_PGM_RSRC2:TGID_X_EN: 1
; COMPUTE_PGM_RSRC2:TGID_Y_EN: 0
; COMPUTE_PGM_RSRC2:TGID_Z_EN: 0
; COMPUTE_PGM_RSRC2:TIDIG_COMP_CNT: 0
	.section	.text._Z6kernelI14exclusive_scanILN6hipcub18BlockScanAlgorithmE0EEN15benchmark_utils11custom_typeIddEELj256ELj8ELj100EEvPKT0_PS7_S7_,"axG",@progbits,_Z6kernelI14exclusive_scanILN6hipcub18BlockScanAlgorithmE0EEN15benchmark_utils11custom_typeIddEELj256ELj8ELj100EEvPKT0_PS7_S7_,comdat
	.protected	_Z6kernelI14exclusive_scanILN6hipcub18BlockScanAlgorithmE0EEN15benchmark_utils11custom_typeIddEELj256ELj8ELj100EEvPKT0_PS7_S7_ ; -- Begin function _Z6kernelI14exclusive_scanILN6hipcub18BlockScanAlgorithmE0EEN15benchmark_utils11custom_typeIddEELj256ELj8ELj100EEvPKT0_PS7_S7_
	.globl	_Z6kernelI14exclusive_scanILN6hipcub18BlockScanAlgorithmE0EEN15benchmark_utils11custom_typeIddEELj256ELj8ELj100EEvPKT0_PS7_S7_
	.p2align	8
	.type	_Z6kernelI14exclusive_scanILN6hipcub18BlockScanAlgorithmE0EEN15benchmark_utils11custom_typeIddEELj256ELj8ELj100EEvPKT0_PS7_S7_,@function
_Z6kernelI14exclusive_scanILN6hipcub18BlockScanAlgorithmE0EEN15benchmark_utils11custom_typeIddEELj256ELj8ELj100EEvPKT0_PS7_S7_: ; @_Z6kernelI14exclusive_scanILN6hipcub18BlockScanAlgorithmE0EEN15benchmark_utils11custom_typeIddEELj256ELj8ELj100EEvPKT0_PS7_S7_
; %bb.0:
	s_clause 0x1
	s_load_b32 s2, s[0:1], 0x2c
	s_load_b256 s[16:23], s[0:1], 0x0
	v_mbcnt_lo_u32_b32 v33, -1, 0
	v_mov_b32_e32 v2, 0
	v_or_b32_e32 v37, 31, v0
	v_cmp_gt_u32_e64 s5, 8, v0
	v_cmp_lt_u32_e64 s6, 31, v0
	v_and_b32_e32 v35, 16, v33
	v_add_nc_u32_e32 v36, -1, v33
	v_and_b32_e32 v34, 15, v33
	v_cmp_eq_u32_e64 s7, 0, v33
	v_cmp_eq_u32_e64 s8, 0, v0
	v_cmp_ne_u32_e64 s3, 0, v35
	v_cmp_gt_i32_e64 s4, 0, v36
	v_cmp_lt_u32_e64 s1, 3, v34
	v_lshrrev_b32_e32 v35, 1, v0
	v_lshlrev_b32_e32 v49, 4, v0
	s_movk_i32 s12, 0x64
	s_delay_alu instid0(VALU_DEP_2)
	v_and_b32_e32 v48, 0x70, v35
	s_waitcnt lgkmcnt(0)
	s_and_b32 s0, s2, 0xffff
	v_cmp_lt_u32_e64 s2, 7, v34
	s_mul_i32 s15, s15, s0
	v_cmp_lt_u32_e64 s0, 1, v34
	v_add_lshl_u32 v1, s15, v0, 3
	v_add_nc_u32_e32 v50, -16, v48
	s_delay_alu instid0(VALU_DEP_2) | instskip(NEXT) | instid1(VALU_DEP_1)
	v_lshlrev_b64 v[45:46], 4, v[1:2]
	v_add_co_u32 v25, vcc_lo, s16, v45
	s_delay_alu instid0(VALU_DEP_2)
	v_add_co_ci_u32_e32 v26, vcc_lo, s17, v46, vcc_lo
	v_cmp_ne_u32_e32 vcc_lo, 0, v34
	v_cndmask_b32_e64 v34, v36, v33, s4
	s_clause 0x7
	global_load_b128 v[1:4], v[25:26], off offset:48
	global_load_b128 v[5:8], v[25:26], off offset:32
	;; [unrolled: 1-line block ×3, first 2 shown]
	global_load_b128 v[13:16], v[25:26], off
	global_load_b128 v[29:32], v[25:26], off offset:112
	global_load_b128 v[17:20], v[25:26], off offset:96
	;; [unrolled: 1-line block ×4, first 2 shown]
	v_cmp_eq_u32_e64 s4, v37, v0
	v_lshlrev_b32_e32 v47, 2, v34
	v_and_b32_e32 v34, 7, v33
	s_delay_alu instid0(VALU_DEP_1)
	v_cmp_ne_u32_e64 s9, 0, v34
	v_cmp_lt_u32_e64 s10, 1, v34
	v_cmp_lt_u32_e64 s11, 3, v34
.LBB215_1:                              ; =>This Inner Loop Header: Depth=1
	s_waitcnt vmcnt(4)
	s_delay_alu instid0(VALU_DEP_1) | instskip(SKIP_1) | instid1(VALU_DEP_2)
	v_add_f64 v[33:34], v[9:10], v[13:14]
	v_add_f64 v[35:36], v[11:12], v[15:16]
	;; [unrolled: 1-line block ×3, first 2 shown]
	s_delay_alu instid0(VALU_DEP_2) | instskip(NEXT) | instid1(VALU_DEP_2)
	v_add_f64 v[35:36], v[7:8], v[35:36]
	v_add_f64 v[33:34], v[1:2], v[33:34]
	s_delay_alu instid0(VALU_DEP_2) | instskip(SKIP_1) | instid1(VALU_DEP_2)
	v_add_f64 v[35:36], v[3:4], v[35:36]
	s_waitcnt vmcnt(0)
	v_add_f64 v[33:34], v[25:26], v[33:34]
	s_delay_alu instid0(VALU_DEP_2) | instskip(NEXT) | instid1(VALU_DEP_2)
	v_add_f64 v[35:36], v[27:28], v[35:36]
	v_add_f64 v[33:34], v[21:22], v[33:34]
	s_delay_alu instid0(VALU_DEP_2) | instskip(NEXT) | instid1(VALU_DEP_2)
	v_add_f64 v[35:36], v[23:24], v[35:36]
	;; [unrolled: 3-line block ×4, first 2 shown]
	v_mov_b32_dpp v29, v33 row_shr:1 row_mask:0xf bank_mask:0xf
	s_delay_alu instid0(VALU_DEP_3) | instskip(NEXT) | instid1(VALU_DEP_3)
	v_mov_b32_dpp v30, v34 row_shr:1 row_mask:0xf bank_mask:0xf
	v_mov_b32_dpp v31, v35 row_shr:1 row_mask:0xf bank_mask:0xf
	s_delay_alu instid0(VALU_DEP_4)
	v_mov_b32_dpp v32, v36 row_shr:1 row_mask:0xf bank_mask:0xf
	s_and_saveexec_b32 s13, vcc_lo
; %bb.2:                                ;   in Loop: Header=BB215_1 Depth=1
	s_delay_alu instid0(VALU_DEP_1)
	v_add_f64 v[35:36], v[35:36], v[31:32]
	v_add_f64 v[33:34], v[33:34], v[29:30]
; %bb.3:                                ;   in Loop: Header=BB215_1 Depth=1
	s_or_b32 exec_lo, exec_lo, s13
	s_delay_alu instid0(VALU_DEP_1) | instskip(NEXT) | instid1(VALU_DEP_2)
	v_mov_b32_dpp v29, v33 row_shr:2 row_mask:0xf bank_mask:0xf
	v_mov_b32_dpp v30, v34 row_shr:2 row_mask:0xf bank_mask:0xf
	s_delay_alu instid0(VALU_DEP_4)
	v_mov_b32_dpp v31, v35 row_shr:2 row_mask:0xf bank_mask:0xf
	v_mov_b32_dpp v32, v36 row_shr:2 row_mask:0xf bank_mask:0xf
	s_and_saveexec_b32 s13, s0
; %bb.4:                                ;   in Loop: Header=BB215_1 Depth=1
	s_delay_alu instid0(VALU_DEP_1)
	v_add_f64 v[35:36], v[35:36], v[31:32]
	v_add_f64 v[33:34], v[33:34], v[29:30]
; %bb.5:                                ;   in Loop: Header=BB215_1 Depth=1
	s_or_b32 exec_lo, exec_lo, s13
	s_delay_alu instid0(VALU_DEP_1) | instskip(NEXT) | instid1(VALU_DEP_2)
	v_mov_b32_dpp v29, v33 row_shr:4 row_mask:0xf bank_mask:0xf
	v_mov_b32_dpp v30, v34 row_shr:4 row_mask:0xf bank_mask:0xf
	s_delay_alu instid0(VALU_DEP_4)
	v_mov_b32_dpp v31, v35 row_shr:4 row_mask:0xf bank_mask:0xf
	v_mov_b32_dpp v32, v36 row_shr:4 row_mask:0xf bank_mask:0xf
	s_and_saveexec_b32 s13, s1
; %bb.6:                                ;   in Loop: Header=BB215_1 Depth=1
	s_delay_alu instid0(VALU_DEP_1)
	v_add_f64 v[35:36], v[35:36], v[31:32]
	v_add_f64 v[33:34], v[33:34], v[29:30]
; %bb.7:                                ;   in Loop: Header=BB215_1 Depth=1
	s_or_b32 exec_lo, exec_lo, s13
	s_delay_alu instid0(VALU_DEP_1) | instskip(NEXT) | instid1(VALU_DEP_2)
	v_mov_b32_dpp v29, v33 row_shr:8 row_mask:0xf bank_mask:0xf
	v_mov_b32_dpp v30, v34 row_shr:8 row_mask:0xf bank_mask:0xf
	s_delay_alu instid0(VALU_DEP_4)
	v_mov_b32_dpp v31, v35 row_shr:8 row_mask:0xf bank_mask:0xf
	v_mov_b32_dpp v32, v36 row_shr:8 row_mask:0xf bank_mask:0xf
	s_and_saveexec_b32 s13, s2
; %bb.8:                                ;   in Loop: Header=BB215_1 Depth=1
	s_delay_alu instid0(VALU_DEP_1)
	v_add_f64 v[35:36], v[35:36], v[31:32]
	v_add_f64 v[33:34], v[33:34], v[29:30]
; %bb.9:                                ;   in Loop: Header=BB215_1 Depth=1
	s_or_b32 exec_lo, exec_lo, s13
	ds_swizzle_b32 v29, v33 offset:swizzle(BROADCAST,32,15)
	ds_swizzle_b32 v30, v34 offset:swizzle(BROADCAST,32,15)
	;; [unrolled: 1-line block ×4, first 2 shown]
	s_and_saveexec_b32 s13, s3
	s_cbranch_execz .LBB215_11
; %bb.10:                               ;   in Loop: Header=BB215_1 Depth=1
	s_waitcnt lgkmcnt(0)
	v_add_f64 v[35:36], v[35:36], v[31:32]
	v_add_f64 v[33:34], v[33:34], v[29:30]
.LBB215_11:                             ;   in Loop: Header=BB215_1 Depth=1
	s_or_b32 exec_lo, exec_lo, s13
	s_and_saveexec_b32 s13, s4
	s_cbranch_execz .LBB215_13
; %bb.12:                               ;   in Loop: Header=BB215_1 Depth=1
	ds_store_2addr_b64 v48, v[33:34], v[35:36] offset1:1
.LBB215_13:                             ;   in Loop: Header=BB215_1 Depth=1
	s_or_b32 exec_lo, exec_lo, s13
	s_waitcnt lgkmcnt(0)
	s_barrier
	buffer_gl0_inv
	s_and_saveexec_b32 s13, s5
	s_cbranch_execz .LBB215_21
; %bb.14:                               ;   in Loop: Header=BB215_1 Depth=1
	ds_load_2addr_b64 v[29:32], v49 offset1:1
	s_waitcnt lgkmcnt(0)
	v_mov_b32_dpp v37, v29 row_shr:1 row_mask:0xf bank_mask:0xf
	v_mov_b32_dpp v38, v30 row_shr:1 row_mask:0xf bank_mask:0xf
	;; [unrolled: 1-line block ×4, first 2 shown]
	s_and_saveexec_b32 s14, s9
; %bb.15:                               ;   in Loop: Header=BB215_1 Depth=1
	s_delay_alu instid0(VALU_DEP_1)
	v_add_f64 v[31:32], v[31:32], v[39:40]
	v_add_f64 v[29:30], v[29:30], v[37:38]
; %bb.16:                               ;   in Loop: Header=BB215_1 Depth=1
	s_or_b32 exec_lo, exec_lo, s14
	s_delay_alu instid0(VALU_DEP_1) | instskip(NEXT) | instid1(VALU_DEP_2)
	v_mov_b32_dpp v37, v29 row_shr:2 row_mask:0xf bank_mask:0xf
	v_mov_b32_dpp v38, v30 row_shr:2 row_mask:0xf bank_mask:0xf
	s_delay_alu instid0(VALU_DEP_4)
	v_mov_b32_dpp v39, v31 row_shr:2 row_mask:0xf bank_mask:0xf
	v_mov_b32_dpp v40, v32 row_shr:2 row_mask:0xf bank_mask:0xf
	s_and_saveexec_b32 s14, s10
; %bb.17:                               ;   in Loop: Header=BB215_1 Depth=1
	s_delay_alu instid0(VALU_DEP_1)
	v_add_f64 v[31:32], v[31:32], v[39:40]
	v_add_f64 v[29:30], v[29:30], v[37:38]
; %bb.18:                               ;   in Loop: Header=BB215_1 Depth=1
	s_or_b32 exec_lo, exec_lo, s14
	s_delay_alu instid0(VALU_DEP_1) | instskip(NEXT) | instid1(VALU_DEP_2)
	v_mov_b32_dpp v37, v29 row_shr:4 row_mask:0xf bank_mask:0xf
	v_mov_b32_dpp v38, v30 row_shr:4 row_mask:0xf bank_mask:0xf
	s_delay_alu instid0(VALU_DEP_4)
	v_mov_b32_dpp v39, v31 row_shr:4 row_mask:0xf bank_mask:0xf
	v_mov_b32_dpp v40, v32 row_shr:4 row_mask:0xf bank_mask:0xf
	s_and_saveexec_b32 s14, s11
; %bb.19:                               ;   in Loop: Header=BB215_1 Depth=1
	s_delay_alu instid0(VALU_DEP_1)
	v_add_f64 v[31:32], v[31:32], v[39:40]
	v_add_f64 v[29:30], v[29:30], v[37:38]
; %bb.20:                               ;   in Loop: Header=BB215_1 Depth=1
	s_or_b32 exec_lo, exec_lo, s14
	ds_store_2addr_b64 v49, v[29:30], v[31:32] offset1:1
.LBB215_21:                             ;   in Loop: Header=BB215_1 Depth=1
	s_or_b32 exec_lo, exec_lo, s13
	v_dual_mov_b32 v30, s21 :: v_dual_mov_b32 v29, s20
	v_dual_mov_b32 v32, s23 :: v_dual_mov_b32 v31, s22
	s_waitcnt lgkmcnt(0)
	s_barrier
	buffer_gl0_inv
	s_and_saveexec_b32 s13, s6
	s_cbranch_execz .LBB215_23
; %bb.22:                               ;   in Loop: Header=BB215_1 Depth=1
	ds_load_2addr_b64 v[29:32], v50 offset1:1
	s_waitcnt lgkmcnt(0)
	v_add_f64 v[29:30], s[20:21], v[29:30]
	v_add_f64 v[31:32], s[22:23], v[31:32]
.LBB215_23:                             ;   in Loop: Header=BB215_1 Depth=1
	s_or_b32 exec_lo, exec_lo, s13
	s_delay_alu instid0(VALU_DEP_1) | instskip(NEXT) | instid1(VALU_DEP_3)
	v_add_f64 v[35:36], v[35:36], v[31:32]
	v_add_f64 v[33:34], v[33:34], v[29:30]
	s_add_i32 s12, s12, -1
	s_delay_alu instid0(SALU_CYCLE_1)
	s_cmp_lg_u32 s12, 0
	ds_bpermute_b32 v0, v47, v36
	ds_bpermute_b32 v34, v47, v34
	;; [unrolled: 1-line block ×4, first 2 shown]
	s_waitcnt lgkmcnt(3)
	v_cndmask_b32_e64 v0, v0, v32, s7
	s_waitcnt lgkmcnt(2)
	v_cndmask_b32_e64 v30, v34, v30, s7
	;; [unrolled: 2-line block ×4, first 2 shown]
	v_cndmask_b32_e64 v40, v0, s23, s8
	v_cndmask_b32_e64 v38, v30, s21, s8
	;; [unrolled: 1-line block ×3, first 2 shown]
	s_delay_alu instid0(VALU_DEP_4) | instskip(NEXT) | instid1(VALU_DEP_2)
	v_cndmask_b32_e64 v39, v31, s22, s8
	v_add_f64 v[41:42], v[13:14], v[37:38]
	s_delay_alu instid0(VALU_DEP_2) | instskip(NEXT) | instid1(VALU_DEP_2)
	v_add_f64 v[43:44], v[15:16], v[39:40]
	v_add_f64 v[33:34], v[9:10], v[41:42]
	s_delay_alu instid0(VALU_DEP_2) | instskip(NEXT) | instid1(VALU_DEP_2)
	v_add_f64 v[35:36], v[11:12], v[43:44]
	;; [unrolled: 3-line block ×6, first 2 shown]
	v_add_f64 v[29:30], v[17:18], v[0:1]
	s_delay_alu instid0(VALU_DEP_2)
	v_add_f64 v[31:32], v[19:20], v[2:3]
	s_cbranch_scc0 .LBB215_25
; %bb.24:                               ;   in Loop: Header=BB215_1 Depth=1
	v_dual_mov_b32 v20, v3 :: v_dual_mov_b32 v19, v2
	v_dual_mov_b32 v18, v1 :: v_dual_mov_b32 v17, v0
	;; [unrolled: 1-line block ×14, first 2 shown]
	s_branch .LBB215_1
.LBB215_25:
	v_add_co_u32 v16, vcc_lo, s18, v45
	v_add_co_ci_u32_e32 v17, vcc_lo, s19, v46, vcc_lo
	s_clause 0x7
	global_store_b128 v[16:17], v[37:40], off
	global_store_b128 v[16:17], v[41:44], off offset:16
	global_store_b128 v[16:17], v[33:36], off offset:32
	global_store_b128 v[16:17], v[12:15], off offset:48
	global_store_b128 v[16:17], v[8:11], off offset:64
	global_store_b128 v[16:17], v[4:7], off offset:80
	global_store_b128 v[16:17], v[0:3], off offset:96
	global_store_b128 v[16:17], v[29:32], off offset:112
	s_nop 0
	s_sendmsg sendmsg(MSG_DEALLOC_VGPRS)
	s_endpgm
	.section	.rodata,"a",@progbits
	.p2align	6, 0x0
	.amdhsa_kernel _Z6kernelI14exclusive_scanILN6hipcub18BlockScanAlgorithmE0EEN15benchmark_utils11custom_typeIddEELj256ELj8ELj100EEvPKT0_PS7_S7_
		.amdhsa_group_segment_fixed_size 128
		.amdhsa_private_segment_fixed_size 0
		.amdhsa_kernarg_size 288
		.amdhsa_user_sgpr_count 15
		.amdhsa_user_sgpr_dispatch_ptr 0
		.amdhsa_user_sgpr_queue_ptr 0
		.amdhsa_user_sgpr_kernarg_segment_ptr 1
		.amdhsa_user_sgpr_dispatch_id 0
		.amdhsa_user_sgpr_private_segment_size 0
		.amdhsa_wavefront_size32 1
		.amdhsa_uses_dynamic_stack 0
		.amdhsa_enable_private_segment 0
		.amdhsa_system_sgpr_workgroup_id_x 1
		.amdhsa_system_sgpr_workgroup_id_y 0
		.amdhsa_system_sgpr_workgroup_id_z 0
		.amdhsa_system_sgpr_workgroup_info 0
		.amdhsa_system_vgpr_workitem_id 0
		.amdhsa_next_free_vgpr 51
		.amdhsa_next_free_sgpr 24
		.amdhsa_reserve_vcc 1
		.amdhsa_float_round_mode_32 0
		.amdhsa_float_round_mode_16_64 0
		.amdhsa_float_denorm_mode_32 3
		.amdhsa_float_denorm_mode_16_64 3
		.amdhsa_dx10_clamp 1
		.amdhsa_ieee_mode 1
		.amdhsa_fp16_overflow 0
		.amdhsa_workgroup_processor_mode 1
		.amdhsa_memory_ordered 1
		.amdhsa_forward_progress 0
		.amdhsa_shared_vgpr_count 0
		.amdhsa_exception_fp_ieee_invalid_op 0
		.amdhsa_exception_fp_denorm_src 0
		.amdhsa_exception_fp_ieee_div_zero 0
		.amdhsa_exception_fp_ieee_overflow 0
		.amdhsa_exception_fp_ieee_underflow 0
		.amdhsa_exception_fp_ieee_inexact 0
		.amdhsa_exception_int_div_zero 0
	.end_amdhsa_kernel
	.section	.text._Z6kernelI14exclusive_scanILN6hipcub18BlockScanAlgorithmE0EEN15benchmark_utils11custom_typeIddEELj256ELj8ELj100EEvPKT0_PS7_S7_,"axG",@progbits,_Z6kernelI14exclusive_scanILN6hipcub18BlockScanAlgorithmE0EEN15benchmark_utils11custom_typeIddEELj256ELj8ELj100EEvPKT0_PS7_S7_,comdat
.Lfunc_end215:
	.size	_Z6kernelI14exclusive_scanILN6hipcub18BlockScanAlgorithmE0EEN15benchmark_utils11custom_typeIddEELj256ELj8ELj100EEvPKT0_PS7_S7_, .Lfunc_end215-_Z6kernelI14exclusive_scanILN6hipcub18BlockScanAlgorithmE0EEN15benchmark_utils11custom_typeIddEELj256ELj8ELj100EEvPKT0_PS7_S7_
                                        ; -- End function
	.section	.AMDGPU.csdata,"",@progbits
; Kernel info:
; codeLenInByte = 1644
; NumSgprs: 26
; NumVgprs: 51
; ScratchSize: 0
; MemoryBound: 0
; FloatMode: 240
; IeeeMode: 1
; LDSByteSize: 128 bytes/workgroup (compile time only)
; SGPRBlocks: 3
; VGPRBlocks: 6
; NumSGPRsForWavesPerEU: 26
; NumVGPRsForWavesPerEU: 51
; Occupancy: 16
; WaveLimiterHint : 0
; COMPUTE_PGM_RSRC2:SCRATCH_EN: 0
; COMPUTE_PGM_RSRC2:USER_SGPR: 15
; COMPUTE_PGM_RSRC2:TRAP_HANDLER: 0
; COMPUTE_PGM_RSRC2:TGID_X_EN: 1
; COMPUTE_PGM_RSRC2:TGID_Y_EN: 0
; COMPUTE_PGM_RSRC2:TGID_Z_EN: 0
; COMPUTE_PGM_RSRC2:TIDIG_COMP_CNT: 0
	.text
	.p2alignl 7, 3214868480
	.fill 96, 4, 3214868480
	.type	__hip_cuid_cddcae7879887fa0,@object ; @__hip_cuid_cddcae7879887fa0
	.section	.bss,"aw",@nobits
	.globl	__hip_cuid_cddcae7879887fa0
__hip_cuid_cddcae7879887fa0:
	.byte	0                               ; 0x0
	.size	__hip_cuid_cddcae7879887fa0, 1

	.ident	"AMD clang version 19.0.0git (https://github.com/RadeonOpenCompute/llvm-project roc-6.4.0 25133 c7fe45cf4b819c5991fe208aaa96edf142730f1d)"
	.section	".note.GNU-stack","",@progbits
	.addrsig
	.addrsig_sym __hip_cuid_cddcae7879887fa0
	.amdgpu_metadata
---
amdhsa.kernels:
  - .args:
      - .address_space:  global
        .offset:         0
        .size:           8
        .value_kind:     global_buffer
      - .address_space:  global
        .offset:         8
        .size:           8
        .value_kind:     global_buffer
      - .offset:         16
        .size:           4
        .value_kind:     by_value
      - .offset:         24
        .size:           4
        .value_kind:     hidden_block_count_x
      - .offset:         28
        .size:           4
        .value_kind:     hidden_block_count_y
      - .offset:         32
        .size:           4
        .value_kind:     hidden_block_count_z
      - .offset:         36
        .size:           2
        .value_kind:     hidden_group_size_x
      - .offset:         38
        .size:           2
        .value_kind:     hidden_group_size_y
      - .offset:         40
        .size:           2
        .value_kind:     hidden_group_size_z
      - .offset:         42
        .size:           2
        .value_kind:     hidden_remainder_x
      - .offset:         44
        .size:           2
        .value_kind:     hidden_remainder_y
      - .offset:         46
        .size:           2
        .value_kind:     hidden_remainder_z
      - .offset:         64
        .size:           8
        .value_kind:     hidden_global_offset_x
      - .offset:         72
        .size:           8
        .value_kind:     hidden_global_offset_y
      - .offset:         80
        .size:           8
        .value_kind:     hidden_global_offset_z
      - .offset:         88
        .size:           2
        .value_kind:     hidden_grid_dims
    .group_segment_fixed_size: 264
    .kernarg_segment_align: 8
    .kernarg_segment_size: 280
    .language:       OpenCL C
    .language_version:
      - 2
      - 0
    .max_flat_workgroup_size: 64
    .name:           _Z6kernelI14inclusive_scanILN6hipcub18BlockScanAlgorithmE1EEiLj64ELj1ELj100EEvPKT0_PS4_S4_
    .private_segment_fixed_size: 0
    .sgpr_count:     18
    .sgpr_spill_count: 0
    .symbol:         _Z6kernelI14inclusive_scanILN6hipcub18BlockScanAlgorithmE1EEiLj64ELj1ELj100EEvPKT0_PS4_S4_.kd
    .uniform_work_group_size: 1
    .uses_dynamic_stack: false
    .vgpr_count:     14
    .vgpr_spill_count: 0
    .wavefront_size: 32
    .workgroup_processor_mode: 1
  - .args:
      - .address_space:  global
        .offset:         0
        .size:           8
        .value_kind:     global_buffer
      - .address_space:  global
        .offset:         8
        .size:           8
        .value_kind:     global_buffer
      - .offset:         16
        .size:           4
        .value_kind:     by_value
      - .offset:         24
        .size:           4
        .value_kind:     hidden_block_count_x
      - .offset:         28
        .size:           4
        .value_kind:     hidden_block_count_y
      - .offset:         32
        .size:           4
        .value_kind:     hidden_block_count_z
      - .offset:         36
        .size:           2
        .value_kind:     hidden_group_size_x
      - .offset:         38
        .size:           2
        .value_kind:     hidden_group_size_y
      - .offset:         40
        .size:           2
        .value_kind:     hidden_group_size_z
      - .offset:         42
        .size:           2
        .value_kind:     hidden_remainder_x
      - .offset:         44
        .size:           2
        .value_kind:     hidden_remainder_y
      - .offset:         46
        .size:           2
        .value_kind:     hidden_remainder_z
      - .offset:         64
        .size:           8
        .value_kind:     hidden_global_offset_x
      - .offset:         72
        .size:           8
        .value_kind:     hidden_global_offset_y
      - .offset:         80
        .size:           8
        .value_kind:     hidden_global_offset_z
      - .offset:         88
        .size:           2
        .value_kind:     hidden_grid_dims
    .group_segment_fixed_size: 264
    .kernarg_segment_align: 8
    .kernarg_segment_size: 280
    .language:       OpenCL C
    .language_version:
      - 2
      - 0
    .max_flat_workgroup_size: 64
    .name:           _Z6kernelI14inclusive_scanILN6hipcub18BlockScanAlgorithmE1EEiLj64ELj3ELj100EEvPKT0_PS4_S4_
    .private_segment_fixed_size: 0
    .sgpr_count:     18
    .sgpr_spill_count: 0
    .symbol:         _Z6kernelI14inclusive_scanILN6hipcub18BlockScanAlgorithmE1EEiLj64ELj3ELj100EEvPKT0_PS4_S4_.kd
    .uniform_work_group_size: 1
    .uses_dynamic_stack: false
    .vgpr_count:     22
    .vgpr_spill_count: 0
    .wavefront_size: 32
    .workgroup_processor_mode: 1
  - .args:
      - .address_space:  global
        .offset:         0
        .size:           8
        .value_kind:     global_buffer
      - .address_space:  global
        .offset:         8
        .size:           8
        .value_kind:     global_buffer
      - .offset:         16
        .size:           4
        .value_kind:     by_value
      - .offset:         24
        .size:           4
        .value_kind:     hidden_block_count_x
      - .offset:         28
        .size:           4
        .value_kind:     hidden_block_count_y
      - .offset:         32
        .size:           4
        .value_kind:     hidden_block_count_z
      - .offset:         36
        .size:           2
        .value_kind:     hidden_group_size_x
      - .offset:         38
        .size:           2
        .value_kind:     hidden_group_size_y
      - .offset:         40
        .size:           2
        .value_kind:     hidden_group_size_z
      - .offset:         42
        .size:           2
        .value_kind:     hidden_remainder_x
      - .offset:         44
        .size:           2
        .value_kind:     hidden_remainder_y
      - .offset:         46
        .size:           2
        .value_kind:     hidden_remainder_z
      - .offset:         64
        .size:           8
        .value_kind:     hidden_global_offset_x
      - .offset:         72
        .size:           8
        .value_kind:     hidden_global_offset_y
      - .offset:         80
        .size:           8
        .value_kind:     hidden_global_offset_z
      - .offset:         88
        .size:           2
        .value_kind:     hidden_grid_dims
    .group_segment_fixed_size: 264
    .kernarg_segment_align: 8
    .kernarg_segment_size: 280
    .language:       OpenCL C
    .language_version:
      - 2
      - 0
    .max_flat_workgroup_size: 64
    .name:           _Z6kernelI14inclusive_scanILN6hipcub18BlockScanAlgorithmE1EEiLj64ELj4ELj100EEvPKT0_PS4_S4_
    .private_segment_fixed_size: 0
    .sgpr_count:     18
    .sgpr_spill_count: 0
    .symbol:         _Z6kernelI14inclusive_scanILN6hipcub18BlockScanAlgorithmE1EEiLj64ELj4ELj100EEvPKT0_PS4_S4_.kd
    .uniform_work_group_size: 1
    .uses_dynamic_stack: false
    .vgpr_count:     19
    .vgpr_spill_count: 0
    .wavefront_size: 32
    .workgroup_processor_mode: 1
  - .args:
      - .address_space:  global
        .offset:         0
        .size:           8
        .value_kind:     global_buffer
      - .address_space:  global
        .offset:         8
        .size:           8
        .value_kind:     global_buffer
      - .offset:         16
        .size:           4
        .value_kind:     by_value
      - .offset:         24
        .size:           4
        .value_kind:     hidden_block_count_x
      - .offset:         28
        .size:           4
        .value_kind:     hidden_block_count_y
      - .offset:         32
        .size:           4
        .value_kind:     hidden_block_count_z
      - .offset:         36
        .size:           2
        .value_kind:     hidden_group_size_x
      - .offset:         38
        .size:           2
        .value_kind:     hidden_group_size_y
      - .offset:         40
        .size:           2
        .value_kind:     hidden_group_size_z
      - .offset:         42
        .size:           2
        .value_kind:     hidden_remainder_x
      - .offset:         44
        .size:           2
        .value_kind:     hidden_remainder_y
      - .offset:         46
        .size:           2
        .value_kind:     hidden_remainder_z
      - .offset:         64
        .size:           8
        .value_kind:     hidden_global_offset_x
      - .offset:         72
        .size:           8
        .value_kind:     hidden_global_offset_y
      - .offset:         80
        .size:           8
        .value_kind:     hidden_global_offset_z
      - .offset:         88
        .size:           2
        .value_kind:     hidden_grid_dims
    .group_segment_fixed_size: 264
    .kernarg_segment_align: 8
    .kernarg_segment_size: 280
    .language:       OpenCL C
    .language_version:
      - 2
      - 0
    .max_flat_workgroup_size: 64
    .name:           _Z6kernelI14inclusive_scanILN6hipcub18BlockScanAlgorithmE1EEiLj64ELj8ELj100EEvPKT0_PS4_S4_
    .private_segment_fixed_size: 0
    .sgpr_count:     18
    .sgpr_spill_count: 0
    .symbol:         _Z6kernelI14inclusive_scanILN6hipcub18BlockScanAlgorithmE1EEiLj64ELj8ELj100EEvPKT0_PS4_S4_.kd
    .uniform_work_group_size: 1
    .uses_dynamic_stack: false
    .vgpr_count:     23
    .vgpr_spill_count: 0
    .wavefront_size: 32
    .workgroup_processor_mode: 1
  - .args:
      - .address_space:  global
        .offset:         0
        .size:           8
        .value_kind:     global_buffer
      - .address_space:  global
        .offset:         8
        .size:           8
        .value_kind:     global_buffer
      - .offset:         16
        .size:           4
        .value_kind:     by_value
      - .offset:         24
        .size:           4
        .value_kind:     hidden_block_count_x
      - .offset:         28
        .size:           4
        .value_kind:     hidden_block_count_y
      - .offset:         32
        .size:           4
        .value_kind:     hidden_block_count_z
      - .offset:         36
        .size:           2
        .value_kind:     hidden_group_size_x
      - .offset:         38
        .size:           2
        .value_kind:     hidden_group_size_y
      - .offset:         40
        .size:           2
        .value_kind:     hidden_group_size_z
      - .offset:         42
        .size:           2
        .value_kind:     hidden_remainder_x
      - .offset:         44
        .size:           2
        .value_kind:     hidden_remainder_y
      - .offset:         46
        .size:           2
        .value_kind:     hidden_remainder_z
      - .offset:         64
        .size:           8
        .value_kind:     hidden_global_offset_x
      - .offset:         72
        .size:           8
        .value_kind:     hidden_global_offset_y
      - .offset:         80
        .size:           8
        .value_kind:     hidden_global_offset_z
      - .offset:         88
        .size:           2
        .value_kind:     hidden_grid_dims
    .group_segment_fixed_size: 264
    .kernarg_segment_align: 8
    .kernarg_segment_size: 280
    .language:       OpenCL C
    .language_version:
      - 2
      - 0
    .max_flat_workgroup_size: 64
    .name:           _Z6kernelI14inclusive_scanILN6hipcub18BlockScanAlgorithmE1EEiLj64ELj11ELj100EEvPKT0_PS4_S4_
    .private_segment_fixed_size: 0
    .sgpr_count:     18
    .sgpr_spill_count: 0
    .symbol:         _Z6kernelI14inclusive_scanILN6hipcub18BlockScanAlgorithmE1EEiLj64ELj11ELj100EEvPKT0_PS4_S4_.kd
    .uniform_work_group_size: 1
    .uses_dynamic_stack: false
    .vgpr_count:     48
    .vgpr_spill_count: 0
    .wavefront_size: 32
    .workgroup_processor_mode: 1
  - .args:
      - .address_space:  global
        .offset:         0
        .size:           8
        .value_kind:     global_buffer
      - .address_space:  global
        .offset:         8
        .size:           8
        .value_kind:     global_buffer
      - .offset:         16
        .size:           4
        .value_kind:     by_value
      - .offset:         24
        .size:           4
        .value_kind:     hidden_block_count_x
      - .offset:         28
        .size:           4
        .value_kind:     hidden_block_count_y
      - .offset:         32
        .size:           4
        .value_kind:     hidden_block_count_z
      - .offset:         36
        .size:           2
        .value_kind:     hidden_group_size_x
      - .offset:         38
        .size:           2
        .value_kind:     hidden_group_size_y
      - .offset:         40
        .size:           2
        .value_kind:     hidden_group_size_z
      - .offset:         42
        .size:           2
        .value_kind:     hidden_remainder_x
      - .offset:         44
        .size:           2
        .value_kind:     hidden_remainder_y
      - .offset:         46
        .size:           2
        .value_kind:     hidden_remainder_z
      - .offset:         64
        .size:           8
        .value_kind:     hidden_global_offset_x
      - .offset:         72
        .size:           8
        .value_kind:     hidden_global_offset_y
      - .offset:         80
        .size:           8
        .value_kind:     hidden_global_offset_z
      - .offset:         88
        .size:           2
        .value_kind:     hidden_grid_dims
    .group_segment_fixed_size: 264
    .kernarg_segment_align: 8
    .kernarg_segment_size: 280
    .language:       OpenCL C
    .language_version:
      - 2
      - 0
    .max_flat_workgroup_size: 64
    .name:           _Z6kernelI14inclusive_scanILN6hipcub18BlockScanAlgorithmE1EEiLj64ELj16ELj100EEvPKT0_PS4_S4_
    .private_segment_fixed_size: 0
    .sgpr_count:     18
    .sgpr_spill_count: 0
    .symbol:         _Z6kernelI14inclusive_scanILN6hipcub18BlockScanAlgorithmE1EEiLj64ELj16ELj100EEvPKT0_PS4_S4_.kd
    .uniform_work_group_size: 1
    .uses_dynamic_stack: false
    .vgpr_count:     31
    .vgpr_spill_count: 0
    .wavefront_size: 32
    .workgroup_processor_mode: 1
  - .args:
      - .address_space:  global
        .offset:         0
        .size:           8
        .value_kind:     global_buffer
      - .address_space:  global
        .offset:         8
        .size:           8
        .value_kind:     global_buffer
      - .offset:         16
        .size:           4
        .value_kind:     by_value
      - .offset:         24
        .size:           4
        .value_kind:     hidden_block_count_x
      - .offset:         28
        .size:           4
        .value_kind:     hidden_block_count_y
      - .offset:         32
        .size:           4
        .value_kind:     hidden_block_count_z
      - .offset:         36
        .size:           2
        .value_kind:     hidden_group_size_x
      - .offset:         38
        .size:           2
        .value_kind:     hidden_group_size_y
      - .offset:         40
        .size:           2
        .value_kind:     hidden_group_size_z
      - .offset:         42
        .size:           2
        .value_kind:     hidden_remainder_x
      - .offset:         44
        .size:           2
        .value_kind:     hidden_remainder_y
      - .offset:         46
        .size:           2
        .value_kind:     hidden_remainder_z
      - .offset:         64
        .size:           8
        .value_kind:     hidden_global_offset_x
      - .offset:         72
        .size:           8
        .value_kind:     hidden_global_offset_y
      - .offset:         80
        .size:           8
        .value_kind:     hidden_global_offset_z
      - .offset:         88
        .size:           2
        .value_kind:     hidden_grid_dims
    .group_segment_fixed_size: 264
    .kernarg_segment_align: 8
    .kernarg_segment_size: 280
    .language:       OpenCL C
    .language_version:
      - 2
      - 0
    .max_flat_workgroup_size: 64
    .name:           _Z6kernelI14inclusive_scanILN6hipcub18BlockScanAlgorithmE1EEfLj64ELj1ELj100EEvPKT0_PS4_S4_
    .private_segment_fixed_size: 0
    .sgpr_count:     18
    .sgpr_spill_count: 0
    .symbol:         _Z6kernelI14inclusive_scanILN6hipcub18BlockScanAlgorithmE1EEfLj64ELj1ELj100EEvPKT0_PS4_S4_.kd
    .uniform_work_group_size: 1
    .uses_dynamic_stack: false
    .vgpr_count:     14
    .vgpr_spill_count: 0
    .wavefront_size: 32
    .workgroup_processor_mode: 1
  - .args:
      - .address_space:  global
        .offset:         0
        .size:           8
        .value_kind:     global_buffer
      - .address_space:  global
        .offset:         8
        .size:           8
        .value_kind:     global_buffer
      - .offset:         16
        .size:           4
        .value_kind:     by_value
      - .offset:         24
        .size:           4
        .value_kind:     hidden_block_count_x
      - .offset:         28
        .size:           4
        .value_kind:     hidden_block_count_y
      - .offset:         32
        .size:           4
        .value_kind:     hidden_block_count_z
      - .offset:         36
        .size:           2
        .value_kind:     hidden_group_size_x
      - .offset:         38
        .size:           2
        .value_kind:     hidden_group_size_y
      - .offset:         40
        .size:           2
        .value_kind:     hidden_group_size_z
      - .offset:         42
        .size:           2
        .value_kind:     hidden_remainder_x
      - .offset:         44
        .size:           2
        .value_kind:     hidden_remainder_y
      - .offset:         46
        .size:           2
        .value_kind:     hidden_remainder_z
      - .offset:         64
        .size:           8
        .value_kind:     hidden_global_offset_x
      - .offset:         72
        .size:           8
        .value_kind:     hidden_global_offset_y
      - .offset:         80
        .size:           8
        .value_kind:     hidden_global_offset_z
      - .offset:         88
        .size:           2
        .value_kind:     hidden_grid_dims
    .group_segment_fixed_size: 264
    .kernarg_segment_align: 8
    .kernarg_segment_size: 280
    .language:       OpenCL C
    .language_version:
      - 2
      - 0
    .max_flat_workgroup_size: 64
    .name:           _Z6kernelI14inclusive_scanILN6hipcub18BlockScanAlgorithmE1EEfLj64ELj3ELj100EEvPKT0_PS4_S4_
    .private_segment_fixed_size: 0
    .sgpr_count:     18
    .sgpr_spill_count: 0
    .symbol:         _Z6kernelI14inclusive_scanILN6hipcub18BlockScanAlgorithmE1EEfLj64ELj3ELj100EEvPKT0_PS4_S4_.kd
    .uniform_work_group_size: 1
    .uses_dynamic_stack: false
    .vgpr_count:     22
    .vgpr_spill_count: 0
    .wavefront_size: 32
    .workgroup_processor_mode: 1
  - .args:
      - .address_space:  global
        .offset:         0
        .size:           8
        .value_kind:     global_buffer
      - .address_space:  global
        .offset:         8
        .size:           8
        .value_kind:     global_buffer
      - .offset:         16
        .size:           4
        .value_kind:     by_value
      - .offset:         24
        .size:           4
        .value_kind:     hidden_block_count_x
      - .offset:         28
        .size:           4
        .value_kind:     hidden_block_count_y
      - .offset:         32
        .size:           4
        .value_kind:     hidden_block_count_z
      - .offset:         36
        .size:           2
        .value_kind:     hidden_group_size_x
      - .offset:         38
        .size:           2
        .value_kind:     hidden_group_size_y
      - .offset:         40
        .size:           2
        .value_kind:     hidden_group_size_z
      - .offset:         42
        .size:           2
        .value_kind:     hidden_remainder_x
      - .offset:         44
        .size:           2
        .value_kind:     hidden_remainder_y
      - .offset:         46
        .size:           2
        .value_kind:     hidden_remainder_z
      - .offset:         64
        .size:           8
        .value_kind:     hidden_global_offset_x
      - .offset:         72
        .size:           8
        .value_kind:     hidden_global_offset_y
      - .offset:         80
        .size:           8
        .value_kind:     hidden_global_offset_z
      - .offset:         88
        .size:           2
        .value_kind:     hidden_grid_dims
    .group_segment_fixed_size: 264
    .kernarg_segment_align: 8
    .kernarg_segment_size: 280
    .language:       OpenCL C
    .language_version:
      - 2
      - 0
    .max_flat_workgroup_size: 64
    .name:           _Z6kernelI14inclusive_scanILN6hipcub18BlockScanAlgorithmE1EEfLj64ELj4ELj100EEvPKT0_PS4_S4_
    .private_segment_fixed_size: 0
    .sgpr_count:     18
    .sgpr_spill_count: 0
    .symbol:         _Z6kernelI14inclusive_scanILN6hipcub18BlockScanAlgorithmE1EEfLj64ELj4ELj100EEvPKT0_PS4_S4_.kd
    .uniform_work_group_size: 1
    .uses_dynamic_stack: false
    .vgpr_count:     19
    .vgpr_spill_count: 0
    .wavefront_size: 32
    .workgroup_processor_mode: 1
  - .args:
      - .address_space:  global
        .offset:         0
        .size:           8
        .value_kind:     global_buffer
      - .address_space:  global
        .offset:         8
        .size:           8
        .value_kind:     global_buffer
      - .offset:         16
        .size:           4
        .value_kind:     by_value
      - .offset:         24
        .size:           4
        .value_kind:     hidden_block_count_x
      - .offset:         28
        .size:           4
        .value_kind:     hidden_block_count_y
      - .offset:         32
        .size:           4
        .value_kind:     hidden_block_count_z
      - .offset:         36
        .size:           2
        .value_kind:     hidden_group_size_x
      - .offset:         38
        .size:           2
        .value_kind:     hidden_group_size_y
      - .offset:         40
        .size:           2
        .value_kind:     hidden_group_size_z
      - .offset:         42
        .size:           2
        .value_kind:     hidden_remainder_x
      - .offset:         44
        .size:           2
        .value_kind:     hidden_remainder_y
      - .offset:         46
        .size:           2
        .value_kind:     hidden_remainder_z
      - .offset:         64
        .size:           8
        .value_kind:     hidden_global_offset_x
      - .offset:         72
        .size:           8
        .value_kind:     hidden_global_offset_y
      - .offset:         80
        .size:           8
        .value_kind:     hidden_global_offset_z
      - .offset:         88
        .size:           2
        .value_kind:     hidden_grid_dims
    .group_segment_fixed_size: 264
    .kernarg_segment_align: 8
    .kernarg_segment_size: 280
    .language:       OpenCL C
    .language_version:
      - 2
      - 0
    .max_flat_workgroup_size: 64
    .name:           _Z6kernelI14inclusive_scanILN6hipcub18BlockScanAlgorithmE1EEfLj64ELj8ELj100EEvPKT0_PS4_S4_
    .private_segment_fixed_size: 0
    .sgpr_count:     18
    .sgpr_spill_count: 0
    .symbol:         _Z6kernelI14inclusive_scanILN6hipcub18BlockScanAlgorithmE1EEfLj64ELj8ELj100EEvPKT0_PS4_S4_.kd
    .uniform_work_group_size: 1
    .uses_dynamic_stack: false
    .vgpr_count:     23
    .vgpr_spill_count: 0
    .wavefront_size: 32
    .workgroup_processor_mode: 1
  - .args:
      - .address_space:  global
        .offset:         0
        .size:           8
        .value_kind:     global_buffer
      - .address_space:  global
        .offset:         8
        .size:           8
        .value_kind:     global_buffer
      - .offset:         16
        .size:           4
        .value_kind:     by_value
      - .offset:         24
        .size:           4
        .value_kind:     hidden_block_count_x
      - .offset:         28
        .size:           4
        .value_kind:     hidden_block_count_y
      - .offset:         32
        .size:           4
        .value_kind:     hidden_block_count_z
      - .offset:         36
        .size:           2
        .value_kind:     hidden_group_size_x
      - .offset:         38
        .size:           2
        .value_kind:     hidden_group_size_y
      - .offset:         40
        .size:           2
        .value_kind:     hidden_group_size_z
      - .offset:         42
        .size:           2
        .value_kind:     hidden_remainder_x
      - .offset:         44
        .size:           2
        .value_kind:     hidden_remainder_y
      - .offset:         46
        .size:           2
        .value_kind:     hidden_remainder_z
      - .offset:         64
        .size:           8
        .value_kind:     hidden_global_offset_x
      - .offset:         72
        .size:           8
        .value_kind:     hidden_global_offset_y
      - .offset:         80
        .size:           8
        .value_kind:     hidden_global_offset_z
      - .offset:         88
        .size:           2
        .value_kind:     hidden_grid_dims
    .group_segment_fixed_size: 264
    .kernarg_segment_align: 8
    .kernarg_segment_size: 280
    .language:       OpenCL C
    .language_version:
      - 2
      - 0
    .max_flat_workgroup_size: 64
    .name:           _Z6kernelI14inclusive_scanILN6hipcub18BlockScanAlgorithmE1EEfLj64ELj11ELj100EEvPKT0_PS4_S4_
    .private_segment_fixed_size: 0
    .sgpr_count:     18
    .sgpr_spill_count: 0
    .symbol:         _Z6kernelI14inclusive_scanILN6hipcub18BlockScanAlgorithmE1EEfLj64ELj11ELj100EEvPKT0_PS4_S4_.kd
    .uniform_work_group_size: 1
    .uses_dynamic_stack: false
    .vgpr_count:     48
    .vgpr_spill_count: 0
    .wavefront_size: 32
    .workgroup_processor_mode: 1
  - .args:
      - .address_space:  global
        .offset:         0
        .size:           8
        .value_kind:     global_buffer
      - .address_space:  global
        .offset:         8
        .size:           8
        .value_kind:     global_buffer
      - .offset:         16
        .size:           4
        .value_kind:     by_value
      - .offset:         24
        .size:           4
        .value_kind:     hidden_block_count_x
      - .offset:         28
        .size:           4
        .value_kind:     hidden_block_count_y
      - .offset:         32
        .size:           4
        .value_kind:     hidden_block_count_z
      - .offset:         36
        .size:           2
        .value_kind:     hidden_group_size_x
      - .offset:         38
        .size:           2
        .value_kind:     hidden_group_size_y
      - .offset:         40
        .size:           2
        .value_kind:     hidden_group_size_z
      - .offset:         42
        .size:           2
        .value_kind:     hidden_remainder_x
      - .offset:         44
        .size:           2
        .value_kind:     hidden_remainder_y
      - .offset:         46
        .size:           2
        .value_kind:     hidden_remainder_z
      - .offset:         64
        .size:           8
        .value_kind:     hidden_global_offset_x
      - .offset:         72
        .size:           8
        .value_kind:     hidden_global_offset_y
      - .offset:         80
        .size:           8
        .value_kind:     hidden_global_offset_z
      - .offset:         88
        .size:           2
        .value_kind:     hidden_grid_dims
    .group_segment_fixed_size: 264
    .kernarg_segment_align: 8
    .kernarg_segment_size: 280
    .language:       OpenCL C
    .language_version:
      - 2
      - 0
    .max_flat_workgroup_size: 64
    .name:           _Z6kernelI14inclusive_scanILN6hipcub18BlockScanAlgorithmE1EEfLj64ELj16ELj100EEvPKT0_PS4_S4_
    .private_segment_fixed_size: 0
    .sgpr_count:     18
    .sgpr_spill_count: 0
    .symbol:         _Z6kernelI14inclusive_scanILN6hipcub18BlockScanAlgorithmE1EEfLj64ELj16ELj100EEvPKT0_PS4_S4_.kd
    .uniform_work_group_size: 1
    .uses_dynamic_stack: false
    .vgpr_count:     31
    .vgpr_spill_count: 0
    .wavefront_size: 32
    .workgroup_processor_mode: 1
  - .args:
      - .address_space:  global
        .offset:         0
        .size:           8
        .value_kind:     global_buffer
      - .address_space:  global
        .offset:         8
        .size:           8
        .value_kind:     global_buffer
      - .offset:         16
        .size:           8
        .value_kind:     by_value
      - .offset:         24
        .size:           4
        .value_kind:     hidden_block_count_x
      - .offset:         28
        .size:           4
        .value_kind:     hidden_block_count_y
      - .offset:         32
        .size:           4
        .value_kind:     hidden_block_count_z
      - .offset:         36
        .size:           2
        .value_kind:     hidden_group_size_x
      - .offset:         38
        .size:           2
        .value_kind:     hidden_group_size_y
      - .offset:         40
        .size:           2
        .value_kind:     hidden_group_size_z
      - .offset:         42
        .size:           2
        .value_kind:     hidden_remainder_x
      - .offset:         44
        .size:           2
        .value_kind:     hidden_remainder_y
      - .offset:         46
        .size:           2
        .value_kind:     hidden_remainder_z
      - .offset:         64
        .size:           8
        .value_kind:     hidden_global_offset_x
      - .offset:         72
        .size:           8
        .value_kind:     hidden_global_offset_y
      - .offset:         80
        .size:           8
        .value_kind:     hidden_global_offset_z
      - .offset:         88
        .size:           2
        .value_kind:     hidden_grid_dims
    .group_segment_fixed_size: 528
    .kernarg_segment_align: 8
    .kernarg_segment_size: 280
    .language:       OpenCL C
    .language_version:
      - 2
      - 0
    .max_flat_workgroup_size: 64
    .name:           _Z6kernelI14inclusive_scanILN6hipcub18BlockScanAlgorithmE1EEdLj64ELj1ELj100EEvPKT0_PS4_S4_
    .private_segment_fixed_size: 0
    .sgpr_count:     18
    .sgpr_spill_count: 0
    .symbol:         _Z6kernelI14inclusive_scanILN6hipcub18BlockScanAlgorithmE1EEdLj64ELj1ELj100EEvPKT0_PS4_S4_.kd
    .uniform_work_group_size: 1
    .uses_dynamic_stack: false
    .vgpr_count:     18
    .vgpr_spill_count: 0
    .wavefront_size: 32
    .workgroup_processor_mode: 1
  - .args:
      - .address_space:  global
        .offset:         0
        .size:           8
        .value_kind:     global_buffer
      - .address_space:  global
        .offset:         8
        .size:           8
        .value_kind:     global_buffer
      - .offset:         16
        .size:           8
        .value_kind:     by_value
      - .offset:         24
        .size:           4
        .value_kind:     hidden_block_count_x
      - .offset:         28
        .size:           4
        .value_kind:     hidden_block_count_y
      - .offset:         32
        .size:           4
        .value_kind:     hidden_block_count_z
      - .offset:         36
        .size:           2
        .value_kind:     hidden_group_size_x
      - .offset:         38
        .size:           2
        .value_kind:     hidden_group_size_y
      - .offset:         40
        .size:           2
        .value_kind:     hidden_group_size_z
      - .offset:         42
        .size:           2
        .value_kind:     hidden_remainder_x
      - .offset:         44
        .size:           2
        .value_kind:     hidden_remainder_y
      - .offset:         46
        .size:           2
        .value_kind:     hidden_remainder_z
      - .offset:         64
        .size:           8
        .value_kind:     hidden_global_offset_x
      - .offset:         72
        .size:           8
        .value_kind:     hidden_global_offset_y
      - .offset:         80
        .size:           8
        .value_kind:     hidden_global_offset_z
      - .offset:         88
        .size:           2
        .value_kind:     hidden_grid_dims
    .group_segment_fixed_size: 528
    .kernarg_segment_align: 8
    .kernarg_segment_size: 280
    .language:       OpenCL C
    .language_version:
      - 2
      - 0
    .max_flat_workgroup_size: 64
    .name:           _Z6kernelI14inclusive_scanILN6hipcub18BlockScanAlgorithmE1EEdLj64ELj3ELj100EEvPKT0_PS4_S4_
    .private_segment_fixed_size: 0
    .sgpr_count:     18
    .sgpr_spill_count: 0
    .symbol:         _Z6kernelI14inclusive_scanILN6hipcub18BlockScanAlgorithmE1EEdLj64ELj3ELj100EEvPKT0_PS4_S4_.kd
    .uniform_work_group_size: 1
    .uses_dynamic_stack: false
    .vgpr_count:     29
    .vgpr_spill_count: 0
    .wavefront_size: 32
    .workgroup_processor_mode: 1
  - .args:
      - .address_space:  global
        .offset:         0
        .size:           8
        .value_kind:     global_buffer
      - .address_space:  global
        .offset:         8
        .size:           8
        .value_kind:     global_buffer
      - .offset:         16
        .size:           8
        .value_kind:     by_value
      - .offset:         24
        .size:           4
        .value_kind:     hidden_block_count_x
      - .offset:         28
        .size:           4
        .value_kind:     hidden_block_count_y
      - .offset:         32
        .size:           4
        .value_kind:     hidden_block_count_z
      - .offset:         36
        .size:           2
        .value_kind:     hidden_group_size_x
      - .offset:         38
        .size:           2
        .value_kind:     hidden_group_size_y
      - .offset:         40
        .size:           2
        .value_kind:     hidden_group_size_z
      - .offset:         42
        .size:           2
        .value_kind:     hidden_remainder_x
      - .offset:         44
        .size:           2
        .value_kind:     hidden_remainder_y
      - .offset:         46
        .size:           2
        .value_kind:     hidden_remainder_z
      - .offset:         64
        .size:           8
        .value_kind:     hidden_global_offset_x
      - .offset:         72
        .size:           8
        .value_kind:     hidden_global_offset_y
      - .offset:         80
        .size:           8
        .value_kind:     hidden_global_offset_z
      - .offset:         88
        .size:           2
        .value_kind:     hidden_grid_dims
    .group_segment_fixed_size: 528
    .kernarg_segment_align: 8
    .kernarg_segment_size: 280
    .language:       OpenCL C
    .language_version:
      - 2
      - 0
    .max_flat_workgroup_size: 64
    .name:           _Z6kernelI14inclusive_scanILN6hipcub18BlockScanAlgorithmE1EEdLj64ELj4ELj100EEvPKT0_PS4_S4_
    .private_segment_fixed_size: 0
    .sgpr_count:     18
    .sgpr_spill_count: 0
    .symbol:         _Z6kernelI14inclusive_scanILN6hipcub18BlockScanAlgorithmE1EEdLj64ELj4ELj100EEvPKT0_PS4_S4_.kd
    .uniform_work_group_size: 1
    .uses_dynamic_stack: false
    .vgpr_count:     26
    .vgpr_spill_count: 0
    .wavefront_size: 32
    .workgroup_processor_mode: 1
  - .args:
      - .address_space:  global
        .offset:         0
        .size:           8
        .value_kind:     global_buffer
      - .address_space:  global
        .offset:         8
        .size:           8
        .value_kind:     global_buffer
      - .offset:         16
        .size:           8
        .value_kind:     by_value
      - .offset:         24
        .size:           4
        .value_kind:     hidden_block_count_x
      - .offset:         28
        .size:           4
        .value_kind:     hidden_block_count_y
      - .offset:         32
        .size:           4
        .value_kind:     hidden_block_count_z
      - .offset:         36
        .size:           2
        .value_kind:     hidden_group_size_x
      - .offset:         38
        .size:           2
        .value_kind:     hidden_group_size_y
      - .offset:         40
        .size:           2
        .value_kind:     hidden_group_size_z
      - .offset:         42
        .size:           2
        .value_kind:     hidden_remainder_x
      - .offset:         44
        .size:           2
        .value_kind:     hidden_remainder_y
      - .offset:         46
        .size:           2
        .value_kind:     hidden_remainder_z
      - .offset:         64
        .size:           8
        .value_kind:     hidden_global_offset_x
      - .offset:         72
        .size:           8
        .value_kind:     hidden_global_offset_y
      - .offset:         80
        .size:           8
        .value_kind:     hidden_global_offset_z
      - .offset:         88
        .size:           2
        .value_kind:     hidden_grid_dims
    .group_segment_fixed_size: 528
    .kernarg_segment_align: 8
    .kernarg_segment_size: 280
    .language:       OpenCL C
    .language_version:
      - 2
      - 0
    .max_flat_workgroup_size: 64
    .name:           _Z6kernelI14inclusive_scanILN6hipcub18BlockScanAlgorithmE1EEdLj64ELj8ELj100EEvPKT0_PS4_S4_
    .private_segment_fixed_size: 0
    .sgpr_count:     18
    .sgpr_spill_count: 0
    .symbol:         _Z6kernelI14inclusive_scanILN6hipcub18BlockScanAlgorithmE1EEdLj64ELj8ELj100EEvPKT0_PS4_S4_.kd
    .uniform_work_group_size: 1
    .uses_dynamic_stack: false
    .vgpr_count:     34
    .vgpr_spill_count: 0
    .wavefront_size: 32
    .workgroup_processor_mode: 1
  - .args:
      - .address_space:  global
        .offset:         0
        .size:           8
        .value_kind:     global_buffer
      - .address_space:  global
        .offset:         8
        .size:           8
        .value_kind:     global_buffer
      - .offset:         16
        .size:           8
        .value_kind:     by_value
      - .offset:         24
        .size:           4
        .value_kind:     hidden_block_count_x
      - .offset:         28
        .size:           4
        .value_kind:     hidden_block_count_y
      - .offset:         32
        .size:           4
        .value_kind:     hidden_block_count_z
      - .offset:         36
        .size:           2
        .value_kind:     hidden_group_size_x
      - .offset:         38
        .size:           2
        .value_kind:     hidden_group_size_y
      - .offset:         40
        .size:           2
        .value_kind:     hidden_group_size_z
      - .offset:         42
        .size:           2
        .value_kind:     hidden_remainder_x
      - .offset:         44
        .size:           2
        .value_kind:     hidden_remainder_y
      - .offset:         46
        .size:           2
        .value_kind:     hidden_remainder_z
      - .offset:         64
        .size:           8
        .value_kind:     hidden_global_offset_x
      - .offset:         72
        .size:           8
        .value_kind:     hidden_global_offset_y
      - .offset:         80
        .size:           8
        .value_kind:     hidden_global_offset_z
      - .offset:         88
        .size:           2
        .value_kind:     hidden_grid_dims
    .group_segment_fixed_size: 528
    .kernarg_segment_align: 8
    .kernarg_segment_size: 280
    .language:       OpenCL C
    .language_version:
      - 2
      - 0
    .max_flat_workgroup_size: 64
    .name:           _Z6kernelI14inclusive_scanILN6hipcub18BlockScanAlgorithmE1EEdLj64ELj11ELj100EEvPKT0_PS4_S4_
    .private_segment_fixed_size: 0
    .sgpr_count:     18
    .sgpr_spill_count: 0
    .symbol:         _Z6kernelI14inclusive_scanILN6hipcub18BlockScanAlgorithmE1EEdLj64ELj11ELj100EEvPKT0_PS4_S4_.kd
    .uniform_work_group_size: 1
    .uses_dynamic_stack: false
    .vgpr_count:     59
    .vgpr_spill_count: 0
    .wavefront_size: 32
    .workgroup_processor_mode: 1
  - .args:
      - .address_space:  global
        .offset:         0
        .size:           8
        .value_kind:     global_buffer
      - .address_space:  global
        .offset:         8
        .size:           8
        .value_kind:     global_buffer
      - .offset:         16
        .size:           8
        .value_kind:     by_value
      - .offset:         24
        .size:           4
        .value_kind:     hidden_block_count_x
      - .offset:         28
        .size:           4
        .value_kind:     hidden_block_count_y
      - .offset:         32
        .size:           4
        .value_kind:     hidden_block_count_z
      - .offset:         36
        .size:           2
        .value_kind:     hidden_group_size_x
      - .offset:         38
        .size:           2
        .value_kind:     hidden_group_size_y
      - .offset:         40
        .size:           2
        .value_kind:     hidden_group_size_z
      - .offset:         42
        .size:           2
        .value_kind:     hidden_remainder_x
      - .offset:         44
        .size:           2
        .value_kind:     hidden_remainder_y
      - .offset:         46
        .size:           2
        .value_kind:     hidden_remainder_z
      - .offset:         64
        .size:           8
        .value_kind:     hidden_global_offset_x
      - .offset:         72
        .size:           8
        .value_kind:     hidden_global_offset_y
      - .offset:         80
        .size:           8
        .value_kind:     hidden_global_offset_z
      - .offset:         88
        .size:           2
        .value_kind:     hidden_grid_dims
    .group_segment_fixed_size: 528
    .kernarg_segment_align: 8
    .kernarg_segment_size: 280
    .language:       OpenCL C
    .language_version:
      - 2
      - 0
    .max_flat_workgroup_size: 64
    .name:           _Z6kernelI14inclusive_scanILN6hipcub18BlockScanAlgorithmE1EEdLj64ELj16ELj100EEvPKT0_PS4_S4_
    .private_segment_fixed_size: 0
    .sgpr_count:     18
    .sgpr_spill_count: 0
    .symbol:         _Z6kernelI14inclusive_scanILN6hipcub18BlockScanAlgorithmE1EEdLj64ELj16ELj100EEvPKT0_PS4_S4_.kd
    .uniform_work_group_size: 1
    .uses_dynamic_stack: false
    .vgpr_count:     49
    .vgpr_spill_count: 0
    .wavefront_size: 32
    .workgroup_processor_mode: 1
  - .args:
      - .address_space:  global
        .offset:         0
        .size:           8
        .value_kind:     global_buffer
      - .address_space:  global
        .offset:         8
        .size:           8
        .value_kind:     global_buffer
      - .offset:         16
        .size:           1
        .value_kind:     by_value
      - .offset:         24
        .size:           4
        .value_kind:     hidden_block_count_x
      - .offset:         28
        .size:           4
        .value_kind:     hidden_block_count_y
      - .offset:         32
        .size:           4
        .value_kind:     hidden_block_count_z
      - .offset:         36
        .size:           2
        .value_kind:     hidden_group_size_x
      - .offset:         38
        .size:           2
        .value_kind:     hidden_group_size_y
      - .offset:         40
        .size:           2
        .value_kind:     hidden_group_size_z
      - .offset:         42
        .size:           2
        .value_kind:     hidden_remainder_x
      - .offset:         44
        .size:           2
        .value_kind:     hidden_remainder_y
      - .offset:         46
        .size:           2
        .value_kind:     hidden_remainder_z
      - .offset:         64
        .size:           8
        .value_kind:     hidden_global_offset_x
      - .offset:         72
        .size:           8
        .value_kind:     hidden_global_offset_y
      - .offset:         80
        .size:           8
        .value_kind:     hidden_global_offset_z
      - .offset:         88
        .size:           2
        .value_kind:     hidden_grid_dims
    .group_segment_fixed_size: 66
    .kernarg_segment_align: 8
    .kernarg_segment_size: 280
    .language:       OpenCL C
    .language_version:
      - 2
      - 0
    .max_flat_workgroup_size: 64
    .name:           _Z6kernelI14inclusive_scanILN6hipcub18BlockScanAlgorithmE1EEhLj64ELj1ELj100EEvPKT0_PS4_S4_
    .private_segment_fixed_size: 0
    .sgpr_count:     18
    .sgpr_spill_count: 0
    .symbol:         _Z6kernelI14inclusive_scanILN6hipcub18BlockScanAlgorithmE1EEhLj64ELj1ELj100EEvPKT0_PS4_S4_.kd
    .uniform_work_group_size: 1
    .uses_dynamic_stack: false
    .vgpr_count:     12
    .vgpr_spill_count: 0
    .wavefront_size: 32
    .workgroup_processor_mode: 1
  - .args:
      - .address_space:  global
        .offset:         0
        .size:           8
        .value_kind:     global_buffer
      - .address_space:  global
        .offset:         8
        .size:           8
        .value_kind:     global_buffer
      - .offset:         16
        .size:           1
        .value_kind:     by_value
      - .offset:         24
        .size:           4
        .value_kind:     hidden_block_count_x
      - .offset:         28
        .size:           4
        .value_kind:     hidden_block_count_y
      - .offset:         32
        .size:           4
        .value_kind:     hidden_block_count_z
      - .offset:         36
        .size:           2
        .value_kind:     hidden_group_size_x
      - .offset:         38
        .size:           2
        .value_kind:     hidden_group_size_y
      - .offset:         40
        .size:           2
        .value_kind:     hidden_group_size_z
      - .offset:         42
        .size:           2
        .value_kind:     hidden_remainder_x
      - .offset:         44
        .size:           2
        .value_kind:     hidden_remainder_y
      - .offset:         46
        .size:           2
        .value_kind:     hidden_remainder_z
      - .offset:         64
        .size:           8
        .value_kind:     hidden_global_offset_x
      - .offset:         72
        .size:           8
        .value_kind:     hidden_global_offset_y
      - .offset:         80
        .size:           8
        .value_kind:     hidden_global_offset_z
      - .offset:         88
        .size:           2
        .value_kind:     hidden_grid_dims
    .group_segment_fixed_size: 66
    .kernarg_segment_align: 8
    .kernarg_segment_size: 280
    .language:       OpenCL C
    .language_version:
      - 2
      - 0
    .max_flat_workgroup_size: 64
    .name:           _Z6kernelI14inclusive_scanILN6hipcub18BlockScanAlgorithmE1EEhLj64ELj3ELj100EEvPKT0_PS4_S4_
    .private_segment_fixed_size: 0
    .sgpr_count:     18
    .sgpr_spill_count: 0
    .symbol:         _Z6kernelI14inclusive_scanILN6hipcub18BlockScanAlgorithmE1EEhLj64ELj3ELj100EEvPKT0_PS4_S4_.kd
    .uniform_work_group_size: 1
    .uses_dynamic_stack: false
    .vgpr_count:     18
    .vgpr_spill_count: 0
    .wavefront_size: 32
    .workgroup_processor_mode: 1
  - .args:
      - .address_space:  global
        .offset:         0
        .size:           8
        .value_kind:     global_buffer
      - .address_space:  global
        .offset:         8
        .size:           8
        .value_kind:     global_buffer
      - .offset:         16
        .size:           1
        .value_kind:     by_value
      - .offset:         24
        .size:           4
        .value_kind:     hidden_block_count_x
      - .offset:         28
        .size:           4
        .value_kind:     hidden_block_count_y
      - .offset:         32
        .size:           4
        .value_kind:     hidden_block_count_z
      - .offset:         36
        .size:           2
        .value_kind:     hidden_group_size_x
      - .offset:         38
        .size:           2
        .value_kind:     hidden_group_size_y
      - .offset:         40
        .size:           2
        .value_kind:     hidden_group_size_z
      - .offset:         42
        .size:           2
        .value_kind:     hidden_remainder_x
      - .offset:         44
        .size:           2
        .value_kind:     hidden_remainder_y
      - .offset:         46
        .size:           2
        .value_kind:     hidden_remainder_z
      - .offset:         64
        .size:           8
        .value_kind:     hidden_global_offset_x
      - .offset:         72
        .size:           8
        .value_kind:     hidden_global_offset_y
      - .offset:         80
        .size:           8
        .value_kind:     hidden_global_offset_z
      - .offset:         88
        .size:           2
        .value_kind:     hidden_grid_dims
    .group_segment_fixed_size: 66
    .kernarg_segment_align: 8
    .kernarg_segment_size: 280
    .language:       OpenCL C
    .language_version:
      - 2
      - 0
    .max_flat_workgroup_size: 64
    .name:           _Z6kernelI14inclusive_scanILN6hipcub18BlockScanAlgorithmE1EEhLj64ELj4ELj100EEvPKT0_PS4_S4_
    .private_segment_fixed_size: 0
    .sgpr_count:     18
    .sgpr_spill_count: 0
    .symbol:         _Z6kernelI14inclusive_scanILN6hipcub18BlockScanAlgorithmE1EEhLj64ELj4ELj100EEvPKT0_PS4_S4_.kd
    .uniform_work_group_size: 1
    .uses_dynamic_stack: false
    .vgpr_count:     17
    .vgpr_spill_count: 0
    .wavefront_size: 32
    .workgroup_processor_mode: 1
  - .args:
      - .address_space:  global
        .offset:         0
        .size:           8
        .value_kind:     global_buffer
      - .address_space:  global
        .offset:         8
        .size:           8
        .value_kind:     global_buffer
      - .offset:         16
        .size:           1
        .value_kind:     by_value
      - .offset:         24
        .size:           4
        .value_kind:     hidden_block_count_x
      - .offset:         28
        .size:           4
        .value_kind:     hidden_block_count_y
      - .offset:         32
        .size:           4
        .value_kind:     hidden_block_count_z
      - .offset:         36
        .size:           2
        .value_kind:     hidden_group_size_x
      - .offset:         38
        .size:           2
        .value_kind:     hidden_group_size_y
      - .offset:         40
        .size:           2
        .value_kind:     hidden_group_size_z
      - .offset:         42
        .size:           2
        .value_kind:     hidden_remainder_x
      - .offset:         44
        .size:           2
        .value_kind:     hidden_remainder_y
      - .offset:         46
        .size:           2
        .value_kind:     hidden_remainder_z
      - .offset:         64
        .size:           8
        .value_kind:     hidden_global_offset_x
      - .offset:         72
        .size:           8
        .value_kind:     hidden_global_offset_y
      - .offset:         80
        .size:           8
        .value_kind:     hidden_global_offset_z
      - .offset:         88
        .size:           2
        .value_kind:     hidden_grid_dims
    .group_segment_fixed_size: 66
    .kernarg_segment_align: 8
    .kernarg_segment_size: 280
    .language:       OpenCL C
    .language_version:
      - 2
      - 0
    .max_flat_workgroup_size: 64
    .name:           _Z6kernelI14inclusive_scanILN6hipcub18BlockScanAlgorithmE1EEhLj64ELj8ELj100EEvPKT0_PS4_S4_
    .private_segment_fixed_size: 0
    .sgpr_count:     18
    .sgpr_spill_count: 0
    .symbol:         _Z6kernelI14inclusive_scanILN6hipcub18BlockScanAlgorithmE1EEhLj64ELj8ELj100EEvPKT0_PS4_S4_.kd
    .uniform_work_group_size: 1
    .uses_dynamic_stack: false
    .vgpr_count:     21
    .vgpr_spill_count: 0
    .wavefront_size: 32
    .workgroup_processor_mode: 1
  - .args:
      - .address_space:  global
        .offset:         0
        .size:           8
        .value_kind:     global_buffer
      - .address_space:  global
        .offset:         8
        .size:           8
        .value_kind:     global_buffer
      - .offset:         16
        .size:           1
        .value_kind:     by_value
      - .offset:         24
        .size:           4
        .value_kind:     hidden_block_count_x
      - .offset:         28
        .size:           4
        .value_kind:     hidden_block_count_y
      - .offset:         32
        .size:           4
        .value_kind:     hidden_block_count_z
      - .offset:         36
        .size:           2
        .value_kind:     hidden_group_size_x
      - .offset:         38
        .size:           2
        .value_kind:     hidden_group_size_y
      - .offset:         40
        .size:           2
        .value_kind:     hidden_group_size_z
      - .offset:         42
        .size:           2
        .value_kind:     hidden_remainder_x
      - .offset:         44
        .size:           2
        .value_kind:     hidden_remainder_y
      - .offset:         46
        .size:           2
        .value_kind:     hidden_remainder_z
      - .offset:         64
        .size:           8
        .value_kind:     hidden_global_offset_x
      - .offset:         72
        .size:           8
        .value_kind:     hidden_global_offset_y
      - .offset:         80
        .size:           8
        .value_kind:     hidden_global_offset_z
      - .offset:         88
        .size:           2
        .value_kind:     hidden_grid_dims
    .group_segment_fixed_size: 66
    .kernarg_segment_align: 8
    .kernarg_segment_size: 280
    .language:       OpenCL C
    .language_version:
      - 2
      - 0
    .max_flat_workgroup_size: 64
    .name:           _Z6kernelI14inclusive_scanILN6hipcub18BlockScanAlgorithmE1EEhLj64ELj11ELj100EEvPKT0_PS4_S4_
    .private_segment_fixed_size: 0
    .sgpr_count:     18
    .sgpr_spill_count: 0
    .symbol:         _Z6kernelI14inclusive_scanILN6hipcub18BlockScanAlgorithmE1EEhLj64ELj11ELj100EEvPKT0_PS4_S4_.kd
    .uniform_work_group_size: 1
    .uses_dynamic_stack: false
    .vgpr_count:     37
    .vgpr_spill_count: 0
    .wavefront_size: 32
    .workgroup_processor_mode: 1
  - .args:
      - .address_space:  global
        .offset:         0
        .size:           8
        .value_kind:     global_buffer
      - .address_space:  global
        .offset:         8
        .size:           8
        .value_kind:     global_buffer
      - .offset:         16
        .size:           1
        .value_kind:     by_value
      - .offset:         24
        .size:           4
        .value_kind:     hidden_block_count_x
      - .offset:         28
        .size:           4
        .value_kind:     hidden_block_count_y
      - .offset:         32
        .size:           4
        .value_kind:     hidden_block_count_z
      - .offset:         36
        .size:           2
        .value_kind:     hidden_group_size_x
      - .offset:         38
        .size:           2
        .value_kind:     hidden_group_size_y
      - .offset:         40
        .size:           2
        .value_kind:     hidden_group_size_z
      - .offset:         42
        .size:           2
        .value_kind:     hidden_remainder_x
      - .offset:         44
        .size:           2
        .value_kind:     hidden_remainder_y
      - .offset:         46
        .size:           2
        .value_kind:     hidden_remainder_z
      - .offset:         64
        .size:           8
        .value_kind:     hidden_global_offset_x
      - .offset:         72
        .size:           8
        .value_kind:     hidden_global_offset_y
      - .offset:         80
        .size:           8
        .value_kind:     hidden_global_offset_z
      - .offset:         88
        .size:           2
        .value_kind:     hidden_grid_dims
    .group_segment_fixed_size: 66
    .kernarg_segment_align: 8
    .kernarg_segment_size: 280
    .language:       OpenCL C
    .language_version:
      - 2
      - 0
    .max_flat_workgroup_size: 64
    .name:           _Z6kernelI14inclusive_scanILN6hipcub18BlockScanAlgorithmE1EEhLj64ELj16ELj100EEvPKT0_PS4_S4_
    .private_segment_fixed_size: 0
    .sgpr_count:     18
    .sgpr_spill_count: 0
    .symbol:         _Z6kernelI14inclusive_scanILN6hipcub18BlockScanAlgorithmE1EEhLj64ELj16ELj100EEvPKT0_PS4_S4_.kd
    .uniform_work_group_size: 1
    .uses_dynamic_stack: false
    .vgpr_count:     29
    .vgpr_spill_count: 0
    .wavefront_size: 32
    .workgroup_processor_mode: 1
  - .args:
      - .address_space:  global
        .offset:         0
        .size:           8
        .value_kind:     global_buffer
      - .address_space:  global
        .offset:         8
        .size:           8
        .value_kind:     global_buffer
      - .offset:         16
        .size:           4
        .value_kind:     by_value
      - .offset:         24
        .size:           4
        .value_kind:     hidden_block_count_x
      - .offset:         28
        .size:           4
        .value_kind:     hidden_block_count_y
      - .offset:         32
        .size:           4
        .value_kind:     hidden_block_count_z
      - .offset:         36
        .size:           2
        .value_kind:     hidden_group_size_x
      - .offset:         38
        .size:           2
        .value_kind:     hidden_group_size_y
      - .offset:         40
        .size:           2
        .value_kind:     hidden_group_size_z
      - .offset:         42
        .size:           2
        .value_kind:     hidden_remainder_x
      - .offset:         44
        .size:           2
        .value_kind:     hidden_remainder_y
      - .offset:         46
        .size:           2
        .value_kind:     hidden_remainder_z
      - .offset:         64
        .size:           8
        .value_kind:     hidden_global_offset_x
      - .offset:         72
        .size:           8
        .value_kind:     hidden_global_offset_y
      - .offset:         80
        .size:           8
        .value_kind:     hidden_global_offset_z
      - .offset:         88
        .size:           2
        .value_kind:     hidden_grid_dims
    .group_segment_fixed_size: 1056
    .kernarg_segment_align: 8
    .kernarg_segment_size: 280
    .language:       OpenCL C
    .language_version:
      - 2
      - 0
    .max_flat_workgroup_size: 256
    .name:           _Z6kernelI14inclusive_scanILN6hipcub18BlockScanAlgorithmE1EEiLj256ELj1ELj100EEvPKT0_PS4_S4_
    .private_segment_fixed_size: 0
    .sgpr_count:     18
    .sgpr_spill_count: 0
    .symbol:         _Z6kernelI14inclusive_scanILN6hipcub18BlockScanAlgorithmE1EEiLj256ELj1ELj100EEvPKT0_PS4_S4_.kd
    .uniform_work_group_size: 1
    .uses_dynamic_stack: false
    .vgpr_count:     20
    .vgpr_spill_count: 0
    .wavefront_size: 32
    .workgroup_processor_mode: 1
  - .args:
      - .address_space:  global
        .offset:         0
        .size:           8
        .value_kind:     global_buffer
      - .address_space:  global
        .offset:         8
        .size:           8
        .value_kind:     global_buffer
      - .offset:         16
        .size:           4
        .value_kind:     by_value
      - .offset:         24
        .size:           4
        .value_kind:     hidden_block_count_x
      - .offset:         28
        .size:           4
        .value_kind:     hidden_block_count_y
      - .offset:         32
        .size:           4
        .value_kind:     hidden_block_count_z
      - .offset:         36
        .size:           2
        .value_kind:     hidden_group_size_x
      - .offset:         38
        .size:           2
        .value_kind:     hidden_group_size_y
      - .offset:         40
        .size:           2
        .value_kind:     hidden_group_size_z
      - .offset:         42
        .size:           2
        .value_kind:     hidden_remainder_x
      - .offset:         44
        .size:           2
        .value_kind:     hidden_remainder_y
      - .offset:         46
        .size:           2
        .value_kind:     hidden_remainder_z
      - .offset:         64
        .size:           8
        .value_kind:     hidden_global_offset_x
      - .offset:         72
        .size:           8
        .value_kind:     hidden_global_offset_y
      - .offset:         80
        .size:           8
        .value_kind:     hidden_global_offset_z
      - .offset:         88
        .size:           2
        .value_kind:     hidden_grid_dims
    .group_segment_fixed_size: 1056
    .kernarg_segment_align: 8
    .kernarg_segment_size: 280
    .language:       OpenCL C
    .language_version:
      - 2
      - 0
    .max_flat_workgroup_size: 256
    .name:           _Z6kernelI14inclusive_scanILN6hipcub18BlockScanAlgorithmE1EEiLj256ELj3ELj100EEvPKT0_PS4_S4_
    .private_segment_fixed_size: 0
    .sgpr_count:     18
    .sgpr_spill_count: 0
    .symbol:         _Z6kernelI14inclusive_scanILN6hipcub18BlockScanAlgorithmE1EEiLj256ELj3ELj100EEvPKT0_PS4_S4_.kd
    .uniform_work_group_size: 1
    .uses_dynamic_stack: false
    .vgpr_count:     28
    .vgpr_spill_count: 0
    .wavefront_size: 32
    .workgroup_processor_mode: 1
  - .args:
      - .address_space:  global
        .offset:         0
        .size:           8
        .value_kind:     global_buffer
      - .address_space:  global
        .offset:         8
        .size:           8
        .value_kind:     global_buffer
      - .offset:         16
        .size:           4
        .value_kind:     by_value
      - .offset:         24
        .size:           4
        .value_kind:     hidden_block_count_x
      - .offset:         28
        .size:           4
        .value_kind:     hidden_block_count_y
      - .offset:         32
        .size:           4
        .value_kind:     hidden_block_count_z
      - .offset:         36
        .size:           2
        .value_kind:     hidden_group_size_x
      - .offset:         38
        .size:           2
        .value_kind:     hidden_group_size_y
      - .offset:         40
        .size:           2
        .value_kind:     hidden_group_size_z
      - .offset:         42
        .size:           2
        .value_kind:     hidden_remainder_x
      - .offset:         44
        .size:           2
        .value_kind:     hidden_remainder_y
      - .offset:         46
        .size:           2
        .value_kind:     hidden_remainder_z
      - .offset:         64
        .size:           8
        .value_kind:     hidden_global_offset_x
      - .offset:         72
        .size:           8
        .value_kind:     hidden_global_offset_y
      - .offset:         80
        .size:           8
        .value_kind:     hidden_global_offset_z
      - .offset:         88
        .size:           2
        .value_kind:     hidden_grid_dims
    .group_segment_fixed_size: 1056
    .kernarg_segment_align: 8
    .kernarg_segment_size: 280
    .language:       OpenCL C
    .language_version:
      - 2
      - 0
    .max_flat_workgroup_size: 256
    .name:           _Z6kernelI14inclusive_scanILN6hipcub18BlockScanAlgorithmE1EEiLj256ELj4ELj100EEvPKT0_PS4_S4_
    .private_segment_fixed_size: 0
    .sgpr_count:     18
    .sgpr_spill_count: 0
    .symbol:         _Z6kernelI14inclusive_scanILN6hipcub18BlockScanAlgorithmE1EEiLj256ELj4ELj100EEvPKT0_PS4_S4_.kd
    .uniform_work_group_size: 1
    .uses_dynamic_stack: false
    .vgpr_count:     25
    .vgpr_spill_count: 0
    .wavefront_size: 32
    .workgroup_processor_mode: 1
  - .args:
      - .address_space:  global
        .offset:         0
        .size:           8
        .value_kind:     global_buffer
      - .address_space:  global
        .offset:         8
        .size:           8
        .value_kind:     global_buffer
      - .offset:         16
        .size:           4
        .value_kind:     by_value
      - .offset:         24
        .size:           4
        .value_kind:     hidden_block_count_x
      - .offset:         28
        .size:           4
        .value_kind:     hidden_block_count_y
      - .offset:         32
        .size:           4
        .value_kind:     hidden_block_count_z
      - .offset:         36
        .size:           2
        .value_kind:     hidden_group_size_x
      - .offset:         38
        .size:           2
        .value_kind:     hidden_group_size_y
      - .offset:         40
        .size:           2
        .value_kind:     hidden_group_size_z
      - .offset:         42
        .size:           2
        .value_kind:     hidden_remainder_x
      - .offset:         44
        .size:           2
        .value_kind:     hidden_remainder_y
      - .offset:         46
        .size:           2
        .value_kind:     hidden_remainder_z
      - .offset:         64
        .size:           8
        .value_kind:     hidden_global_offset_x
      - .offset:         72
        .size:           8
        .value_kind:     hidden_global_offset_y
      - .offset:         80
        .size:           8
        .value_kind:     hidden_global_offset_z
      - .offset:         88
        .size:           2
        .value_kind:     hidden_grid_dims
    .group_segment_fixed_size: 1056
    .kernarg_segment_align: 8
    .kernarg_segment_size: 280
    .language:       OpenCL C
    .language_version:
      - 2
      - 0
    .max_flat_workgroup_size: 256
    .name:           _Z6kernelI14inclusive_scanILN6hipcub18BlockScanAlgorithmE1EEiLj256ELj8ELj100EEvPKT0_PS4_S4_
    .private_segment_fixed_size: 0
    .sgpr_count:     18
    .sgpr_spill_count: 0
    .symbol:         _Z6kernelI14inclusive_scanILN6hipcub18BlockScanAlgorithmE1EEiLj256ELj8ELj100EEvPKT0_PS4_S4_.kd
    .uniform_work_group_size: 1
    .uses_dynamic_stack: false
    .vgpr_count:     29
    .vgpr_spill_count: 0
    .wavefront_size: 32
    .workgroup_processor_mode: 1
  - .args:
      - .address_space:  global
        .offset:         0
        .size:           8
        .value_kind:     global_buffer
      - .address_space:  global
        .offset:         8
        .size:           8
        .value_kind:     global_buffer
      - .offset:         16
        .size:           4
        .value_kind:     by_value
      - .offset:         24
        .size:           4
        .value_kind:     hidden_block_count_x
      - .offset:         28
        .size:           4
        .value_kind:     hidden_block_count_y
      - .offset:         32
        .size:           4
        .value_kind:     hidden_block_count_z
      - .offset:         36
        .size:           2
        .value_kind:     hidden_group_size_x
      - .offset:         38
        .size:           2
        .value_kind:     hidden_group_size_y
      - .offset:         40
        .size:           2
        .value_kind:     hidden_group_size_z
      - .offset:         42
        .size:           2
        .value_kind:     hidden_remainder_x
      - .offset:         44
        .size:           2
        .value_kind:     hidden_remainder_y
      - .offset:         46
        .size:           2
        .value_kind:     hidden_remainder_z
      - .offset:         64
        .size:           8
        .value_kind:     hidden_global_offset_x
      - .offset:         72
        .size:           8
        .value_kind:     hidden_global_offset_y
      - .offset:         80
        .size:           8
        .value_kind:     hidden_global_offset_z
      - .offset:         88
        .size:           2
        .value_kind:     hidden_grid_dims
    .group_segment_fixed_size: 1056
    .kernarg_segment_align: 8
    .kernarg_segment_size: 280
    .language:       OpenCL C
    .language_version:
      - 2
      - 0
    .max_flat_workgroup_size: 256
    .name:           _Z6kernelI14inclusive_scanILN6hipcub18BlockScanAlgorithmE1EEiLj256ELj11ELj100EEvPKT0_PS4_S4_
    .private_segment_fixed_size: 0
    .sgpr_count:     18
    .sgpr_spill_count: 0
    .symbol:         _Z6kernelI14inclusive_scanILN6hipcub18BlockScanAlgorithmE1EEiLj256ELj11ELj100EEvPKT0_PS4_S4_.kd
    .uniform_work_group_size: 1
    .uses_dynamic_stack: false
    .vgpr_count:     52
    .vgpr_spill_count: 0
    .wavefront_size: 32
    .workgroup_processor_mode: 1
  - .args:
      - .address_space:  global
        .offset:         0
        .size:           8
        .value_kind:     global_buffer
      - .address_space:  global
        .offset:         8
        .size:           8
        .value_kind:     global_buffer
      - .offset:         16
        .size:           4
        .value_kind:     by_value
      - .offset:         24
        .size:           4
        .value_kind:     hidden_block_count_x
      - .offset:         28
        .size:           4
        .value_kind:     hidden_block_count_y
      - .offset:         32
        .size:           4
        .value_kind:     hidden_block_count_z
      - .offset:         36
        .size:           2
        .value_kind:     hidden_group_size_x
      - .offset:         38
        .size:           2
        .value_kind:     hidden_group_size_y
      - .offset:         40
        .size:           2
        .value_kind:     hidden_group_size_z
      - .offset:         42
        .size:           2
        .value_kind:     hidden_remainder_x
      - .offset:         44
        .size:           2
        .value_kind:     hidden_remainder_y
      - .offset:         46
        .size:           2
        .value_kind:     hidden_remainder_z
      - .offset:         64
        .size:           8
        .value_kind:     hidden_global_offset_x
      - .offset:         72
        .size:           8
        .value_kind:     hidden_global_offset_y
      - .offset:         80
        .size:           8
        .value_kind:     hidden_global_offset_z
      - .offset:         88
        .size:           2
        .value_kind:     hidden_grid_dims
    .group_segment_fixed_size: 1056
    .kernarg_segment_align: 8
    .kernarg_segment_size: 280
    .language:       OpenCL C
    .language_version:
      - 2
      - 0
    .max_flat_workgroup_size: 256
    .name:           _Z6kernelI14inclusive_scanILN6hipcub18BlockScanAlgorithmE1EEiLj256ELj16ELj100EEvPKT0_PS4_S4_
    .private_segment_fixed_size: 0
    .sgpr_count:     18
    .sgpr_spill_count: 0
    .symbol:         _Z6kernelI14inclusive_scanILN6hipcub18BlockScanAlgorithmE1EEiLj256ELj16ELj100EEvPKT0_PS4_S4_.kd
    .uniform_work_group_size: 1
    .uses_dynamic_stack: false
    .vgpr_count:     37
    .vgpr_spill_count: 0
    .wavefront_size: 32
    .workgroup_processor_mode: 1
  - .args:
      - .address_space:  global
        .offset:         0
        .size:           8
        .value_kind:     global_buffer
      - .address_space:  global
        .offset:         8
        .size:           8
        .value_kind:     global_buffer
      - .offset:         16
        .size:           4
        .value_kind:     by_value
      - .offset:         24
        .size:           4
        .value_kind:     hidden_block_count_x
      - .offset:         28
        .size:           4
        .value_kind:     hidden_block_count_y
      - .offset:         32
        .size:           4
        .value_kind:     hidden_block_count_z
      - .offset:         36
        .size:           2
        .value_kind:     hidden_group_size_x
      - .offset:         38
        .size:           2
        .value_kind:     hidden_group_size_y
      - .offset:         40
        .size:           2
        .value_kind:     hidden_group_size_z
      - .offset:         42
        .size:           2
        .value_kind:     hidden_remainder_x
      - .offset:         44
        .size:           2
        .value_kind:     hidden_remainder_y
      - .offset:         46
        .size:           2
        .value_kind:     hidden_remainder_z
      - .offset:         64
        .size:           8
        .value_kind:     hidden_global_offset_x
      - .offset:         72
        .size:           8
        .value_kind:     hidden_global_offset_y
      - .offset:         80
        .size:           8
        .value_kind:     hidden_global_offset_z
      - .offset:         88
        .size:           2
        .value_kind:     hidden_grid_dims
    .group_segment_fixed_size: 1056
    .kernarg_segment_align: 8
    .kernarg_segment_size: 280
    .language:       OpenCL C
    .language_version:
      - 2
      - 0
    .max_flat_workgroup_size: 256
    .name:           _Z6kernelI14inclusive_scanILN6hipcub18BlockScanAlgorithmE1EEfLj256ELj1ELj100EEvPKT0_PS4_S4_
    .private_segment_fixed_size: 0
    .sgpr_count:     18
    .sgpr_spill_count: 0
    .symbol:         _Z6kernelI14inclusive_scanILN6hipcub18BlockScanAlgorithmE1EEfLj256ELj1ELj100EEvPKT0_PS4_S4_.kd
    .uniform_work_group_size: 1
    .uses_dynamic_stack: false
    .vgpr_count:     20
    .vgpr_spill_count: 0
    .wavefront_size: 32
    .workgroup_processor_mode: 1
  - .args:
      - .address_space:  global
        .offset:         0
        .size:           8
        .value_kind:     global_buffer
      - .address_space:  global
        .offset:         8
        .size:           8
        .value_kind:     global_buffer
      - .offset:         16
        .size:           4
        .value_kind:     by_value
      - .offset:         24
        .size:           4
        .value_kind:     hidden_block_count_x
      - .offset:         28
        .size:           4
        .value_kind:     hidden_block_count_y
      - .offset:         32
        .size:           4
        .value_kind:     hidden_block_count_z
      - .offset:         36
        .size:           2
        .value_kind:     hidden_group_size_x
      - .offset:         38
        .size:           2
        .value_kind:     hidden_group_size_y
      - .offset:         40
        .size:           2
        .value_kind:     hidden_group_size_z
      - .offset:         42
        .size:           2
        .value_kind:     hidden_remainder_x
      - .offset:         44
        .size:           2
        .value_kind:     hidden_remainder_y
      - .offset:         46
        .size:           2
        .value_kind:     hidden_remainder_z
      - .offset:         64
        .size:           8
        .value_kind:     hidden_global_offset_x
      - .offset:         72
        .size:           8
        .value_kind:     hidden_global_offset_y
      - .offset:         80
        .size:           8
        .value_kind:     hidden_global_offset_z
      - .offset:         88
        .size:           2
        .value_kind:     hidden_grid_dims
    .group_segment_fixed_size: 1056
    .kernarg_segment_align: 8
    .kernarg_segment_size: 280
    .language:       OpenCL C
    .language_version:
      - 2
      - 0
    .max_flat_workgroup_size: 256
    .name:           _Z6kernelI14inclusive_scanILN6hipcub18BlockScanAlgorithmE1EEfLj256ELj3ELj100EEvPKT0_PS4_S4_
    .private_segment_fixed_size: 0
    .sgpr_count:     18
    .sgpr_spill_count: 0
    .symbol:         _Z6kernelI14inclusive_scanILN6hipcub18BlockScanAlgorithmE1EEfLj256ELj3ELj100EEvPKT0_PS4_S4_.kd
    .uniform_work_group_size: 1
    .uses_dynamic_stack: false
    .vgpr_count:     28
    .vgpr_spill_count: 0
    .wavefront_size: 32
    .workgroup_processor_mode: 1
  - .args:
      - .address_space:  global
        .offset:         0
        .size:           8
        .value_kind:     global_buffer
      - .address_space:  global
        .offset:         8
        .size:           8
        .value_kind:     global_buffer
      - .offset:         16
        .size:           4
        .value_kind:     by_value
      - .offset:         24
        .size:           4
        .value_kind:     hidden_block_count_x
      - .offset:         28
        .size:           4
        .value_kind:     hidden_block_count_y
      - .offset:         32
        .size:           4
        .value_kind:     hidden_block_count_z
      - .offset:         36
        .size:           2
        .value_kind:     hidden_group_size_x
      - .offset:         38
        .size:           2
        .value_kind:     hidden_group_size_y
      - .offset:         40
        .size:           2
        .value_kind:     hidden_group_size_z
      - .offset:         42
        .size:           2
        .value_kind:     hidden_remainder_x
      - .offset:         44
        .size:           2
        .value_kind:     hidden_remainder_y
      - .offset:         46
        .size:           2
        .value_kind:     hidden_remainder_z
      - .offset:         64
        .size:           8
        .value_kind:     hidden_global_offset_x
      - .offset:         72
        .size:           8
        .value_kind:     hidden_global_offset_y
      - .offset:         80
        .size:           8
        .value_kind:     hidden_global_offset_z
      - .offset:         88
        .size:           2
        .value_kind:     hidden_grid_dims
    .group_segment_fixed_size: 1056
    .kernarg_segment_align: 8
    .kernarg_segment_size: 280
    .language:       OpenCL C
    .language_version:
      - 2
      - 0
    .max_flat_workgroup_size: 256
    .name:           _Z6kernelI14inclusive_scanILN6hipcub18BlockScanAlgorithmE1EEfLj256ELj4ELj100EEvPKT0_PS4_S4_
    .private_segment_fixed_size: 0
    .sgpr_count:     18
    .sgpr_spill_count: 0
    .symbol:         _Z6kernelI14inclusive_scanILN6hipcub18BlockScanAlgorithmE1EEfLj256ELj4ELj100EEvPKT0_PS4_S4_.kd
    .uniform_work_group_size: 1
    .uses_dynamic_stack: false
    .vgpr_count:     25
    .vgpr_spill_count: 0
    .wavefront_size: 32
    .workgroup_processor_mode: 1
  - .args:
      - .address_space:  global
        .offset:         0
        .size:           8
        .value_kind:     global_buffer
      - .address_space:  global
        .offset:         8
        .size:           8
        .value_kind:     global_buffer
      - .offset:         16
        .size:           4
        .value_kind:     by_value
      - .offset:         24
        .size:           4
        .value_kind:     hidden_block_count_x
      - .offset:         28
        .size:           4
        .value_kind:     hidden_block_count_y
      - .offset:         32
        .size:           4
        .value_kind:     hidden_block_count_z
      - .offset:         36
        .size:           2
        .value_kind:     hidden_group_size_x
      - .offset:         38
        .size:           2
        .value_kind:     hidden_group_size_y
      - .offset:         40
        .size:           2
        .value_kind:     hidden_group_size_z
      - .offset:         42
        .size:           2
        .value_kind:     hidden_remainder_x
      - .offset:         44
        .size:           2
        .value_kind:     hidden_remainder_y
      - .offset:         46
        .size:           2
        .value_kind:     hidden_remainder_z
      - .offset:         64
        .size:           8
        .value_kind:     hidden_global_offset_x
      - .offset:         72
        .size:           8
        .value_kind:     hidden_global_offset_y
      - .offset:         80
        .size:           8
        .value_kind:     hidden_global_offset_z
      - .offset:         88
        .size:           2
        .value_kind:     hidden_grid_dims
    .group_segment_fixed_size: 1056
    .kernarg_segment_align: 8
    .kernarg_segment_size: 280
    .language:       OpenCL C
    .language_version:
      - 2
      - 0
    .max_flat_workgroup_size: 256
    .name:           _Z6kernelI14inclusive_scanILN6hipcub18BlockScanAlgorithmE1EEfLj256ELj8ELj100EEvPKT0_PS4_S4_
    .private_segment_fixed_size: 0
    .sgpr_count:     18
    .sgpr_spill_count: 0
    .symbol:         _Z6kernelI14inclusive_scanILN6hipcub18BlockScanAlgorithmE1EEfLj256ELj8ELj100EEvPKT0_PS4_S4_.kd
    .uniform_work_group_size: 1
    .uses_dynamic_stack: false
    .vgpr_count:     29
    .vgpr_spill_count: 0
    .wavefront_size: 32
    .workgroup_processor_mode: 1
  - .args:
      - .address_space:  global
        .offset:         0
        .size:           8
        .value_kind:     global_buffer
      - .address_space:  global
        .offset:         8
        .size:           8
        .value_kind:     global_buffer
      - .offset:         16
        .size:           4
        .value_kind:     by_value
      - .offset:         24
        .size:           4
        .value_kind:     hidden_block_count_x
      - .offset:         28
        .size:           4
        .value_kind:     hidden_block_count_y
      - .offset:         32
        .size:           4
        .value_kind:     hidden_block_count_z
      - .offset:         36
        .size:           2
        .value_kind:     hidden_group_size_x
      - .offset:         38
        .size:           2
        .value_kind:     hidden_group_size_y
      - .offset:         40
        .size:           2
        .value_kind:     hidden_group_size_z
      - .offset:         42
        .size:           2
        .value_kind:     hidden_remainder_x
      - .offset:         44
        .size:           2
        .value_kind:     hidden_remainder_y
      - .offset:         46
        .size:           2
        .value_kind:     hidden_remainder_z
      - .offset:         64
        .size:           8
        .value_kind:     hidden_global_offset_x
      - .offset:         72
        .size:           8
        .value_kind:     hidden_global_offset_y
      - .offset:         80
        .size:           8
        .value_kind:     hidden_global_offset_z
      - .offset:         88
        .size:           2
        .value_kind:     hidden_grid_dims
    .group_segment_fixed_size: 1056
    .kernarg_segment_align: 8
    .kernarg_segment_size: 280
    .language:       OpenCL C
    .language_version:
      - 2
      - 0
    .max_flat_workgroup_size: 256
    .name:           _Z6kernelI14inclusive_scanILN6hipcub18BlockScanAlgorithmE1EEfLj256ELj11ELj100EEvPKT0_PS4_S4_
    .private_segment_fixed_size: 0
    .sgpr_count:     18
    .sgpr_spill_count: 0
    .symbol:         _Z6kernelI14inclusive_scanILN6hipcub18BlockScanAlgorithmE1EEfLj256ELj11ELj100EEvPKT0_PS4_S4_.kd
    .uniform_work_group_size: 1
    .uses_dynamic_stack: false
    .vgpr_count:     52
    .vgpr_spill_count: 0
    .wavefront_size: 32
    .workgroup_processor_mode: 1
  - .args:
      - .address_space:  global
        .offset:         0
        .size:           8
        .value_kind:     global_buffer
      - .address_space:  global
        .offset:         8
        .size:           8
        .value_kind:     global_buffer
      - .offset:         16
        .size:           4
        .value_kind:     by_value
      - .offset:         24
        .size:           4
        .value_kind:     hidden_block_count_x
      - .offset:         28
        .size:           4
        .value_kind:     hidden_block_count_y
      - .offset:         32
        .size:           4
        .value_kind:     hidden_block_count_z
      - .offset:         36
        .size:           2
        .value_kind:     hidden_group_size_x
      - .offset:         38
        .size:           2
        .value_kind:     hidden_group_size_y
      - .offset:         40
        .size:           2
        .value_kind:     hidden_group_size_z
      - .offset:         42
        .size:           2
        .value_kind:     hidden_remainder_x
      - .offset:         44
        .size:           2
        .value_kind:     hidden_remainder_y
      - .offset:         46
        .size:           2
        .value_kind:     hidden_remainder_z
      - .offset:         64
        .size:           8
        .value_kind:     hidden_global_offset_x
      - .offset:         72
        .size:           8
        .value_kind:     hidden_global_offset_y
      - .offset:         80
        .size:           8
        .value_kind:     hidden_global_offset_z
      - .offset:         88
        .size:           2
        .value_kind:     hidden_grid_dims
    .group_segment_fixed_size: 1056
    .kernarg_segment_align: 8
    .kernarg_segment_size: 280
    .language:       OpenCL C
    .language_version:
      - 2
      - 0
    .max_flat_workgroup_size: 256
    .name:           _Z6kernelI14inclusive_scanILN6hipcub18BlockScanAlgorithmE1EEfLj256ELj16ELj100EEvPKT0_PS4_S4_
    .private_segment_fixed_size: 0
    .sgpr_count:     18
    .sgpr_spill_count: 0
    .symbol:         _Z6kernelI14inclusive_scanILN6hipcub18BlockScanAlgorithmE1EEfLj256ELj16ELj100EEvPKT0_PS4_S4_.kd
    .uniform_work_group_size: 1
    .uses_dynamic_stack: false
    .vgpr_count:     37
    .vgpr_spill_count: 0
    .wavefront_size: 32
    .workgroup_processor_mode: 1
  - .args:
      - .address_space:  global
        .offset:         0
        .size:           8
        .value_kind:     global_buffer
      - .address_space:  global
        .offset:         8
        .size:           8
        .value_kind:     global_buffer
      - .offset:         16
        .size:           8
        .value_kind:     by_value
      - .offset:         24
        .size:           4
        .value_kind:     hidden_block_count_x
      - .offset:         28
        .size:           4
        .value_kind:     hidden_block_count_y
      - .offset:         32
        .size:           4
        .value_kind:     hidden_block_count_z
      - .offset:         36
        .size:           2
        .value_kind:     hidden_group_size_x
      - .offset:         38
        .size:           2
        .value_kind:     hidden_group_size_y
      - .offset:         40
        .size:           2
        .value_kind:     hidden_group_size_z
      - .offset:         42
        .size:           2
        .value_kind:     hidden_remainder_x
      - .offset:         44
        .size:           2
        .value_kind:     hidden_remainder_y
      - .offset:         46
        .size:           2
        .value_kind:     hidden_remainder_z
      - .offset:         64
        .size:           8
        .value_kind:     hidden_global_offset_x
      - .offset:         72
        .size:           8
        .value_kind:     hidden_global_offset_y
      - .offset:         80
        .size:           8
        .value_kind:     hidden_global_offset_z
      - .offset:         88
        .size:           2
        .value_kind:     hidden_grid_dims
    .group_segment_fixed_size: 2112
    .kernarg_segment_align: 8
    .kernarg_segment_size: 280
    .language:       OpenCL C
    .language_version:
      - 2
      - 0
    .max_flat_workgroup_size: 256
    .name:           _Z6kernelI14inclusive_scanILN6hipcub18BlockScanAlgorithmE1EEdLj256ELj1ELj100EEvPKT0_PS4_S4_
    .private_segment_fixed_size: 0
    .sgpr_count:     18
    .sgpr_spill_count: 0
    .symbol:         _Z6kernelI14inclusive_scanILN6hipcub18BlockScanAlgorithmE1EEdLj256ELj1ELj100EEvPKT0_PS4_S4_.kd
    .uniform_work_group_size: 1
    .uses_dynamic_stack: false
    .vgpr_count:     29
    .vgpr_spill_count: 0
    .wavefront_size: 32
    .workgroup_processor_mode: 1
  - .args:
      - .address_space:  global
        .offset:         0
        .size:           8
        .value_kind:     global_buffer
      - .address_space:  global
        .offset:         8
        .size:           8
        .value_kind:     global_buffer
      - .offset:         16
        .size:           8
        .value_kind:     by_value
      - .offset:         24
        .size:           4
        .value_kind:     hidden_block_count_x
      - .offset:         28
        .size:           4
        .value_kind:     hidden_block_count_y
      - .offset:         32
        .size:           4
        .value_kind:     hidden_block_count_z
      - .offset:         36
        .size:           2
        .value_kind:     hidden_group_size_x
      - .offset:         38
        .size:           2
        .value_kind:     hidden_group_size_y
      - .offset:         40
        .size:           2
        .value_kind:     hidden_group_size_z
      - .offset:         42
        .size:           2
        .value_kind:     hidden_remainder_x
      - .offset:         44
        .size:           2
        .value_kind:     hidden_remainder_y
      - .offset:         46
        .size:           2
        .value_kind:     hidden_remainder_z
      - .offset:         64
        .size:           8
        .value_kind:     hidden_global_offset_x
      - .offset:         72
        .size:           8
        .value_kind:     hidden_global_offset_y
      - .offset:         80
        .size:           8
        .value_kind:     hidden_global_offset_z
      - .offset:         88
        .size:           2
        .value_kind:     hidden_grid_dims
    .group_segment_fixed_size: 2112
    .kernarg_segment_align: 8
    .kernarg_segment_size: 280
    .language:       OpenCL C
    .language_version:
      - 2
      - 0
    .max_flat_workgroup_size: 256
    .name:           _Z6kernelI14inclusive_scanILN6hipcub18BlockScanAlgorithmE1EEdLj256ELj3ELj100EEvPKT0_PS4_S4_
    .private_segment_fixed_size: 0
    .sgpr_count:     18
    .sgpr_spill_count: 0
    .symbol:         _Z6kernelI14inclusive_scanILN6hipcub18BlockScanAlgorithmE1EEdLj256ELj3ELj100EEvPKT0_PS4_S4_.kd
    .uniform_work_group_size: 1
    .uses_dynamic_stack: false
    .vgpr_count:     40
    .vgpr_spill_count: 0
    .wavefront_size: 32
    .workgroup_processor_mode: 1
  - .args:
      - .address_space:  global
        .offset:         0
        .size:           8
        .value_kind:     global_buffer
      - .address_space:  global
        .offset:         8
        .size:           8
        .value_kind:     global_buffer
      - .offset:         16
        .size:           8
        .value_kind:     by_value
      - .offset:         24
        .size:           4
        .value_kind:     hidden_block_count_x
      - .offset:         28
        .size:           4
        .value_kind:     hidden_block_count_y
      - .offset:         32
        .size:           4
        .value_kind:     hidden_block_count_z
      - .offset:         36
        .size:           2
        .value_kind:     hidden_group_size_x
      - .offset:         38
        .size:           2
        .value_kind:     hidden_group_size_y
      - .offset:         40
        .size:           2
        .value_kind:     hidden_group_size_z
      - .offset:         42
        .size:           2
        .value_kind:     hidden_remainder_x
      - .offset:         44
        .size:           2
        .value_kind:     hidden_remainder_y
      - .offset:         46
        .size:           2
        .value_kind:     hidden_remainder_z
      - .offset:         64
        .size:           8
        .value_kind:     hidden_global_offset_x
      - .offset:         72
        .size:           8
        .value_kind:     hidden_global_offset_y
      - .offset:         80
        .size:           8
        .value_kind:     hidden_global_offset_z
      - .offset:         88
        .size:           2
        .value_kind:     hidden_grid_dims
    .group_segment_fixed_size: 2112
    .kernarg_segment_align: 8
    .kernarg_segment_size: 280
    .language:       OpenCL C
    .language_version:
      - 2
      - 0
    .max_flat_workgroup_size: 256
    .name:           _Z6kernelI14inclusive_scanILN6hipcub18BlockScanAlgorithmE1EEdLj256ELj4ELj100EEvPKT0_PS4_S4_
    .private_segment_fixed_size: 0
    .sgpr_count:     18
    .sgpr_spill_count: 0
    .symbol:         _Z6kernelI14inclusive_scanILN6hipcub18BlockScanAlgorithmE1EEdLj256ELj4ELj100EEvPKT0_PS4_S4_.kd
    .uniform_work_group_size: 1
    .uses_dynamic_stack: false
    .vgpr_count:     38
    .vgpr_spill_count: 0
    .wavefront_size: 32
    .workgroup_processor_mode: 1
  - .args:
      - .address_space:  global
        .offset:         0
        .size:           8
        .value_kind:     global_buffer
      - .address_space:  global
        .offset:         8
        .size:           8
        .value_kind:     global_buffer
      - .offset:         16
        .size:           8
        .value_kind:     by_value
      - .offset:         24
        .size:           4
        .value_kind:     hidden_block_count_x
      - .offset:         28
        .size:           4
        .value_kind:     hidden_block_count_y
      - .offset:         32
        .size:           4
        .value_kind:     hidden_block_count_z
      - .offset:         36
        .size:           2
        .value_kind:     hidden_group_size_x
      - .offset:         38
        .size:           2
        .value_kind:     hidden_group_size_y
      - .offset:         40
        .size:           2
        .value_kind:     hidden_group_size_z
      - .offset:         42
        .size:           2
        .value_kind:     hidden_remainder_x
      - .offset:         44
        .size:           2
        .value_kind:     hidden_remainder_y
      - .offset:         46
        .size:           2
        .value_kind:     hidden_remainder_z
      - .offset:         64
        .size:           8
        .value_kind:     hidden_global_offset_x
      - .offset:         72
        .size:           8
        .value_kind:     hidden_global_offset_y
      - .offset:         80
        .size:           8
        .value_kind:     hidden_global_offset_z
      - .offset:         88
        .size:           2
        .value_kind:     hidden_grid_dims
    .group_segment_fixed_size: 2112
    .kernarg_segment_align: 8
    .kernarg_segment_size: 280
    .language:       OpenCL C
    .language_version:
      - 2
      - 0
    .max_flat_workgroup_size: 256
    .name:           _Z6kernelI14inclusive_scanILN6hipcub18BlockScanAlgorithmE1EEdLj256ELj8ELj100EEvPKT0_PS4_S4_
    .private_segment_fixed_size: 0
    .sgpr_count:     18
    .sgpr_spill_count: 0
    .symbol:         _Z6kernelI14inclusive_scanILN6hipcub18BlockScanAlgorithmE1EEdLj256ELj8ELj100EEvPKT0_PS4_S4_.kd
    .uniform_work_group_size: 1
    .uses_dynamic_stack: false
    .vgpr_count:     46
    .vgpr_spill_count: 0
    .wavefront_size: 32
    .workgroup_processor_mode: 1
  - .args:
      - .address_space:  global
        .offset:         0
        .size:           8
        .value_kind:     global_buffer
      - .address_space:  global
        .offset:         8
        .size:           8
        .value_kind:     global_buffer
      - .offset:         16
        .size:           8
        .value_kind:     by_value
      - .offset:         24
        .size:           4
        .value_kind:     hidden_block_count_x
      - .offset:         28
        .size:           4
        .value_kind:     hidden_block_count_y
      - .offset:         32
        .size:           4
        .value_kind:     hidden_block_count_z
      - .offset:         36
        .size:           2
        .value_kind:     hidden_group_size_x
      - .offset:         38
        .size:           2
        .value_kind:     hidden_group_size_y
      - .offset:         40
        .size:           2
        .value_kind:     hidden_group_size_z
      - .offset:         42
        .size:           2
        .value_kind:     hidden_remainder_x
      - .offset:         44
        .size:           2
        .value_kind:     hidden_remainder_y
      - .offset:         46
        .size:           2
        .value_kind:     hidden_remainder_z
      - .offset:         64
        .size:           8
        .value_kind:     hidden_global_offset_x
      - .offset:         72
        .size:           8
        .value_kind:     hidden_global_offset_y
      - .offset:         80
        .size:           8
        .value_kind:     hidden_global_offset_z
      - .offset:         88
        .size:           2
        .value_kind:     hidden_grid_dims
    .group_segment_fixed_size: 2112
    .kernarg_segment_align: 8
    .kernarg_segment_size: 280
    .language:       OpenCL C
    .language_version:
      - 2
      - 0
    .max_flat_workgroup_size: 256
    .name:           _Z6kernelI14inclusive_scanILN6hipcub18BlockScanAlgorithmE1EEdLj256ELj11ELj100EEvPKT0_PS4_S4_
    .private_segment_fixed_size: 0
    .sgpr_count:     18
    .sgpr_spill_count: 0
    .symbol:         _Z6kernelI14inclusive_scanILN6hipcub18BlockScanAlgorithmE1EEdLj256ELj11ELj100EEvPKT0_PS4_S4_.kd
    .uniform_work_group_size: 1
    .uses_dynamic_stack: false
    .vgpr_count:     71
    .vgpr_spill_count: 0
    .wavefront_size: 32
    .workgroup_processor_mode: 1
  - .args:
      - .address_space:  global
        .offset:         0
        .size:           8
        .value_kind:     global_buffer
      - .address_space:  global
        .offset:         8
        .size:           8
        .value_kind:     global_buffer
      - .offset:         16
        .size:           8
        .value_kind:     by_value
      - .offset:         24
        .size:           4
        .value_kind:     hidden_block_count_x
      - .offset:         28
        .size:           4
        .value_kind:     hidden_block_count_y
      - .offset:         32
        .size:           4
        .value_kind:     hidden_block_count_z
      - .offset:         36
        .size:           2
        .value_kind:     hidden_group_size_x
      - .offset:         38
        .size:           2
        .value_kind:     hidden_group_size_y
      - .offset:         40
        .size:           2
        .value_kind:     hidden_group_size_z
      - .offset:         42
        .size:           2
        .value_kind:     hidden_remainder_x
      - .offset:         44
        .size:           2
        .value_kind:     hidden_remainder_y
      - .offset:         46
        .size:           2
        .value_kind:     hidden_remainder_z
      - .offset:         64
        .size:           8
        .value_kind:     hidden_global_offset_x
      - .offset:         72
        .size:           8
        .value_kind:     hidden_global_offset_y
      - .offset:         80
        .size:           8
        .value_kind:     hidden_global_offset_z
      - .offset:         88
        .size:           2
        .value_kind:     hidden_grid_dims
    .group_segment_fixed_size: 2112
    .kernarg_segment_align: 8
    .kernarg_segment_size: 280
    .language:       OpenCL C
    .language_version:
      - 2
      - 0
    .max_flat_workgroup_size: 256
    .name:           _Z6kernelI14inclusive_scanILN6hipcub18BlockScanAlgorithmE1EEdLj256ELj16ELj100EEvPKT0_PS4_S4_
    .private_segment_fixed_size: 0
    .sgpr_count:     18
    .sgpr_spill_count: 0
    .symbol:         _Z6kernelI14inclusive_scanILN6hipcub18BlockScanAlgorithmE1EEdLj256ELj16ELj100EEvPKT0_PS4_S4_.kd
    .uniform_work_group_size: 1
    .uses_dynamic_stack: false
    .vgpr_count:     61
    .vgpr_spill_count: 0
    .wavefront_size: 32
    .workgroup_processor_mode: 1
  - .args:
      - .address_space:  global
        .offset:         0
        .size:           8
        .value_kind:     global_buffer
      - .address_space:  global
        .offset:         8
        .size:           8
        .value_kind:     global_buffer
      - .offset:         16
        .size:           1
        .value_kind:     by_value
      - .offset:         24
        .size:           4
        .value_kind:     hidden_block_count_x
      - .offset:         28
        .size:           4
        .value_kind:     hidden_block_count_y
      - .offset:         32
        .size:           4
        .value_kind:     hidden_block_count_z
      - .offset:         36
        .size:           2
        .value_kind:     hidden_group_size_x
      - .offset:         38
        .size:           2
        .value_kind:     hidden_group_size_y
      - .offset:         40
        .size:           2
        .value_kind:     hidden_group_size_z
      - .offset:         42
        .size:           2
        .value_kind:     hidden_remainder_x
      - .offset:         44
        .size:           2
        .value_kind:     hidden_remainder_y
      - .offset:         46
        .size:           2
        .value_kind:     hidden_remainder_z
      - .offset:         64
        .size:           8
        .value_kind:     hidden_global_offset_x
      - .offset:         72
        .size:           8
        .value_kind:     hidden_global_offset_y
      - .offset:         80
        .size:           8
        .value_kind:     hidden_global_offset_z
      - .offset:         88
        .size:           2
        .value_kind:     hidden_grid_dims
    .group_segment_fixed_size: 264
    .kernarg_segment_align: 8
    .kernarg_segment_size: 280
    .language:       OpenCL C
    .language_version:
      - 2
      - 0
    .max_flat_workgroup_size: 256
    .name:           _Z6kernelI14inclusive_scanILN6hipcub18BlockScanAlgorithmE1EEhLj256ELj1ELj100EEvPKT0_PS4_S4_
    .private_segment_fixed_size: 0
    .sgpr_count:     18
    .sgpr_spill_count: 0
    .symbol:         _Z6kernelI14inclusive_scanILN6hipcub18BlockScanAlgorithmE1EEhLj256ELj1ELj100EEvPKT0_PS4_S4_.kd
    .uniform_work_group_size: 1
    .uses_dynamic_stack: false
    .vgpr_count:     19
    .vgpr_spill_count: 0
    .wavefront_size: 32
    .workgroup_processor_mode: 1
  - .args:
      - .address_space:  global
        .offset:         0
        .size:           8
        .value_kind:     global_buffer
      - .address_space:  global
        .offset:         8
        .size:           8
        .value_kind:     global_buffer
      - .offset:         16
        .size:           1
        .value_kind:     by_value
      - .offset:         24
        .size:           4
        .value_kind:     hidden_block_count_x
      - .offset:         28
        .size:           4
        .value_kind:     hidden_block_count_y
      - .offset:         32
        .size:           4
        .value_kind:     hidden_block_count_z
      - .offset:         36
        .size:           2
        .value_kind:     hidden_group_size_x
      - .offset:         38
        .size:           2
        .value_kind:     hidden_group_size_y
      - .offset:         40
        .size:           2
        .value_kind:     hidden_group_size_z
      - .offset:         42
        .size:           2
        .value_kind:     hidden_remainder_x
      - .offset:         44
        .size:           2
        .value_kind:     hidden_remainder_y
      - .offset:         46
        .size:           2
        .value_kind:     hidden_remainder_z
      - .offset:         64
        .size:           8
        .value_kind:     hidden_global_offset_x
      - .offset:         72
        .size:           8
        .value_kind:     hidden_global_offset_y
      - .offset:         80
        .size:           8
        .value_kind:     hidden_global_offset_z
      - .offset:         88
        .size:           2
        .value_kind:     hidden_grid_dims
    .group_segment_fixed_size: 264
    .kernarg_segment_align: 8
    .kernarg_segment_size: 280
    .language:       OpenCL C
    .language_version:
      - 2
      - 0
    .max_flat_workgroup_size: 256
    .name:           _Z6kernelI14inclusive_scanILN6hipcub18BlockScanAlgorithmE1EEhLj256ELj3ELj100EEvPKT0_PS4_S4_
    .private_segment_fixed_size: 0
    .sgpr_count:     18
    .sgpr_spill_count: 0
    .symbol:         _Z6kernelI14inclusive_scanILN6hipcub18BlockScanAlgorithmE1EEhLj256ELj3ELj100EEvPKT0_PS4_S4_.kd
    .uniform_work_group_size: 1
    .uses_dynamic_stack: false
    .vgpr_count:     25
    .vgpr_spill_count: 0
    .wavefront_size: 32
    .workgroup_processor_mode: 1
  - .args:
      - .address_space:  global
        .offset:         0
        .size:           8
        .value_kind:     global_buffer
      - .address_space:  global
        .offset:         8
        .size:           8
        .value_kind:     global_buffer
      - .offset:         16
        .size:           1
        .value_kind:     by_value
      - .offset:         24
        .size:           4
        .value_kind:     hidden_block_count_x
      - .offset:         28
        .size:           4
        .value_kind:     hidden_block_count_y
      - .offset:         32
        .size:           4
        .value_kind:     hidden_block_count_z
      - .offset:         36
        .size:           2
        .value_kind:     hidden_group_size_x
      - .offset:         38
        .size:           2
        .value_kind:     hidden_group_size_y
      - .offset:         40
        .size:           2
        .value_kind:     hidden_group_size_z
      - .offset:         42
        .size:           2
        .value_kind:     hidden_remainder_x
      - .offset:         44
        .size:           2
        .value_kind:     hidden_remainder_y
      - .offset:         46
        .size:           2
        .value_kind:     hidden_remainder_z
      - .offset:         64
        .size:           8
        .value_kind:     hidden_global_offset_x
      - .offset:         72
        .size:           8
        .value_kind:     hidden_global_offset_y
      - .offset:         80
        .size:           8
        .value_kind:     hidden_global_offset_z
      - .offset:         88
        .size:           2
        .value_kind:     hidden_grid_dims
    .group_segment_fixed_size: 264
    .kernarg_segment_align: 8
    .kernarg_segment_size: 280
    .language:       OpenCL C
    .language_version:
      - 2
      - 0
    .max_flat_workgroup_size: 256
    .name:           _Z6kernelI14inclusive_scanILN6hipcub18BlockScanAlgorithmE1EEhLj256ELj4ELj100EEvPKT0_PS4_S4_
    .private_segment_fixed_size: 0
    .sgpr_count:     18
    .sgpr_spill_count: 0
    .symbol:         _Z6kernelI14inclusive_scanILN6hipcub18BlockScanAlgorithmE1EEhLj256ELj4ELj100EEvPKT0_PS4_S4_.kd
    .uniform_work_group_size: 1
    .uses_dynamic_stack: false
    .vgpr_count:     24
    .vgpr_spill_count: 0
    .wavefront_size: 32
    .workgroup_processor_mode: 1
  - .args:
      - .address_space:  global
        .offset:         0
        .size:           8
        .value_kind:     global_buffer
      - .address_space:  global
        .offset:         8
        .size:           8
        .value_kind:     global_buffer
      - .offset:         16
        .size:           1
        .value_kind:     by_value
      - .offset:         24
        .size:           4
        .value_kind:     hidden_block_count_x
      - .offset:         28
        .size:           4
        .value_kind:     hidden_block_count_y
      - .offset:         32
        .size:           4
        .value_kind:     hidden_block_count_z
      - .offset:         36
        .size:           2
        .value_kind:     hidden_group_size_x
      - .offset:         38
        .size:           2
        .value_kind:     hidden_group_size_y
      - .offset:         40
        .size:           2
        .value_kind:     hidden_group_size_z
      - .offset:         42
        .size:           2
        .value_kind:     hidden_remainder_x
      - .offset:         44
        .size:           2
        .value_kind:     hidden_remainder_y
      - .offset:         46
        .size:           2
        .value_kind:     hidden_remainder_z
      - .offset:         64
        .size:           8
        .value_kind:     hidden_global_offset_x
      - .offset:         72
        .size:           8
        .value_kind:     hidden_global_offset_y
      - .offset:         80
        .size:           8
        .value_kind:     hidden_global_offset_z
      - .offset:         88
        .size:           2
        .value_kind:     hidden_grid_dims
    .group_segment_fixed_size: 264
    .kernarg_segment_align: 8
    .kernarg_segment_size: 280
    .language:       OpenCL C
    .language_version:
      - 2
      - 0
    .max_flat_workgroup_size: 256
    .name:           _Z6kernelI14inclusive_scanILN6hipcub18BlockScanAlgorithmE1EEhLj256ELj8ELj100EEvPKT0_PS4_S4_
    .private_segment_fixed_size: 0
    .sgpr_count:     18
    .sgpr_spill_count: 0
    .symbol:         _Z6kernelI14inclusive_scanILN6hipcub18BlockScanAlgorithmE1EEhLj256ELj8ELj100EEvPKT0_PS4_S4_.kd
    .uniform_work_group_size: 1
    .uses_dynamic_stack: false
    .vgpr_count:     28
    .vgpr_spill_count: 0
    .wavefront_size: 32
    .workgroup_processor_mode: 1
  - .args:
      - .address_space:  global
        .offset:         0
        .size:           8
        .value_kind:     global_buffer
      - .address_space:  global
        .offset:         8
        .size:           8
        .value_kind:     global_buffer
      - .offset:         16
        .size:           1
        .value_kind:     by_value
      - .offset:         24
        .size:           4
        .value_kind:     hidden_block_count_x
      - .offset:         28
        .size:           4
        .value_kind:     hidden_block_count_y
      - .offset:         32
        .size:           4
        .value_kind:     hidden_block_count_z
      - .offset:         36
        .size:           2
        .value_kind:     hidden_group_size_x
      - .offset:         38
        .size:           2
        .value_kind:     hidden_group_size_y
      - .offset:         40
        .size:           2
        .value_kind:     hidden_group_size_z
      - .offset:         42
        .size:           2
        .value_kind:     hidden_remainder_x
      - .offset:         44
        .size:           2
        .value_kind:     hidden_remainder_y
      - .offset:         46
        .size:           2
        .value_kind:     hidden_remainder_z
      - .offset:         64
        .size:           8
        .value_kind:     hidden_global_offset_x
      - .offset:         72
        .size:           8
        .value_kind:     hidden_global_offset_y
      - .offset:         80
        .size:           8
        .value_kind:     hidden_global_offset_z
      - .offset:         88
        .size:           2
        .value_kind:     hidden_grid_dims
    .group_segment_fixed_size: 264
    .kernarg_segment_align: 8
    .kernarg_segment_size: 280
    .language:       OpenCL C
    .language_version:
      - 2
      - 0
    .max_flat_workgroup_size: 256
    .name:           _Z6kernelI14inclusive_scanILN6hipcub18BlockScanAlgorithmE1EEhLj256ELj11ELj100EEvPKT0_PS4_S4_
    .private_segment_fixed_size: 0
    .sgpr_count:     18
    .sgpr_spill_count: 0
    .symbol:         _Z6kernelI14inclusive_scanILN6hipcub18BlockScanAlgorithmE1EEhLj256ELj11ELj100EEvPKT0_PS4_S4_.kd
    .uniform_work_group_size: 1
    .uses_dynamic_stack: false
    .vgpr_count:     41
    .vgpr_spill_count: 0
    .wavefront_size: 32
    .workgroup_processor_mode: 1
  - .args:
      - .address_space:  global
        .offset:         0
        .size:           8
        .value_kind:     global_buffer
      - .address_space:  global
        .offset:         8
        .size:           8
        .value_kind:     global_buffer
      - .offset:         16
        .size:           1
        .value_kind:     by_value
      - .offset:         24
        .size:           4
        .value_kind:     hidden_block_count_x
      - .offset:         28
        .size:           4
        .value_kind:     hidden_block_count_y
      - .offset:         32
        .size:           4
        .value_kind:     hidden_block_count_z
      - .offset:         36
        .size:           2
        .value_kind:     hidden_group_size_x
      - .offset:         38
        .size:           2
        .value_kind:     hidden_group_size_y
      - .offset:         40
        .size:           2
        .value_kind:     hidden_group_size_z
      - .offset:         42
        .size:           2
        .value_kind:     hidden_remainder_x
      - .offset:         44
        .size:           2
        .value_kind:     hidden_remainder_y
      - .offset:         46
        .size:           2
        .value_kind:     hidden_remainder_z
      - .offset:         64
        .size:           8
        .value_kind:     hidden_global_offset_x
      - .offset:         72
        .size:           8
        .value_kind:     hidden_global_offset_y
      - .offset:         80
        .size:           8
        .value_kind:     hidden_global_offset_z
      - .offset:         88
        .size:           2
        .value_kind:     hidden_grid_dims
    .group_segment_fixed_size: 264
    .kernarg_segment_align: 8
    .kernarg_segment_size: 280
    .language:       OpenCL C
    .language_version:
      - 2
      - 0
    .max_flat_workgroup_size: 256
    .name:           _Z6kernelI14inclusive_scanILN6hipcub18BlockScanAlgorithmE1EEhLj256ELj16ELj100EEvPKT0_PS4_S4_
    .private_segment_fixed_size: 0
    .sgpr_count:     18
    .sgpr_spill_count: 0
    .symbol:         _Z6kernelI14inclusive_scanILN6hipcub18BlockScanAlgorithmE1EEhLj256ELj16ELj100EEvPKT0_PS4_S4_.kd
    .uniform_work_group_size: 1
    .uses_dynamic_stack: false
    .vgpr_count:     36
    .vgpr_spill_count: 0
    .wavefront_size: 32
    .workgroup_processor_mode: 1
  - .args:
      - .address_space:  global
        .offset:         0
        .size:           8
        .value_kind:     global_buffer
      - .address_space:  global
        .offset:         8
        .size:           8
        .value_kind:     global_buffer
      - .offset:         16
        .size:           8
        .value_kind:     by_value
      - .offset:         24
        .size:           4
        .value_kind:     hidden_block_count_x
      - .offset:         28
        .size:           4
        .value_kind:     hidden_block_count_y
      - .offset:         32
        .size:           4
        .value_kind:     hidden_block_count_z
      - .offset:         36
        .size:           2
        .value_kind:     hidden_group_size_x
      - .offset:         38
        .size:           2
        .value_kind:     hidden_group_size_y
      - .offset:         40
        .size:           2
        .value_kind:     hidden_group_size_z
      - .offset:         42
        .size:           2
        .value_kind:     hidden_remainder_x
      - .offset:         44
        .size:           2
        .value_kind:     hidden_remainder_y
      - .offset:         46
        .size:           2
        .value_kind:     hidden_remainder_z
      - .offset:         64
        .size:           8
        .value_kind:     hidden_global_offset_x
      - .offset:         72
        .size:           8
        .value_kind:     hidden_global_offset_y
      - .offset:         80
        .size:           8
        .value_kind:     hidden_global_offset_z
      - .offset:         88
        .size:           2
        .value_kind:     hidden_grid_dims
    .group_segment_fixed_size: 2112
    .kernarg_segment_align: 8
    .kernarg_segment_size: 280
    .language:       OpenCL C
    .language_version:
      - 2
      - 0
    .max_flat_workgroup_size: 256
    .name:           _Z6kernelI14inclusive_scanILN6hipcub18BlockScanAlgorithmE1EEN15benchmark_utils11custom_typeIffEELj256ELj1ELj100EEvPKT0_PS7_S7_
    .private_segment_fixed_size: 0
    .sgpr_count:     18
    .sgpr_spill_count: 0
    .symbol:         _Z6kernelI14inclusive_scanILN6hipcub18BlockScanAlgorithmE1EEN15benchmark_utils11custom_typeIffEELj256ELj1ELj100EEvPKT0_PS7_S7_.kd
    .uniform_work_group_size: 1
    .uses_dynamic_stack: false
    .vgpr_count:     31
    .vgpr_spill_count: 0
    .wavefront_size: 32
    .workgroup_processor_mode: 1
  - .args:
      - .address_space:  global
        .offset:         0
        .size:           8
        .value_kind:     global_buffer
      - .address_space:  global
        .offset:         8
        .size:           8
        .value_kind:     global_buffer
      - .offset:         16
        .size:           8
        .value_kind:     by_value
      - .offset:         24
        .size:           4
        .value_kind:     hidden_block_count_x
      - .offset:         28
        .size:           4
        .value_kind:     hidden_block_count_y
      - .offset:         32
        .size:           4
        .value_kind:     hidden_block_count_z
      - .offset:         36
        .size:           2
        .value_kind:     hidden_group_size_x
      - .offset:         38
        .size:           2
        .value_kind:     hidden_group_size_y
      - .offset:         40
        .size:           2
        .value_kind:     hidden_group_size_z
      - .offset:         42
        .size:           2
        .value_kind:     hidden_remainder_x
      - .offset:         44
        .size:           2
        .value_kind:     hidden_remainder_y
      - .offset:         46
        .size:           2
        .value_kind:     hidden_remainder_z
      - .offset:         64
        .size:           8
        .value_kind:     hidden_global_offset_x
      - .offset:         72
        .size:           8
        .value_kind:     hidden_global_offset_y
      - .offset:         80
        .size:           8
        .value_kind:     hidden_global_offset_z
      - .offset:         88
        .size:           2
        .value_kind:     hidden_grid_dims
    .group_segment_fixed_size: 2112
    .kernarg_segment_align: 8
    .kernarg_segment_size: 280
    .language:       OpenCL C
    .language_version:
      - 2
      - 0
    .max_flat_workgroup_size: 256
    .name:           _Z6kernelI14inclusive_scanILN6hipcub18BlockScanAlgorithmE1EEN15benchmark_utils11custom_typeIffEELj256ELj4ELj100EEvPKT0_PS7_S7_
    .private_segment_fixed_size: 0
    .sgpr_count:     18
    .sgpr_spill_count: 0
    .symbol:         _Z6kernelI14inclusive_scanILN6hipcub18BlockScanAlgorithmE1EEN15benchmark_utils11custom_typeIffEELj256ELj4ELj100EEvPKT0_PS7_S7_.kd
    .uniform_work_group_size: 1
    .uses_dynamic_stack: false
    .vgpr_count:     44
    .vgpr_spill_count: 0
    .wavefront_size: 32
    .workgroup_processor_mode: 1
  - .args:
      - .address_space:  global
        .offset:         0
        .size:           8
        .value_kind:     global_buffer
      - .address_space:  global
        .offset:         8
        .size:           8
        .value_kind:     global_buffer
      - .offset:         16
        .size:           8
        .value_kind:     by_value
      - .offset:         24
        .size:           4
        .value_kind:     hidden_block_count_x
      - .offset:         28
        .size:           4
        .value_kind:     hidden_block_count_y
      - .offset:         32
        .size:           4
        .value_kind:     hidden_block_count_z
      - .offset:         36
        .size:           2
        .value_kind:     hidden_group_size_x
      - .offset:         38
        .size:           2
        .value_kind:     hidden_group_size_y
      - .offset:         40
        .size:           2
        .value_kind:     hidden_group_size_z
      - .offset:         42
        .size:           2
        .value_kind:     hidden_remainder_x
      - .offset:         44
        .size:           2
        .value_kind:     hidden_remainder_y
      - .offset:         46
        .size:           2
        .value_kind:     hidden_remainder_z
      - .offset:         64
        .size:           8
        .value_kind:     hidden_global_offset_x
      - .offset:         72
        .size:           8
        .value_kind:     hidden_global_offset_y
      - .offset:         80
        .size:           8
        .value_kind:     hidden_global_offset_z
      - .offset:         88
        .size:           2
        .value_kind:     hidden_grid_dims
    .group_segment_fixed_size: 2112
    .kernarg_segment_align: 8
    .kernarg_segment_size: 280
    .language:       OpenCL C
    .language_version:
      - 2
      - 0
    .max_flat_workgroup_size: 256
    .name:           _Z6kernelI14inclusive_scanILN6hipcub18BlockScanAlgorithmE1EEN15benchmark_utils11custom_typeIffEELj256ELj8ELj100EEvPKT0_PS7_S7_
    .private_segment_fixed_size: 0
    .sgpr_count:     18
    .sgpr_spill_count: 0
    .symbol:         _Z6kernelI14inclusive_scanILN6hipcub18BlockScanAlgorithmE1EEN15benchmark_utils11custom_typeIffEELj256ELj8ELj100EEvPKT0_PS7_S7_.kd
    .uniform_work_group_size: 1
    .uses_dynamic_stack: false
    .vgpr_count:     59
    .vgpr_spill_count: 0
    .wavefront_size: 32
    .workgroup_processor_mode: 1
  - .args:
      - .address_space:  global
        .offset:         0
        .size:           8
        .value_kind:     global_buffer
      - .address_space:  global
        .offset:         8
        .size:           8
        .value_kind:     global_buffer
      - .offset:         16
        .size:           16
        .value_kind:     by_value
      - .offset:         32
        .size:           4
        .value_kind:     hidden_block_count_x
      - .offset:         36
        .size:           4
        .value_kind:     hidden_block_count_y
      - .offset:         40
        .size:           4
        .value_kind:     hidden_block_count_z
      - .offset:         44
        .size:           2
        .value_kind:     hidden_group_size_x
      - .offset:         46
        .size:           2
        .value_kind:     hidden_group_size_y
      - .offset:         48
        .size:           2
        .value_kind:     hidden_group_size_z
      - .offset:         50
        .size:           2
        .value_kind:     hidden_remainder_x
      - .offset:         52
        .size:           2
        .value_kind:     hidden_remainder_y
      - .offset:         54
        .size:           2
        .value_kind:     hidden_remainder_z
      - .offset:         72
        .size:           8
        .value_kind:     hidden_global_offset_x
      - .offset:         80
        .size:           8
        .value_kind:     hidden_global_offset_y
      - .offset:         88
        .size:           8
        .value_kind:     hidden_global_offset_z
      - .offset:         96
        .size:           2
        .value_kind:     hidden_grid_dims
    .group_segment_fixed_size: 4224
    .kernarg_segment_align: 8
    .kernarg_segment_size: 288
    .language:       OpenCL C
    .language_version:
      - 2
      - 0
    .max_flat_workgroup_size: 256
    .name:           _Z6kernelI14inclusive_scanILN6hipcub18BlockScanAlgorithmE1EEN15benchmark_utils11custom_typeIddEELj256ELj1ELj100EEvPKT0_PS7_S7_
    .private_segment_fixed_size: 0
    .sgpr_count:     18
    .sgpr_spill_count: 0
    .symbol:         _Z6kernelI14inclusive_scanILN6hipcub18BlockScanAlgorithmE1EEN15benchmark_utils11custom_typeIddEELj256ELj1ELj100EEvPKT0_PS7_S7_.kd
    .uniform_work_group_size: 1
    .uses_dynamic_stack: false
    .vgpr_count:     51
    .vgpr_spill_count: 0
    .wavefront_size: 32
    .workgroup_processor_mode: 1
  - .args:
      - .address_space:  global
        .offset:         0
        .size:           8
        .value_kind:     global_buffer
      - .address_space:  global
        .offset:         8
        .size:           8
        .value_kind:     global_buffer
      - .offset:         16
        .size:           16
        .value_kind:     by_value
      - .offset:         32
        .size:           4
        .value_kind:     hidden_block_count_x
      - .offset:         36
        .size:           4
        .value_kind:     hidden_block_count_y
      - .offset:         40
        .size:           4
        .value_kind:     hidden_block_count_z
      - .offset:         44
        .size:           2
        .value_kind:     hidden_group_size_x
      - .offset:         46
        .size:           2
        .value_kind:     hidden_group_size_y
      - .offset:         48
        .size:           2
        .value_kind:     hidden_group_size_z
      - .offset:         50
        .size:           2
        .value_kind:     hidden_remainder_x
      - .offset:         52
        .size:           2
        .value_kind:     hidden_remainder_y
      - .offset:         54
        .size:           2
        .value_kind:     hidden_remainder_z
      - .offset:         72
        .size:           8
        .value_kind:     hidden_global_offset_x
      - .offset:         80
        .size:           8
        .value_kind:     hidden_global_offset_y
      - .offset:         88
        .size:           8
        .value_kind:     hidden_global_offset_z
      - .offset:         96
        .size:           2
        .value_kind:     hidden_grid_dims
    .group_segment_fixed_size: 4224
    .kernarg_segment_align: 8
    .kernarg_segment_size: 288
    .language:       OpenCL C
    .language_version:
      - 2
      - 0
    .max_flat_workgroup_size: 256
    .name:           _Z6kernelI14inclusive_scanILN6hipcub18BlockScanAlgorithmE1EEN15benchmark_utils11custom_typeIddEELj256ELj4ELj100EEvPKT0_PS7_S7_
    .private_segment_fixed_size: 0
    .sgpr_count:     18
    .sgpr_spill_count: 0
    .symbol:         _Z6kernelI14inclusive_scanILN6hipcub18BlockScanAlgorithmE1EEN15benchmark_utils11custom_typeIddEELj256ELj4ELj100EEvPKT0_PS7_S7_.kd
    .uniform_work_group_size: 1
    .uses_dynamic_stack: false
    .vgpr_count:     76
    .vgpr_spill_count: 0
    .wavefront_size: 32
    .workgroup_processor_mode: 1
  - .args:
      - .address_space:  global
        .offset:         0
        .size:           8
        .value_kind:     global_buffer
      - .address_space:  global
        .offset:         8
        .size:           8
        .value_kind:     global_buffer
      - .offset:         16
        .size:           16
        .value_kind:     by_value
      - .offset:         32
        .size:           4
        .value_kind:     hidden_block_count_x
      - .offset:         36
        .size:           4
        .value_kind:     hidden_block_count_y
      - .offset:         40
        .size:           4
        .value_kind:     hidden_block_count_z
      - .offset:         44
        .size:           2
        .value_kind:     hidden_group_size_x
      - .offset:         46
        .size:           2
        .value_kind:     hidden_group_size_y
      - .offset:         48
        .size:           2
        .value_kind:     hidden_group_size_z
      - .offset:         50
        .size:           2
        .value_kind:     hidden_remainder_x
      - .offset:         52
        .size:           2
        .value_kind:     hidden_remainder_y
      - .offset:         54
        .size:           2
        .value_kind:     hidden_remainder_z
      - .offset:         72
        .size:           8
        .value_kind:     hidden_global_offset_x
      - .offset:         80
        .size:           8
        .value_kind:     hidden_global_offset_y
      - .offset:         88
        .size:           8
        .value_kind:     hidden_global_offset_z
      - .offset:         96
        .size:           2
        .value_kind:     hidden_grid_dims
    .group_segment_fixed_size: 4224
    .kernarg_segment_align: 8
    .kernarg_segment_size: 288
    .language:       OpenCL C
    .language_version:
      - 2
      - 0
    .max_flat_workgroup_size: 256
    .name:           _Z6kernelI14inclusive_scanILN6hipcub18BlockScanAlgorithmE1EEN15benchmark_utils11custom_typeIddEELj256ELj8ELj100EEvPKT0_PS7_S7_
    .private_segment_fixed_size: 0
    .sgpr_count:     18
    .sgpr_spill_count: 0
    .symbol:         _Z6kernelI14inclusive_scanILN6hipcub18BlockScanAlgorithmE1EEN15benchmark_utils11custom_typeIddEELj256ELj8ELj100EEvPKT0_PS7_S7_.kd
    .uniform_work_group_size: 1
    .uses_dynamic_stack: false
    .vgpr_count:     107
    .vgpr_spill_count: 0
    .wavefront_size: 32
    .workgroup_processor_mode: 1
  - .args:
      - .address_space:  global
        .offset:         0
        .size:           8
        .value_kind:     global_buffer
      - .address_space:  global
        .offset:         8
        .size:           8
        .value_kind:     global_buffer
      - .offset:         16
        .size:           4
        .value_kind:     by_value
      - .offset:         24
        .size:           4
        .value_kind:     hidden_block_count_x
      - .offset:         28
        .size:           4
        .value_kind:     hidden_block_count_y
      - .offset:         32
        .size:           4
        .value_kind:     hidden_block_count_z
      - .offset:         36
        .size:           2
        .value_kind:     hidden_group_size_x
      - .offset:         38
        .size:           2
        .value_kind:     hidden_group_size_y
      - .offset:         40
        .size:           2
        .value_kind:     hidden_group_size_z
      - .offset:         42
        .size:           2
        .value_kind:     hidden_remainder_x
      - .offset:         44
        .size:           2
        .value_kind:     hidden_remainder_y
      - .offset:         46
        .size:           2
        .value_kind:     hidden_remainder_z
      - .offset:         64
        .size:           8
        .value_kind:     hidden_global_offset_x
      - .offset:         72
        .size:           8
        .value_kind:     hidden_global_offset_y
      - .offset:         80
        .size:           8
        .value_kind:     hidden_global_offset_z
      - .offset:         88
        .size:           2
        .value_kind:     hidden_grid_dims
    .group_segment_fixed_size: 8
    .kernarg_segment_align: 8
    .kernarg_segment_size: 280
    .language:       OpenCL C
    .language_version:
      - 2
      - 0
    .max_flat_workgroup_size: 64
    .name:           _Z6kernelI14inclusive_scanILN6hipcub18BlockScanAlgorithmE0EEiLj64ELj1ELj100EEvPKT0_PS4_S4_
    .private_segment_fixed_size: 0
    .sgpr_count:     18
    .sgpr_spill_count: 0
    .symbol:         _Z6kernelI14inclusive_scanILN6hipcub18BlockScanAlgorithmE0EEiLj64ELj1ELj100EEvPKT0_PS4_S4_.kd
    .uniform_work_group_size: 1
    .uses_dynamic_stack: false
    .vgpr_count:     9
    .vgpr_spill_count: 0
    .wavefront_size: 32
    .workgroup_processor_mode: 1
  - .args:
      - .address_space:  global
        .offset:         0
        .size:           8
        .value_kind:     global_buffer
      - .address_space:  global
        .offset:         8
        .size:           8
        .value_kind:     global_buffer
      - .offset:         16
        .size:           4
        .value_kind:     by_value
      - .offset:         24
        .size:           4
        .value_kind:     hidden_block_count_x
      - .offset:         28
        .size:           4
        .value_kind:     hidden_block_count_y
      - .offset:         32
        .size:           4
        .value_kind:     hidden_block_count_z
      - .offset:         36
        .size:           2
        .value_kind:     hidden_group_size_x
      - .offset:         38
        .size:           2
        .value_kind:     hidden_group_size_y
      - .offset:         40
        .size:           2
        .value_kind:     hidden_group_size_z
      - .offset:         42
        .size:           2
        .value_kind:     hidden_remainder_x
      - .offset:         44
        .size:           2
        .value_kind:     hidden_remainder_y
      - .offset:         46
        .size:           2
        .value_kind:     hidden_remainder_z
      - .offset:         64
        .size:           8
        .value_kind:     hidden_global_offset_x
      - .offset:         72
        .size:           8
        .value_kind:     hidden_global_offset_y
      - .offset:         80
        .size:           8
        .value_kind:     hidden_global_offset_z
      - .offset:         88
        .size:           2
        .value_kind:     hidden_grid_dims
    .group_segment_fixed_size: 8
    .kernarg_segment_align: 8
    .kernarg_segment_size: 280
    .language:       OpenCL C
    .language_version:
      - 2
      - 0
    .max_flat_workgroup_size: 64
    .name:           _Z6kernelI14inclusive_scanILN6hipcub18BlockScanAlgorithmE0EEiLj64ELj3ELj100EEvPKT0_PS4_S4_
    .private_segment_fixed_size: 0
    .sgpr_count:     18
    .sgpr_spill_count: 0
    .symbol:         _Z6kernelI14inclusive_scanILN6hipcub18BlockScanAlgorithmE0EEiLj64ELj3ELj100EEvPKT0_PS4_S4_.kd
    .uniform_work_group_size: 1
    .uses_dynamic_stack: false
    .vgpr_count:     16
    .vgpr_spill_count: 0
    .wavefront_size: 32
    .workgroup_processor_mode: 1
  - .args:
      - .address_space:  global
        .offset:         0
        .size:           8
        .value_kind:     global_buffer
      - .address_space:  global
        .offset:         8
        .size:           8
        .value_kind:     global_buffer
      - .offset:         16
        .size:           4
        .value_kind:     by_value
      - .offset:         24
        .size:           4
        .value_kind:     hidden_block_count_x
      - .offset:         28
        .size:           4
        .value_kind:     hidden_block_count_y
      - .offset:         32
        .size:           4
        .value_kind:     hidden_block_count_z
      - .offset:         36
        .size:           2
        .value_kind:     hidden_group_size_x
      - .offset:         38
        .size:           2
        .value_kind:     hidden_group_size_y
      - .offset:         40
        .size:           2
        .value_kind:     hidden_group_size_z
      - .offset:         42
        .size:           2
        .value_kind:     hidden_remainder_x
      - .offset:         44
        .size:           2
        .value_kind:     hidden_remainder_y
      - .offset:         46
        .size:           2
        .value_kind:     hidden_remainder_z
      - .offset:         64
        .size:           8
        .value_kind:     hidden_global_offset_x
      - .offset:         72
        .size:           8
        .value_kind:     hidden_global_offset_y
      - .offset:         80
        .size:           8
        .value_kind:     hidden_global_offset_z
      - .offset:         88
        .size:           2
        .value_kind:     hidden_grid_dims
    .group_segment_fixed_size: 8
    .kernarg_segment_align: 8
    .kernarg_segment_size: 280
    .language:       OpenCL C
    .language_version:
      - 2
      - 0
    .max_flat_workgroup_size: 64
    .name:           _Z6kernelI14inclusive_scanILN6hipcub18BlockScanAlgorithmE0EEiLj64ELj4ELj100EEvPKT0_PS4_S4_
    .private_segment_fixed_size: 0
    .sgpr_count:     18
    .sgpr_spill_count: 0
    .symbol:         _Z6kernelI14inclusive_scanILN6hipcub18BlockScanAlgorithmE0EEiLj64ELj4ELj100EEvPKT0_PS4_S4_.kd
    .uniform_work_group_size: 1
    .uses_dynamic_stack: false
    .vgpr_count:     13
    .vgpr_spill_count: 0
    .wavefront_size: 32
    .workgroup_processor_mode: 1
  - .args:
      - .address_space:  global
        .offset:         0
        .size:           8
        .value_kind:     global_buffer
      - .address_space:  global
        .offset:         8
        .size:           8
        .value_kind:     global_buffer
      - .offset:         16
        .size:           4
        .value_kind:     by_value
      - .offset:         24
        .size:           4
        .value_kind:     hidden_block_count_x
      - .offset:         28
        .size:           4
        .value_kind:     hidden_block_count_y
      - .offset:         32
        .size:           4
        .value_kind:     hidden_block_count_z
      - .offset:         36
        .size:           2
        .value_kind:     hidden_group_size_x
      - .offset:         38
        .size:           2
        .value_kind:     hidden_group_size_y
      - .offset:         40
        .size:           2
        .value_kind:     hidden_group_size_z
      - .offset:         42
        .size:           2
        .value_kind:     hidden_remainder_x
      - .offset:         44
        .size:           2
        .value_kind:     hidden_remainder_y
      - .offset:         46
        .size:           2
        .value_kind:     hidden_remainder_z
      - .offset:         64
        .size:           8
        .value_kind:     hidden_global_offset_x
      - .offset:         72
        .size:           8
        .value_kind:     hidden_global_offset_y
      - .offset:         80
        .size:           8
        .value_kind:     hidden_global_offset_z
      - .offset:         88
        .size:           2
        .value_kind:     hidden_grid_dims
    .group_segment_fixed_size: 8
    .kernarg_segment_align: 8
    .kernarg_segment_size: 280
    .language:       OpenCL C
    .language_version:
      - 2
      - 0
    .max_flat_workgroup_size: 64
    .name:           _Z6kernelI14inclusive_scanILN6hipcub18BlockScanAlgorithmE0EEiLj64ELj8ELj100EEvPKT0_PS4_S4_
    .private_segment_fixed_size: 0
    .sgpr_count:     18
    .sgpr_spill_count: 0
    .symbol:         _Z6kernelI14inclusive_scanILN6hipcub18BlockScanAlgorithmE0EEiLj64ELj8ELj100EEvPKT0_PS4_S4_.kd
    .uniform_work_group_size: 1
    .uses_dynamic_stack: false
    .vgpr_count:     17
    .vgpr_spill_count: 0
    .wavefront_size: 32
    .workgroup_processor_mode: 1
  - .args:
      - .address_space:  global
        .offset:         0
        .size:           8
        .value_kind:     global_buffer
      - .address_space:  global
        .offset:         8
        .size:           8
        .value_kind:     global_buffer
      - .offset:         16
        .size:           4
        .value_kind:     by_value
      - .offset:         24
        .size:           4
        .value_kind:     hidden_block_count_x
      - .offset:         28
        .size:           4
        .value_kind:     hidden_block_count_y
      - .offset:         32
        .size:           4
        .value_kind:     hidden_block_count_z
      - .offset:         36
        .size:           2
        .value_kind:     hidden_group_size_x
      - .offset:         38
        .size:           2
        .value_kind:     hidden_group_size_y
      - .offset:         40
        .size:           2
        .value_kind:     hidden_group_size_z
      - .offset:         42
        .size:           2
        .value_kind:     hidden_remainder_x
      - .offset:         44
        .size:           2
        .value_kind:     hidden_remainder_y
      - .offset:         46
        .size:           2
        .value_kind:     hidden_remainder_z
      - .offset:         64
        .size:           8
        .value_kind:     hidden_global_offset_x
      - .offset:         72
        .size:           8
        .value_kind:     hidden_global_offset_y
      - .offset:         80
        .size:           8
        .value_kind:     hidden_global_offset_z
      - .offset:         88
        .size:           2
        .value_kind:     hidden_grid_dims
    .group_segment_fixed_size: 8
    .kernarg_segment_align: 8
    .kernarg_segment_size: 280
    .language:       OpenCL C
    .language_version:
      - 2
      - 0
    .max_flat_workgroup_size: 64
    .name:           _Z6kernelI14inclusive_scanILN6hipcub18BlockScanAlgorithmE0EEiLj64ELj11ELj100EEvPKT0_PS4_S4_
    .private_segment_fixed_size: 0
    .sgpr_count:     18
    .sgpr_spill_count: 0
    .symbol:         _Z6kernelI14inclusive_scanILN6hipcub18BlockScanAlgorithmE0EEiLj64ELj11ELj100EEvPKT0_PS4_S4_.kd
    .uniform_work_group_size: 1
    .uses_dynamic_stack: false
    .vgpr_count:     48
    .vgpr_spill_count: 0
    .wavefront_size: 32
    .workgroup_processor_mode: 1
  - .args:
      - .address_space:  global
        .offset:         0
        .size:           8
        .value_kind:     global_buffer
      - .address_space:  global
        .offset:         8
        .size:           8
        .value_kind:     global_buffer
      - .offset:         16
        .size:           4
        .value_kind:     by_value
      - .offset:         24
        .size:           4
        .value_kind:     hidden_block_count_x
      - .offset:         28
        .size:           4
        .value_kind:     hidden_block_count_y
      - .offset:         32
        .size:           4
        .value_kind:     hidden_block_count_z
      - .offset:         36
        .size:           2
        .value_kind:     hidden_group_size_x
      - .offset:         38
        .size:           2
        .value_kind:     hidden_group_size_y
      - .offset:         40
        .size:           2
        .value_kind:     hidden_group_size_z
      - .offset:         42
        .size:           2
        .value_kind:     hidden_remainder_x
      - .offset:         44
        .size:           2
        .value_kind:     hidden_remainder_y
      - .offset:         46
        .size:           2
        .value_kind:     hidden_remainder_z
      - .offset:         64
        .size:           8
        .value_kind:     hidden_global_offset_x
      - .offset:         72
        .size:           8
        .value_kind:     hidden_global_offset_y
      - .offset:         80
        .size:           8
        .value_kind:     hidden_global_offset_z
      - .offset:         88
        .size:           2
        .value_kind:     hidden_grid_dims
    .group_segment_fixed_size: 8
    .kernarg_segment_align: 8
    .kernarg_segment_size: 280
    .language:       OpenCL C
    .language_version:
      - 2
      - 0
    .max_flat_workgroup_size: 64
    .name:           _Z6kernelI14inclusive_scanILN6hipcub18BlockScanAlgorithmE0EEiLj64ELj16ELj100EEvPKT0_PS4_S4_
    .private_segment_fixed_size: 0
    .sgpr_count:     18
    .sgpr_spill_count: 0
    .symbol:         _Z6kernelI14inclusive_scanILN6hipcub18BlockScanAlgorithmE0EEiLj64ELj16ELj100EEvPKT0_PS4_S4_.kd
    .uniform_work_group_size: 1
    .uses_dynamic_stack: false
    .vgpr_count:     25
    .vgpr_spill_count: 0
    .wavefront_size: 32
    .workgroup_processor_mode: 1
  - .args:
      - .address_space:  global
        .offset:         0
        .size:           8
        .value_kind:     global_buffer
      - .address_space:  global
        .offset:         8
        .size:           8
        .value_kind:     global_buffer
      - .offset:         16
        .size:           4
        .value_kind:     by_value
      - .offset:         24
        .size:           4
        .value_kind:     hidden_block_count_x
      - .offset:         28
        .size:           4
        .value_kind:     hidden_block_count_y
      - .offset:         32
        .size:           4
        .value_kind:     hidden_block_count_z
      - .offset:         36
        .size:           2
        .value_kind:     hidden_group_size_x
      - .offset:         38
        .size:           2
        .value_kind:     hidden_group_size_y
      - .offset:         40
        .size:           2
        .value_kind:     hidden_group_size_z
      - .offset:         42
        .size:           2
        .value_kind:     hidden_remainder_x
      - .offset:         44
        .size:           2
        .value_kind:     hidden_remainder_y
      - .offset:         46
        .size:           2
        .value_kind:     hidden_remainder_z
      - .offset:         64
        .size:           8
        .value_kind:     hidden_global_offset_x
      - .offset:         72
        .size:           8
        .value_kind:     hidden_global_offset_y
      - .offset:         80
        .size:           8
        .value_kind:     hidden_global_offset_z
      - .offset:         88
        .size:           2
        .value_kind:     hidden_grid_dims
    .group_segment_fixed_size: 8
    .kernarg_segment_align: 8
    .kernarg_segment_size: 280
    .language:       OpenCL C
    .language_version:
      - 2
      - 0
    .max_flat_workgroup_size: 64
    .name:           _Z6kernelI14inclusive_scanILN6hipcub18BlockScanAlgorithmE0EEfLj64ELj1ELj100EEvPKT0_PS4_S4_
    .private_segment_fixed_size: 0
    .sgpr_count:     18
    .sgpr_spill_count: 0
    .symbol:         _Z6kernelI14inclusive_scanILN6hipcub18BlockScanAlgorithmE0EEfLj64ELj1ELj100EEvPKT0_PS4_S4_.kd
    .uniform_work_group_size: 1
    .uses_dynamic_stack: false
    .vgpr_count:     9
    .vgpr_spill_count: 0
    .wavefront_size: 32
    .workgroup_processor_mode: 1
  - .args:
      - .address_space:  global
        .offset:         0
        .size:           8
        .value_kind:     global_buffer
      - .address_space:  global
        .offset:         8
        .size:           8
        .value_kind:     global_buffer
      - .offset:         16
        .size:           4
        .value_kind:     by_value
      - .offset:         24
        .size:           4
        .value_kind:     hidden_block_count_x
      - .offset:         28
        .size:           4
        .value_kind:     hidden_block_count_y
      - .offset:         32
        .size:           4
        .value_kind:     hidden_block_count_z
      - .offset:         36
        .size:           2
        .value_kind:     hidden_group_size_x
      - .offset:         38
        .size:           2
        .value_kind:     hidden_group_size_y
      - .offset:         40
        .size:           2
        .value_kind:     hidden_group_size_z
      - .offset:         42
        .size:           2
        .value_kind:     hidden_remainder_x
      - .offset:         44
        .size:           2
        .value_kind:     hidden_remainder_y
      - .offset:         46
        .size:           2
        .value_kind:     hidden_remainder_z
      - .offset:         64
        .size:           8
        .value_kind:     hidden_global_offset_x
      - .offset:         72
        .size:           8
        .value_kind:     hidden_global_offset_y
      - .offset:         80
        .size:           8
        .value_kind:     hidden_global_offset_z
      - .offset:         88
        .size:           2
        .value_kind:     hidden_grid_dims
    .group_segment_fixed_size: 8
    .kernarg_segment_align: 8
    .kernarg_segment_size: 280
    .language:       OpenCL C
    .language_version:
      - 2
      - 0
    .max_flat_workgroup_size: 64
    .name:           _Z6kernelI14inclusive_scanILN6hipcub18BlockScanAlgorithmE0EEfLj64ELj3ELj100EEvPKT0_PS4_S4_
    .private_segment_fixed_size: 0
    .sgpr_count:     18
    .sgpr_spill_count: 0
    .symbol:         _Z6kernelI14inclusive_scanILN6hipcub18BlockScanAlgorithmE0EEfLj64ELj3ELj100EEvPKT0_PS4_S4_.kd
    .uniform_work_group_size: 1
    .uses_dynamic_stack: false
    .vgpr_count:     16
    .vgpr_spill_count: 0
    .wavefront_size: 32
    .workgroup_processor_mode: 1
  - .args:
      - .address_space:  global
        .offset:         0
        .size:           8
        .value_kind:     global_buffer
      - .address_space:  global
        .offset:         8
        .size:           8
        .value_kind:     global_buffer
      - .offset:         16
        .size:           4
        .value_kind:     by_value
      - .offset:         24
        .size:           4
        .value_kind:     hidden_block_count_x
      - .offset:         28
        .size:           4
        .value_kind:     hidden_block_count_y
      - .offset:         32
        .size:           4
        .value_kind:     hidden_block_count_z
      - .offset:         36
        .size:           2
        .value_kind:     hidden_group_size_x
      - .offset:         38
        .size:           2
        .value_kind:     hidden_group_size_y
      - .offset:         40
        .size:           2
        .value_kind:     hidden_group_size_z
      - .offset:         42
        .size:           2
        .value_kind:     hidden_remainder_x
      - .offset:         44
        .size:           2
        .value_kind:     hidden_remainder_y
      - .offset:         46
        .size:           2
        .value_kind:     hidden_remainder_z
      - .offset:         64
        .size:           8
        .value_kind:     hidden_global_offset_x
      - .offset:         72
        .size:           8
        .value_kind:     hidden_global_offset_y
      - .offset:         80
        .size:           8
        .value_kind:     hidden_global_offset_z
      - .offset:         88
        .size:           2
        .value_kind:     hidden_grid_dims
    .group_segment_fixed_size: 8
    .kernarg_segment_align: 8
    .kernarg_segment_size: 280
    .language:       OpenCL C
    .language_version:
      - 2
      - 0
    .max_flat_workgroup_size: 64
    .name:           _Z6kernelI14inclusive_scanILN6hipcub18BlockScanAlgorithmE0EEfLj64ELj4ELj100EEvPKT0_PS4_S4_
    .private_segment_fixed_size: 0
    .sgpr_count:     18
    .sgpr_spill_count: 0
    .symbol:         _Z6kernelI14inclusive_scanILN6hipcub18BlockScanAlgorithmE0EEfLj64ELj4ELj100EEvPKT0_PS4_S4_.kd
    .uniform_work_group_size: 1
    .uses_dynamic_stack: false
    .vgpr_count:     13
    .vgpr_spill_count: 0
    .wavefront_size: 32
    .workgroup_processor_mode: 1
  - .args:
      - .address_space:  global
        .offset:         0
        .size:           8
        .value_kind:     global_buffer
      - .address_space:  global
        .offset:         8
        .size:           8
        .value_kind:     global_buffer
      - .offset:         16
        .size:           4
        .value_kind:     by_value
      - .offset:         24
        .size:           4
        .value_kind:     hidden_block_count_x
      - .offset:         28
        .size:           4
        .value_kind:     hidden_block_count_y
      - .offset:         32
        .size:           4
        .value_kind:     hidden_block_count_z
      - .offset:         36
        .size:           2
        .value_kind:     hidden_group_size_x
      - .offset:         38
        .size:           2
        .value_kind:     hidden_group_size_y
      - .offset:         40
        .size:           2
        .value_kind:     hidden_group_size_z
      - .offset:         42
        .size:           2
        .value_kind:     hidden_remainder_x
      - .offset:         44
        .size:           2
        .value_kind:     hidden_remainder_y
      - .offset:         46
        .size:           2
        .value_kind:     hidden_remainder_z
      - .offset:         64
        .size:           8
        .value_kind:     hidden_global_offset_x
      - .offset:         72
        .size:           8
        .value_kind:     hidden_global_offset_y
      - .offset:         80
        .size:           8
        .value_kind:     hidden_global_offset_z
      - .offset:         88
        .size:           2
        .value_kind:     hidden_grid_dims
    .group_segment_fixed_size: 8
    .kernarg_segment_align: 8
    .kernarg_segment_size: 280
    .language:       OpenCL C
    .language_version:
      - 2
      - 0
    .max_flat_workgroup_size: 64
    .name:           _Z6kernelI14inclusive_scanILN6hipcub18BlockScanAlgorithmE0EEfLj64ELj8ELj100EEvPKT0_PS4_S4_
    .private_segment_fixed_size: 0
    .sgpr_count:     18
    .sgpr_spill_count: 0
    .symbol:         _Z6kernelI14inclusive_scanILN6hipcub18BlockScanAlgorithmE0EEfLj64ELj8ELj100EEvPKT0_PS4_S4_.kd
    .uniform_work_group_size: 1
    .uses_dynamic_stack: false
    .vgpr_count:     17
    .vgpr_spill_count: 0
    .wavefront_size: 32
    .workgroup_processor_mode: 1
  - .args:
      - .address_space:  global
        .offset:         0
        .size:           8
        .value_kind:     global_buffer
      - .address_space:  global
        .offset:         8
        .size:           8
        .value_kind:     global_buffer
      - .offset:         16
        .size:           4
        .value_kind:     by_value
      - .offset:         24
        .size:           4
        .value_kind:     hidden_block_count_x
      - .offset:         28
        .size:           4
        .value_kind:     hidden_block_count_y
      - .offset:         32
        .size:           4
        .value_kind:     hidden_block_count_z
      - .offset:         36
        .size:           2
        .value_kind:     hidden_group_size_x
      - .offset:         38
        .size:           2
        .value_kind:     hidden_group_size_y
      - .offset:         40
        .size:           2
        .value_kind:     hidden_group_size_z
      - .offset:         42
        .size:           2
        .value_kind:     hidden_remainder_x
      - .offset:         44
        .size:           2
        .value_kind:     hidden_remainder_y
      - .offset:         46
        .size:           2
        .value_kind:     hidden_remainder_z
      - .offset:         64
        .size:           8
        .value_kind:     hidden_global_offset_x
      - .offset:         72
        .size:           8
        .value_kind:     hidden_global_offset_y
      - .offset:         80
        .size:           8
        .value_kind:     hidden_global_offset_z
      - .offset:         88
        .size:           2
        .value_kind:     hidden_grid_dims
    .group_segment_fixed_size: 8
    .kernarg_segment_align: 8
    .kernarg_segment_size: 280
    .language:       OpenCL C
    .language_version:
      - 2
      - 0
    .max_flat_workgroup_size: 64
    .name:           _Z6kernelI14inclusive_scanILN6hipcub18BlockScanAlgorithmE0EEfLj64ELj11ELj100EEvPKT0_PS4_S4_
    .private_segment_fixed_size: 0
    .sgpr_count:     18
    .sgpr_spill_count: 0
    .symbol:         _Z6kernelI14inclusive_scanILN6hipcub18BlockScanAlgorithmE0EEfLj64ELj11ELj100EEvPKT0_PS4_S4_.kd
    .uniform_work_group_size: 1
    .uses_dynamic_stack: false
    .vgpr_count:     48
    .vgpr_spill_count: 0
    .wavefront_size: 32
    .workgroup_processor_mode: 1
  - .args:
      - .address_space:  global
        .offset:         0
        .size:           8
        .value_kind:     global_buffer
      - .address_space:  global
        .offset:         8
        .size:           8
        .value_kind:     global_buffer
      - .offset:         16
        .size:           4
        .value_kind:     by_value
      - .offset:         24
        .size:           4
        .value_kind:     hidden_block_count_x
      - .offset:         28
        .size:           4
        .value_kind:     hidden_block_count_y
      - .offset:         32
        .size:           4
        .value_kind:     hidden_block_count_z
      - .offset:         36
        .size:           2
        .value_kind:     hidden_group_size_x
      - .offset:         38
        .size:           2
        .value_kind:     hidden_group_size_y
      - .offset:         40
        .size:           2
        .value_kind:     hidden_group_size_z
      - .offset:         42
        .size:           2
        .value_kind:     hidden_remainder_x
      - .offset:         44
        .size:           2
        .value_kind:     hidden_remainder_y
      - .offset:         46
        .size:           2
        .value_kind:     hidden_remainder_z
      - .offset:         64
        .size:           8
        .value_kind:     hidden_global_offset_x
      - .offset:         72
        .size:           8
        .value_kind:     hidden_global_offset_y
      - .offset:         80
        .size:           8
        .value_kind:     hidden_global_offset_z
      - .offset:         88
        .size:           2
        .value_kind:     hidden_grid_dims
    .group_segment_fixed_size: 8
    .kernarg_segment_align: 8
    .kernarg_segment_size: 280
    .language:       OpenCL C
    .language_version:
      - 2
      - 0
    .max_flat_workgroup_size: 64
    .name:           _Z6kernelI14inclusive_scanILN6hipcub18BlockScanAlgorithmE0EEfLj64ELj16ELj100EEvPKT0_PS4_S4_
    .private_segment_fixed_size: 0
    .sgpr_count:     18
    .sgpr_spill_count: 0
    .symbol:         _Z6kernelI14inclusive_scanILN6hipcub18BlockScanAlgorithmE0EEfLj64ELj16ELj100EEvPKT0_PS4_S4_.kd
    .uniform_work_group_size: 1
    .uses_dynamic_stack: false
    .vgpr_count:     25
    .vgpr_spill_count: 0
    .wavefront_size: 32
    .workgroup_processor_mode: 1
  - .args:
      - .address_space:  global
        .offset:         0
        .size:           8
        .value_kind:     global_buffer
      - .address_space:  global
        .offset:         8
        .size:           8
        .value_kind:     global_buffer
      - .offset:         16
        .size:           8
        .value_kind:     by_value
      - .offset:         24
        .size:           4
        .value_kind:     hidden_block_count_x
      - .offset:         28
        .size:           4
        .value_kind:     hidden_block_count_y
      - .offset:         32
        .size:           4
        .value_kind:     hidden_block_count_z
      - .offset:         36
        .size:           2
        .value_kind:     hidden_group_size_x
      - .offset:         38
        .size:           2
        .value_kind:     hidden_group_size_y
      - .offset:         40
        .size:           2
        .value_kind:     hidden_group_size_z
      - .offset:         42
        .size:           2
        .value_kind:     hidden_remainder_x
      - .offset:         44
        .size:           2
        .value_kind:     hidden_remainder_y
      - .offset:         46
        .size:           2
        .value_kind:     hidden_remainder_z
      - .offset:         64
        .size:           8
        .value_kind:     hidden_global_offset_x
      - .offset:         72
        .size:           8
        .value_kind:     hidden_global_offset_y
      - .offset:         80
        .size:           8
        .value_kind:     hidden_global_offset_z
      - .offset:         88
        .size:           2
        .value_kind:     hidden_grid_dims
    .group_segment_fixed_size: 16
    .kernarg_segment_align: 8
    .kernarg_segment_size: 280
    .language:       OpenCL C
    .language_version:
      - 2
      - 0
    .max_flat_workgroup_size: 64
    .name:           _Z6kernelI14inclusive_scanILN6hipcub18BlockScanAlgorithmE0EEdLj64ELj1ELj100EEvPKT0_PS4_S4_
    .private_segment_fixed_size: 0
    .sgpr_count:     18
    .sgpr_spill_count: 0
    .symbol:         _Z6kernelI14inclusive_scanILN6hipcub18BlockScanAlgorithmE0EEdLj64ELj1ELj100EEvPKT0_PS4_S4_.kd
    .uniform_work_group_size: 1
    .uses_dynamic_stack: false
    .vgpr_count:     11
    .vgpr_spill_count: 0
    .wavefront_size: 32
    .workgroup_processor_mode: 1
  - .args:
      - .address_space:  global
        .offset:         0
        .size:           8
        .value_kind:     global_buffer
      - .address_space:  global
        .offset:         8
        .size:           8
        .value_kind:     global_buffer
      - .offset:         16
        .size:           8
        .value_kind:     by_value
      - .offset:         24
        .size:           4
        .value_kind:     hidden_block_count_x
      - .offset:         28
        .size:           4
        .value_kind:     hidden_block_count_y
      - .offset:         32
        .size:           4
        .value_kind:     hidden_block_count_z
      - .offset:         36
        .size:           2
        .value_kind:     hidden_group_size_x
      - .offset:         38
        .size:           2
        .value_kind:     hidden_group_size_y
      - .offset:         40
        .size:           2
        .value_kind:     hidden_group_size_z
      - .offset:         42
        .size:           2
        .value_kind:     hidden_remainder_x
      - .offset:         44
        .size:           2
        .value_kind:     hidden_remainder_y
      - .offset:         46
        .size:           2
        .value_kind:     hidden_remainder_z
      - .offset:         64
        .size:           8
        .value_kind:     hidden_global_offset_x
      - .offset:         72
        .size:           8
        .value_kind:     hidden_global_offset_y
      - .offset:         80
        .size:           8
        .value_kind:     hidden_global_offset_z
      - .offset:         88
        .size:           2
        .value_kind:     hidden_grid_dims
    .group_segment_fixed_size: 16
    .kernarg_segment_align: 8
    .kernarg_segment_size: 280
    .language:       OpenCL C
    .language_version:
      - 2
      - 0
    .max_flat_workgroup_size: 64
    .name:           _Z6kernelI14inclusive_scanILN6hipcub18BlockScanAlgorithmE0EEdLj64ELj3ELj100EEvPKT0_PS4_S4_
    .private_segment_fixed_size: 0
    .sgpr_count:     18
    .sgpr_spill_count: 0
    .symbol:         _Z6kernelI14inclusive_scanILN6hipcub18BlockScanAlgorithmE0EEdLj64ELj3ELj100EEvPKT0_PS4_S4_.kd
    .uniform_work_group_size: 1
    .uses_dynamic_stack: false
    .vgpr_count:     26
    .vgpr_spill_count: 0
    .wavefront_size: 32
    .workgroup_processor_mode: 1
  - .args:
      - .address_space:  global
        .offset:         0
        .size:           8
        .value_kind:     global_buffer
      - .address_space:  global
        .offset:         8
        .size:           8
        .value_kind:     global_buffer
      - .offset:         16
        .size:           8
        .value_kind:     by_value
      - .offset:         24
        .size:           4
        .value_kind:     hidden_block_count_x
      - .offset:         28
        .size:           4
        .value_kind:     hidden_block_count_y
      - .offset:         32
        .size:           4
        .value_kind:     hidden_block_count_z
      - .offset:         36
        .size:           2
        .value_kind:     hidden_group_size_x
      - .offset:         38
        .size:           2
        .value_kind:     hidden_group_size_y
      - .offset:         40
        .size:           2
        .value_kind:     hidden_group_size_z
      - .offset:         42
        .size:           2
        .value_kind:     hidden_remainder_x
      - .offset:         44
        .size:           2
        .value_kind:     hidden_remainder_y
      - .offset:         46
        .size:           2
        .value_kind:     hidden_remainder_z
      - .offset:         64
        .size:           8
        .value_kind:     hidden_global_offset_x
      - .offset:         72
        .size:           8
        .value_kind:     hidden_global_offset_y
      - .offset:         80
        .size:           8
        .value_kind:     hidden_global_offset_z
      - .offset:         88
        .size:           2
        .value_kind:     hidden_grid_dims
    .group_segment_fixed_size: 16
    .kernarg_segment_align: 8
    .kernarg_segment_size: 280
    .language:       OpenCL C
    .language_version:
      - 2
      - 0
    .max_flat_workgroup_size: 64
    .name:           _Z6kernelI14inclusive_scanILN6hipcub18BlockScanAlgorithmE0EEdLj64ELj4ELj100EEvPKT0_PS4_S4_
    .private_segment_fixed_size: 0
    .sgpr_count:     18
    .sgpr_spill_count: 0
    .symbol:         _Z6kernelI14inclusive_scanILN6hipcub18BlockScanAlgorithmE0EEdLj64ELj4ELj100EEvPKT0_PS4_S4_.kd
    .uniform_work_group_size: 1
    .uses_dynamic_stack: false
    .vgpr_count:     26
    .vgpr_spill_count: 0
    .wavefront_size: 32
    .workgroup_processor_mode: 1
  - .args:
      - .address_space:  global
        .offset:         0
        .size:           8
        .value_kind:     global_buffer
      - .address_space:  global
        .offset:         8
        .size:           8
        .value_kind:     global_buffer
      - .offset:         16
        .size:           8
        .value_kind:     by_value
      - .offset:         24
        .size:           4
        .value_kind:     hidden_block_count_x
      - .offset:         28
        .size:           4
        .value_kind:     hidden_block_count_y
      - .offset:         32
        .size:           4
        .value_kind:     hidden_block_count_z
      - .offset:         36
        .size:           2
        .value_kind:     hidden_group_size_x
      - .offset:         38
        .size:           2
        .value_kind:     hidden_group_size_y
      - .offset:         40
        .size:           2
        .value_kind:     hidden_group_size_z
      - .offset:         42
        .size:           2
        .value_kind:     hidden_remainder_x
      - .offset:         44
        .size:           2
        .value_kind:     hidden_remainder_y
      - .offset:         46
        .size:           2
        .value_kind:     hidden_remainder_z
      - .offset:         64
        .size:           8
        .value_kind:     hidden_global_offset_x
      - .offset:         72
        .size:           8
        .value_kind:     hidden_global_offset_y
      - .offset:         80
        .size:           8
        .value_kind:     hidden_global_offset_z
      - .offset:         88
        .size:           2
        .value_kind:     hidden_grid_dims
    .group_segment_fixed_size: 16
    .kernarg_segment_align: 8
    .kernarg_segment_size: 280
    .language:       OpenCL C
    .language_version:
      - 2
      - 0
    .max_flat_workgroup_size: 64
    .name:           _Z6kernelI14inclusive_scanILN6hipcub18BlockScanAlgorithmE0EEdLj64ELj8ELj100EEvPKT0_PS4_S4_
    .private_segment_fixed_size: 0
    .sgpr_count:     18
    .sgpr_spill_count: 0
    .symbol:         _Z6kernelI14inclusive_scanILN6hipcub18BlockScanAlgorithmE0EEdLj64ELj8ELj100EEvPKT0_PS4_S4_.kd
    .uniform_work_group_size: 1
    .uses_dynamic_stack: false
    .vgpr_count:     42
    .vgpr_spill_count: 0
    .wavefront_size: 32
    .workgroup_processor_mode: 1
  - .args:
      - .address_space:  global
        .offset:         0
        .size:           8
        .value_kind:     global_buffer
      - .address_space:  global
        .offset:         8
        .size:           8
        .value_kind:     global_buffer
      - .offset:         16
        .size:           8
        .value_kind:     by_value
      - .offset:         24
        .size:           4
        .value_kind:     hidden_block_count_x
      - .offset:         28
        .size:           4
        .value_kind:     hidden_block_count_y
      - .offset:         32
        .size:           4
        .value_kind:     hidden_block_count_z
      - .offset:         36
        .size:           2
        .value_kind:     hidden_group_size_x
      - .offset:         38
        .size:           2
        .value_kind:     hidden_group_size_y
      - .offset:         40
        .size:           2
        .value_kind:     hidden_group_size_z
      - .offset:         42
        .size:           2
        .value_kind:     hidden_remainder_x
      - .offset:         44
        .size:           2
        .value_kind:     hidden_remainder_y
      - .offset:         46
        .size:           2
        .value_kind:     hidden_remainder_z
      - .offset:         64
        .size:           8
        .value_kind:     hidden_global_offset_x
      - .offset:         72
        .size:           8
        .value_kind:     hidden_global_offset_y
      - .offset:         80
        .size:           8
        .value_kind:     hidden_global_offset_z
      - .offset:         88
        .size:           2
        .value_kind:     hidden_grid_dims
    .group_segment_fixed_size: 16
    .kernarg_segment_align: 8
    .kernarg_segment_size: 280
    .language:       OpenCL C
    .language_version:
      - 2
      - 0
    .max_flat_workgroup_size: 64
    .name:           _Z6kernelI14inclusive_scanILN6hipcub18BlockScanAlgorithmE0EEdLj64ELj11ELj100EEvPKT0_PS4_S4_
    .private_segment_fixed_size: 0
    .sgpr_count:     18
    .sgpr_spill_count: 0
    .symbol:         _Z6kernelI14inclusive_scanILN6hipcub18BlockScanAlgorithmE0EEdLj64ELj11ELj100EEvPKT0_PS4_S4_.kd
    .uniform_work_group_size: 1
    .uses_dynamic_stack: false
    .vgpr_count:     74
    .vgpr_spill_count: 0
    .wavefront_size: 32
    .workgroup_processor_mode: 1
  - .args:
      - .address_space:  global
        .offset:         0
        .size:           8
        .value_kind:     global_buffer
      - .address_space:  global
        .offset:         8
        .size:           8
        .value_kind:     global_buffer
      - .offset:         16
        .size:           8
        .value_kind:     by_value
      - .offset:         24
        .size:           4
        .value_kind:     hidden_block_count_x
      - .offset:         28
        .size:           4
        .value_kind:     hidden_block_count_y
      - .offset:         32
        .size:           4
        .value_kind:     hidden_block_count_z
      - .offset:         36
        .size:           2
        .value_kind:     hidden_group_size_x
      - .offset:         38
        .size:           2
        .value_kind:     hidden_group_size_y
      - .offset:         40
        .size:           2
        .value_kind:     hidden_group_size_z
      - .offset:         42
        .size:           2
        .value_kind:     hidden_remainder_x
      - .offset:         44
        .size:           2
        .value_kind:     hidden_remainder_y
      - .offset:         46
        .size:           2
        .value_kind:     hidden_remainder_z
      - .offset:         64
        .size:           8
        .value_kind:     hidden_global_offset_x
      - .offset:         72
        .size:           8
        .value_kind:     hidden_global_offset_y
      - .offset:         80
        .size:           8
        .value_kind:     hidden_global_offset_z
      - .offset:         88
        .size:           2
        .value_kind:     hidden_grid_dims
    .group_segment_fixed_size: 16
    .kernarg_segment_align: 8
    .kernarg_segment_size: 280
    .language:       OpenCL C
    .language_version:
      - 2
      - 0
    .max_flat_workgroup_size: 64
    .name:           _Z6kernelI14inclusive_scanILN6hipcub18BlockScanAlgorithmE0EEdLj64ELj16ELj100EEvPKT0_PS4_S4_
    .private_segment_fixed_size: 0
    .sgpr_count:     18
    .sgpr_spill_count: 0
    .symbol:         _Z6kernelI14inclusive_scanILN6hipcub18BlockScanAlgorithmE0EEdLj64ELj16ELj100EEvPKT0_PS4_S4_.kd
    .uniform_work_group_size: 1
    .uses_dynamic_stack: false
    .vgpr_count:     74
    .vgpr_spill_count: 0
    .wavefront_size: 32
    .workgroup_processor_mode: 1
  - .args:
      - .address_space:  global
        .offset:         0
        .size:           8
        .value_kind:     global_buffer
      - .address_space:  global
        .offset:         8
        .size:           8
        .value_kind:     global_buffer
      - .offset:         16
        .size:           1
        .value_kind:     by_value
      - .offset:         24
        .size:           4
        .value_kind:     hidden_block_count_x
      - .offset:         28
        .size:           4
        .value_kind:     hidden_block_count_y
      - .offset:         32
        .size:           4
        .value_kind:     hidden_block_count_z
      - .offset:         36
        .size:           2
        .value_kind:     hidden_group_size_x
      - .offset:         38
        .size:           2
        .value_kind:     hidden_group_size_y
      - .offset:         40
        .size:           2
        .value_kind:     hidden_group_size_z
      - .offset:         42
        .size:           2
        .value_kind:     hidden_remainder_x
      - .offset:         44
        .size:           2
        .value_kind:     hidden_remainder_y
      - .offset:         46
        .size:           2
        .value_kind:     hidden_remainder_z
      - .offset:         64
        .size:           8
        .value_kind:     hidden_global_offset_x
      - .offset:         72
        .size:           8
        .value_kind:     hidden_global_offset_y
      - .offset:         80
        .size:           8
        .value_kind:     hidden_global_offset_z
      - .offset:         88
        .size:           2
        .value_kind:     hidden_grid_dims
    .group_segment_fixed_size: 2
    .kernarg_segment_align: 8
    .kernarg_segment_size: 280
    .language:       OpenCL C
    .language_version:
      - 2
      - 0
    .max_flat_workgroup_size: 64
    .name:           _Z6kernelI14inclusive_scanILN6hipcub18BlockScanAlgorithmE0EEhLj64ELj1ELj100EEvPKT0_PS4_S4_
    .private_segment_fixed_size: 0
    .sgpr_count:     18
    .sgpr_spill_count: 0
    .symbol:         _Z6kernelI14inclusive_scanILN6hipcub18BlockScanAlgorithmE0EEhLj64ELj1ELj100EEvPKT0_PS4_S4_.kd
    .uniform_work_group_size: 1
    .uses_dynamic_stack: false
    .vgpr_count:     7
    .vgpr_spill_count: 0
    .wavefront_size: 32
    .workgroup_processor_mode: 1
  - .args:
      - .address_space:  global
        .offset:         0
        .size:           8
        .value_kind:     global_buffer
      - .address_space:  global
        .offset:         8
        .size:           8
        .value_kind:     global_buffer
      - .offset:         16
        .size:           1
        .value_kind:     by_value
      - .offset:         24
        .size:           4
        .value_kind:     hidden_block_count_x
      - .offset:         28
        .size:           4
        .value_kind:     hidden_block_count_y
      - .offset:         32
        .size:           4
        .value_kind:     hidden_block_count_z
      - .offset:         36
        .size:           2
        .value_kind:     hidden_group_size_x
      - .offset:         38
        .size:           2
        .value_kind:     hidden_group_size_y
      - .offset:         40
        .size:           2
        .value_kind:     hidden_group_size_z
      - .offset:         42
        .size:           2
        .value_kind:     hidden_remainder_x
      - .offset:         44
        .size:           2
        .value_kind:     hidden_remainder_y
      - .offset:         46
        .size:           2
        .value_kind:     hidden_remainder_z
      - .offset:         64
        .size:           8
        .value_kind:     hidden_global_offset_x
      - .offset:         72
        .size:           8
        .value_kind:     hidden_global_offset_y
      - .offset:         80
        .size:           8
        .value_kind:     hidden_global_offset_z
      - .offset:         88
        .size:           2
        .value_kind:     hidden_grid_dims
    .group_segment_fixed_size: 2
    .kernarg_segment_align: 8
    .kernarg_segment_size: 280
    .language:       OpenCL C
    .language_version:
      - 2
      - 0
    .max_flat_workgroup_size: 64
    .name:           _Z6kernelI14inclusive_scanILN6hipcub18BlockScanAlgorithmE0EEhLj64ELj3ELj100EEvPKT0_PS4_S4_
    .private_segment_fixed_size: 0
    .sgpr_count:     18
    .sgpr_spill_count: 0
    .symbol:         _Z6kernelI14inclusive_scanILN6hipcub18BlockScanAlgorithmE0EEhLj64ELj3ELj100EEvPKT0_PS4_S4_.kd
    .uniform_work_group_size: 1
    .uses_dynamic_stack: false
    .vgpr_count:     14
    .vgpr_spill_count: 0
    .wavefront_size: 32
    .workgroup_processor_mode: 1
  - .args:
      - .address_space:  global
        .offset:         0
        .size:           8
        .value_kind:     global_buffer
      - .address_space:  global
        .offset:         8
        .size:           8
        .value_kind:     global_buffer
      - .offset:         16
        .size:           1
        .value_kind:     by_value
      - .offset:         24
        .size:           4
        .value_kind:     hidden_block_count_x
      - .offset:         28
        .size:           4
        .value_kind:     hidden_block_count_y
      - .offset:         32
        .size:           4
        .value_kind:     hidden_block_count_z
      - .offset:         36
        .size:           2
        .value_kind:     hidden_group_size_x
      - .offset:         38
        .size:           2
        .value_kind:     hidden_group_size_y
      - .offset:         40
        .size:           2
        .value_kind:     hidden_group_size_z
      - .offset:         42
        .size:           2
        .value_kind:     hidden_remainder_x
      - .offset:         44
        .size:           2
        .value_kind:     hidden_remainder_y
      - .offset:         46
        .size:           2
        .value_kind:     hidden_remainder_z
      - .offset:         64
        .size:           8
        .value_kind:     hidden_global_offset_x
      - .offset:         72
        .size:           8
        .value_kind:     hidden_global_offset_y
      - .offset:         80
        .size:           8
        .value_kind:     hidden_global_offset_z
      - .offset:         88
        .size:           2
        .value_kind:     hidden_grid_dims
    .group_segment_fixed_size: 2
    .kernarg_segment_align: 8
    .kernarg_segment_size: 280
    .language:       OpenCL C
    .language_version:
      - 2
      - 0
    .max_flat_workgroup_size: 64
    .name:           _Z6kernelI14inclusive_scanILN6hipcub18BlockScanAlgorithmE0EEhLj64ELj4ELj100EEvPKT0_PS4_S4_
    .private_segment_fixed_size: 0
    .sgpr_count:     18
    .sgpr_spill_count: 0
    .symbol:         _Z6kernelI14inclusive_scanILN6hipcub18BlockScanAlgorithmE0EEhLj64ELj4ELj100EEvPKT0_PS4_S4_.kd
    .uniform_work_group_size: 1
    .uses_dynamic_stack: false
    .vgpr_count:     12
    .vgpr_spill_count: 0
    .wavefront_size: 32
    .workgroup_processor_mode: 1
  - .args:
      - .address_space:  global
        .offset:         0
        .size:           8
        .value_kind:     global_buffer
      - .address_space:  global
        .offset:         8
        .size:           8
        .value_kind:     global_buffer
      - .offset:         16
        .size:           1
        .value_kind:     by_value
      - .offset:         24
        .size:           4
        .value_kind:     hidden_block_count_x
      - .offset:         28
        .size:           4
        .value_kind:     hidden_block_count_y
      - .offset:         32
        .size:           4
        .value_kind:     hidden_block_count_z
      - .offset:         36
        .size:           2
        .value_kind:     hidden_group_size_x
      - .offset:         38
        .size:           2
        .value_kind:     hidden_group_size_y
      - .offset:         40
        .size:           2
        .value_kind:     hidden_group_size_z
      - .offset:         42
        .size:           2
        .value_kind:     hidden_remainder_x
      - .offset:         44
        .size:           2
        .value_kind:     hidden_remainder_y
      - .offset:         46
        .size:           2
        .value_kind:     hidden_remainder_z
      - .offset:         64
        .size:           8
        .value_kind:     hidden_global_offset_x
      - .offset:         72
        .size:           8
        .value_kind:     hidden_global_offset_y
      - .offset:         80
        .size:           8
        .value_kind:     hidden_global_offset_z
      - .offset:         88
        .size:           2
        .value_kind:     hidden_grid_dims
    .group_segment_fixed_size: 2
    .kernarg_segment_align: 8
    .kernarg_segment_size: 280
    .language:       OpenCL C
    .language_version:
      - 2
      - 0
    .max_flat_workgroup_size: 64
    .name:           _Z6kernelI14inclusive_scanILN6hipcub18BlockScanAlgorithmE0EEhLj64ELj8ELj100EEvPKT0_PS4_S4_
    .private_segment_fixed_size: 0
    .sgpr_count:     18
    .sgpr_spill_count: 0
    .symbol:         _Z6kernelI14inclusive_scanILN6hipcub18BlockScanAlgorithmE0EEhLj64ELj8ELj100EEvPKT0_PS4_S4_.kd
    .uniform_work_group_size: 1
    .uses_dynamic_stack: false
    .vgpr_count:     16
    .vgpr_spill_count: 0
    .wavefront_size: 32
    .workgroup_processor_mode: 1
  - .args:
      - .address_space:  global
        .offset:         0
        .size:           8
        .value_kind:     global_buffer
      - .address_space:  global
        .offset:         8
        .size:           8
        .value_kind:     global_buffer
      - .offset:         16
        .size:           1
        .value_kind:     by_value
      - .offset:         24
        .size:           4
        .value_kind:     hidden_block_count_x
      - .offset:         28
        .size:           4
        .value_kind:     hidden_block_count_y
      - .offset:         32
        .size:           4
        .value_kind:     hidden_block_count_z
      - .offset:         36
        .size:           2
        .value_kind:     hidden_group_size_x
      - .offset:         38
        .size:           2
        .value_kind:     hidden_group_size_y
      - .offset:         40
        .size:           2
        .value_kind:     hidden_group_size_z
      - .offset:         42
        .size:           2
        .value_kind:     hidden_remainder_x
      - .offset:         44
        .size:           2
        .value_kind:     hidden_remainder_y
      - .offset:         46
        .size:           2
        .value_kind:     hidden_remainder_z
      - .offset:         64
        .size:           8
        .value_kind:     hidden_global_offset_x
      - .offset:         72
        .size:           8
        .value_kind:     hidden_global_offset_y
      - .offset:         80
        .size:           8
        .value_kind:     hidden_global_offset_z
      - .offset:         88
        .size:           2
        .value_kind:     hidden_grid_dims
    .group_segment_fixed_size: 2
    .kernarg_segment_align: 8
    .kernarg_segment_size: 280
    .language:       OpenCL C
    .language_version:
      - 2
      - 0
    .max_flat_workgroup_size: 64
    .name:           _Z6kernelI14inclusive_scanILN6hipcub18BlockScanAlgorithmE0EEhLj64ELj11ELj100EEvPKT0_PS4_S4_
    .private_segment_fixed_size: 0
    .sgpr_count:     18
    .sgpr_spill_count: 0
    .symbol:         _Z6kernelI14inclusive_scanILN6hipcub18BlockScanAlgorithmE0EEhLj64ELj11ELj100EEvPKT0_PS4_S4_.kd
    .uniform_work_group_size: 1
    .uses_dynamic_stack: false
    .vgpr_count:     36
    .vgpr_spill_count: 0
    .wavefront_size: 32
    .workgroup_processor_mode: 1
  - .args:
      - .address_space:  global
        .offset:         0
        .size:           8
        .value_kind:     global_buffer
      - .address_space:  global
        .offset:         8
        .size:           8
        .value_kind:     global_buffer
      - .offset:         16
        .size:           1
        .value_kind:     by_value
      - .offset:         24
        .size:           4
        .value_kind:     hidden_block_count_x
      - .offset:         28
        .size:           4
        .value_kind:     hidden_block_count_y
      - .offset:         32
        .size:           4
        .value_kind:     hidden_block_count_z
      - .offset:         36
        .size:           2
        .value_kind:     hidden_group_size_x
      - .offset:         38
        .size:           2
        .value_kind:     hidden_group_size_y
      - .offset:         40
        .size:           2
        .value_kind:     hidden_group_size_z
      - .offset:         42
        .size:           2
        .value_kind:     hidden_remainder_x
      - .offset:         44
        .size:           2
        .value_kind:     hidden_remainder_y
      - .offset:         46
        .size:           2
        .value_kind:     hidden_remainder_z
      - .offset:         64
        .size:           8
        .value_kind:     hidden_global_offset_x
      - .offset:         72
        .size:           8
        .value_kind:     hidden_global_offset_y
      - .offset:         80
        .size:           8
        .value_kind:     hidden_global_offset_z
      - .offset:         88
        .size:           2
        .value_kind:     hidden_grid_dims
    .group_segment_fixed_size: 2
    .kernarg_segment_align: 8
    .kernarg_segment_size: 280
    .language:       OpenCL C
    .language_version:
      - 2
      - 0
    .max_flat_workgroup_size: 64
    .name:           _Z6kernelI14inclusive_scanILN6hipcub18BlockScanAlgorithmE0EEhLj64ELj16ELj100EEvPKT0_PS4_S4_
    .private_segment_fixed_size: 0
    .sgpr_count:     18
    .sgpr_spill_count: 0
    .symbol:         _Z6kernelI14inclusive_scanILN6hipcub18BlockScanAlgorithmE0EEhLj64ELj16ELj100EEvPKT0_PS4_S4_.kd
    .uniform_work_group_size: 1
    .uses_dynamic_stack: false
    .vgpr_count:     24
    .vgpr_spill_count: 0
    .wavefront_size: 32
    .workgroup_processor_mode: 1
  - .args:
      - .address_space:  global
        .offset:         0
        .size:           8
        .value_kind:     global_buffer
      - .address_space:  global
        .offset:         8
        .size:           8
        .value_kind:     global_buffer
      - .offset:         16
        .size:           4
        .value_kind:     by_value
      - .offset:         24
        .size:           4
        .value_kind:     hidden_block_count_x
      - .offset:         28
        .size:           4
        .value_kind:     hidden_block_count_y
      - .offset:         32
        .size:           4
        .value_kind:     hidden_block_count_z
      - .offset:         36
        .size:           2
        .value_kind:     hidden_group_size_x
      - .offset:         38
        .size:           2
        .value_kind:     hidden_group_size_y
      - .offset:         40
        .size:           2
        .value_kind:     hidden_group_size_z
      - .offset:         42
        .size:           2
        .value_kind:     hidden_remainder_x
      - .offset:         44
        .size:           2
        .value_kind:     hidden_remainder_y
      - .offset:         46
        .size:           2
        .value_kind:     hidden_remainder_z
      - .offset:         64
        .size:           8
        .value_kind:     hidden_global_offset_x
      - .offset:         72
        .size:           8
        .value_kind:     hidden_global_offset_y
      - .offset:         80
        .size:           8
        .value_kind:     hidden_global_offset_z
      - .offset:         88
        .size:           2
        .value_kind:     hidden_grid_dims
    .group_segment_fixed_size: 32
    .kernarg_segment_align: 8
    .kernarg_segment_size: 280
    .language:       OpenCL C
    .language_version:
      - 2
      - 0
    .max_flat_workgroup_size: 256
    .name:           _Z6kernelI14inclusive_scanILN6hipcub18BlockScanAlgorithmE0EEiLj256ELj1ELj100EEvPKT0_PS4_S4_
    .private_segment_fixed_size: 0
    .sgpr_count:     18
    .sgpr_spill_count: 0
    .symbol:         _Z6kernelI14inclusive_scanILN6hipcub18BlockScanAlgorithmE0EEiLj256ELj1ELj100EEvPKT0_PS4_S4_.kd
    .uniform_work_group_size: 1
    .uses_dynamic_stack: false
    .vgpr_count:     8
    .vgpr_spill_count: 0
    .wavefront_size: 32
    .workgroup_processor_mode: 1
  - .args:
      - .address_space:  global
        .offset:         0
        .size:           8
        .value_kind:     global_buffer
      - .address_space:  global
        .offset:         8
        .size:           8
        .value_kind:     global_buffer
      - .offset:         16
        .size:           4
        .value_kind:     by_value
      - .offset:         24
        .size:           4
        .value_kind:     hidden_block_count_x
      - .offset:         28
        .size:           4
        .value_kind:     hidden_block_count_y
      - .offset:         32
        .size:           4
        .value_kind:     hidden_block_count_z
      - .offset:         36
        .size:           2
        .value_kind:     hidden_group_size_x
      - .offset:         38
        .size:           2
        .value_kind:     hidden_group_size_y
      - .offset:         40
        .size:           2
        .value_kind:     hidden_group_size_z
      - .offset:         42
        .size:           2
        .value_kind:     hidden_remainder_x
      - .offset:         44
        .size:           2
        .value_kind:     hidden_remainder_y
      - .offset:         46
        .size:           2
        .value_kind:     hidden_remainder_z
      - .offset:         64
        .size:           8
        .value_kind:     hidden_global_offset_x
      - .offset:         72
        .size:           8
        .value_kind:     hidden_global_offset_y
      - .offset:         80
        .size:           8
        .value_kind:     hidden_global_offset_z
      - .offset:         88
        .size:           2
        .value_kind:     hidden_grid_dims
    .group_segment_fixed_size: 32
    .kernarg_segment_align: 8
    .kernarg_segment_size: 280
    .language:       OpenCL C
    .language_version:
      - 2
      - 0
    .max_flat_workgroup_size: 256
    .name:           _Z6kernelI14inclusive_scanILN6hipcub18BlockScanAlgorithmE0EEiLj256ELj3ELj100EEvPKT0_PS4_S4_
    .private_segment_fixed_size: 0
    .sgpr_count:     18
    .sgpr_spill_count: 0
    .symbol:         _Z6kernelI14inclusive_scanILN6hipcub18BlockScanAlgorithmE0EEiLj256ELj3ELj100EEvPKT0_PS4_S4_.kd
    .uniform_work_group_size: 1
    .uses_dynamic_stack: false
    .vgpr_count:     16
    .vgpr_spill_count: 0
    .wavefront_size: 32
    .workgroup_processor_mode: 1
  - .args:
      - .address_space:  global
        .offset:         0
        .size:           8
        .value_kind:     global_buffer
      - .address_space:  global
        .offset:         8
        .size:           8
        .value_kind:     global_buffer
      - .offset:         16
        .size:           4
        .value_kind:     by_value
      - .offset:         24
        .size:           4
        .value_kind:     hidden_block_count_x
      - .offset:         28
        .size:           4
        .value_kind:     hidden_block_count_y
      - .offset:         32
        .size:           4
        .value_kind:     hidden_block_count_z
      - .offset:         36
        .size:           2
        .value_kind:     hidden_group_size_x
      - .offset:         38
        .size:           2
        .value_kind:     hidden_group_size_y
      - .offset:         40
        .size:           2
        .value_kind:     hidden_group_size_z
      - .offset:         42
        .size:           2
        .value_kind:     hidden_remainder_x
      - .offset:         44
        .size:           2
        .value_kind:     hidden_remainder_y
      - .offset:         46
        .size:           2
        .value_kind:     hidden_remainder_z
      - .offset:         64
        .size:           8
        .value_kind:     hidden_global_offset_x
      - .offset:         72
        .size:           8
        .value_kind:     hidden_global_offset_y
      - .offset:         80
        .size:           8
        .value_kind:     hidden_global_offset_z
      - .offset:         88
        .size:           2
        .value_kind:     hidden_grid_dims
    .group_segment_fixed_size: 32
    .kernarg_segment_align: 8
    .kernarg_segment_size: 280
    .language:       OpenCL C
    .language_version:
      - 2
      - 0
    .max_flat_workgroup_size: 256
    .name:           _Z6kernelI14inclusive_scanILN6hipcub18BlockScanAlgorithmE0EEiLj256ELj4ELj100EEvPKT0_PS4_S4_
    .private_segment_fixed_size: 0
    .sgpr_count:     22
    .sgpr_spill_count: 0
    .symbol:         _Z6kernelI14inclusive_scanILN6hipcub18BlockScanAlgorithmE0EEiLj256ELj4ELj100EEvPKT0_PS4_S4_.kd
    .uniform_work_group_size: 1
    .uses_dynamic_stack: false
    .vgpr_count:     13
    .vgpr_spill_count: 0
    .wavefront_size: 32
    .workgroup_processor_mode: 1
  - .args:
      - .address_space:  global
        .offset:         0
        .size:           8
        .value_kind:     global_buffer
      - .address_space:  global
        .offset:         8
        .size:           8
        .value_kind:     global_buffer
      - .offset:         16
        .size:           4
        .value_kind:     by_value
      - .offset:         24
        .size:           4
        .value_kind:     hidden_block_count_x
      - .offset:         28
        .size:           4
        .value_kind:     hidden_block_count_y
      - .offset:         32
        .size:           4
        .value_kind:     hidden_block_count_z
      - .offset:         36
        .size:           2
        .value_kind:     hidden_group_size_x
      - .offset:         38
        .size:           2
        .value_kind:     hidden_group_size_y
      - .offset:         40
        .size:           2
        .value_kind:     hidden_group_size_z
      - .offset:         42
        .size:           2
        .value_kind:     hidden_remainder_x
      - .offset:         44
        .size:           2
        .value_kind:     hidden_remainder_y
      - .offset:         46
        .size:           2
        .value_kind:     hidden_remainder_z
      - .offset:         64
        .size:           8
        .value_kind:     hidden_global_offset_x
      - .offset:         72
        .size:           8
        .value_kind:     hidden_global_offset_y
      - .offset:         80
        .size:           8
        .value_kind:     hidden_global_offset_z
      - .offset:         88
        .size:           2
        .value_kind:     hidden_grid_dims
    .group_segment_fixed_size: 32
    .kernarg_segment_align: 8
    .kernarg_segment_size: 280
    .language:       OpenCL C
    .language_version:
      - 2
      - 0
    .max_flat_workgroup_size: 256
    .name:           _Z6kernelI14inclusive_scanILN6hipcub18BlockScanAlgorithmE0EEiLj256ELj8ELj100EEvPKT0_PS4_S4_
    .private_segment_fixed_size: 0
    .sgpr_count:     22
    .sgpr_spill_count: 0
    .symbol:         _Z6kernelI14inclusive_scanILN6hipcub18BlockScanAlgorithmE0EEiLj256ELj8ELj100EEvPKT0_PS4_S4_.kd
    .uniform_work_group_size: 1
    .uses_dynamic_stack: false
    .vgpr_count:     17
    .vgpr_spill_count: 0
    .wavefront_size: 32
    .workgroup_processor_mode: 1
  - .args:
      - .address_space:  global
        .offset:         0
        .size:           8
        .value_kind:     global_buffer
      - .address_space:  global
        .offset:         8
        .size:           8
        .value_kind:     global_buffer
      - .offset:         16
        .size:           4
        .value_kind:     by_value
      - .offset:         24
        .size:           4
        .value_kind:     hidden_block_count_x
      - .offset:         28
        .size:           4
        .value_kind:     hidden_block_count_y
      - .offset:         32
        .size:           4
        .value_kind:     hidden_block_count_z
      - .offset:         36
        .size:           2
        .value_kind:     hidden_group_size_x
      - .offset:         38
        .size:           2
        .value_kind:     hidden_group_size_y
      - .offset:         40
        .size:           2
        .value_kind:     hidden_group_size_z
      - .offset:         42
        .size:           2
        .value_kind:     hidden_remainder_x
      - .offset:         44
        .size:           2
        .value_kind:     hidden_remainder_y
      - .offset:         46
        .size:           2
        .value_kind:     hidden_remainder_z
      - .offset:         64
        .size:           8
        .value_kind:     hidden_global_offset_x
      - .offset:         72
        .size:           8
        .value_kind:     hidden_global_offset_y
      - .offset:         80
        .size:           8
        .value_kind:     hidden_global_offset_z
      - .offset:         88
        .size:           2
        .value_kind:     hidden_grid_dims
    .group_segment_fixed_size: 32
    .kernarg_segment_align: 8
    .kernarg_segment_size: 280
    .language:       OpenCL C
    .language_version:
      - 2
      - 0
    .max_flat_workgroup_size: 256
    .name:           _Z6kernelI14inclusive_scanILN6hipcub18BlockScanAlgorithmE0EEiLj256ELj11ELj100EEvPKT0_PS4_S4_
    .private_segment_fixed_size: 0
    .sgpr_count:     18
    .sgpr_spill_count: 0
    .symbol:         _Z6kernelI14inclusive_scanILN6hipcub18BlockScanAlgorithmE0EEiLj256ELj11ELj100EEvPKT0_PS4_S4_.kd
    .uniform_work_group_size: 1
    .uses_dynamic_stack: false
    .vgpr_count:     48
    .vgpr_spill_count: 0
    .wavefront_size: 32
    .workgroup_processor_mode: 1
  - .args:
      - .address_space:  global
        .offset:         0
        .size:           8
        .value_kind:     global_buffer
      - .address_space:  global
        .offset:         8
        .size:           8
        .value_kind:     global_buffer
      - .offset:         16
        .size:           4
        .value_kind:     by_value
      - .offset:         24
        .size:           4
        .value_kind:     hidden_block_count_x
      - .offset:         28
        .size:           4
        .value_kind:     hidden_block_count_y
      - .offset:         32
        .size:           4
        .value_kind:     hidden_block_count_z
      - .offset:         36
        .size:           2
        .value_kind:     hidden_group_size_x
      - .offset:         38
        .size:           2
        .value_kind:     hidden_group_size_y
      - .offset:         40
        .size:           2
        .value_kind:     hidden_group_size_z
      - .offset:         42
        .size:           2
        .value_kind:     hidden_remainder_x
      - .offset:         44
        .size:           2
        .value_kind:     hidden_remainder_y
      - .offset:         46
        .size:           2
        .value_kind:     hidden_remainder_z
      - .offset:         64
        .size:           8
        .value_kind:     hidden_global_offset_x
      - .offset:         72
        .size:           8
        .value_kind:     hidden_global_offset_y
      - .offset:         80
        .size:           8
        .value_kind:     hidden_global_offset_z
      - .offset:         88
        .size:           2
        .value_kind:     hidden_grid_dims
    .group_segment_fixed_size: 32
    .kernarg_segment_align: 8
    .kernarg_segment_size: 280
    .language:       OpenCL C
    .language_version:
      - 2
      - 0
    .max_flat_workgroup_size: 256
    .name:           _Z6kernelI14inclusive_scanILN6hipcub18BlockScanAlgorithmE0EEiLj256ELj16ELj100EEvPKT0_PS4_S4_
    .private_segment_fixed_size: 0
    .sgpr_count:     22
    .sgpr_spill_count: 0
    .symbol:         _Z6kernelI14inclusive_scanILN6hipcub18BlockScanAlgorithmE0EEiLj256ELj16ELj100EEvPKT0_PS4_S4_.kd
    .uniform_work_group_size: 1
    .uses_dynamic_stack: false
    .vgpr_count:     25
    .vgpr_spill_count: 0
    .wavefront_size: 32
    .workgroup_processor_mode: 1
  - .args:
      - .address_space:  global
        .offset:         0
        .size:           8
        .value_kind:     global_buffer
      - .address_space:  global
        .offset:         8
        .size:           8
        .value_kind:     global_buffer
      - .offset:         16
        .size:           4
        .value_kind:     by_value
      - .offset:         24
        .size:           4
        .value_kind:     hidden_block_count_x
      - .offset:         28
        .size:           4
        .value_kind:     hidden_block_count_y
      - .offset:         32
        .size:           4
        .value_kind:     hidden_block_count_z
      - .offset:         36
        .size:           2
        .value_kind:     hidden_group_size_x
      - .offset:         38
        .size:           2
        .value_kind:     hidden_group_size_y
      - .offset:         40
        .size:           2
        .value_kind:     hidden_group_size_z
      - .offset:         42
        .size:           2
        .value_kind:     hidden_remainder_x
      - .offset:         44
        .size:           2
        .value_kind:     hidden_remainder_y
      - .offset:         46
        .size:           2
        .value_kind:     hidden_remainder_z
      - .offset:         64
        .size:           8
        .value_kind:     hidden_global_offset_x
      - .offset:         72
        .size:           8
        .value_kind:     hidden_global_offset_y
      - .offset:         80
        .size:           8
        .value_kind:     hidden_global_offset_z
      - .offset:         88
        .size:           2
        .value_kind:     hidden_grid_dims
    .group_segment_fixed_size: 32
    .kernarg_segment_align: 8
    .kernarg_segment_size: 280
    .language:       OpenCL C
    .language_version:
      - 2
      - 0
    .max_flat_workgroup_size: 256
    .name:           _Z6kernelI14inclusive_scanILN6hipcub18BlockScanAlgorithmE0EEfLj256ELj1ELj100EEvPKT0_PS4_S4_
    .private_segment_fixed_size: 0
    .sgpr_count:     18
    .sgpr_spill_count: 0
    .symbol:         _Z6kernelI14inclusive_scanILN6hipcub18BlockScanAlgorithmE0EEfLj256ELj1ELj100EEvPKT0_PS4_S4_.kd
    .uniform_work_group_size: 1
    .uses_dynamic_stack: false
    .vgpr_count:     8
    .vgpr_spill_count: 0
    .wavefront_size: 32
    .workgroup_processor_mode: 1
  - .args:
      - .address_space:  global
        .offset:         0
        .size:           8
        .value_kind:     global_buffer
      - .address_space:  global
        .offset:         8
        .size:           8
        .value_kind:     global_buffer
      - .offset:         16
        .size:           4
        .value_kind:     by_value
      - .offset:         24
        .size:           4
        .value_kind:     hidden_block_count_x
      - .offset:         28
        .size:           4
        .value_kind:     hidden_block_count_y
      - .offset:         32
        .size:           4
        .value_kind:     hidden_block_count_z
      - .offset:         36
        .size:           2
        .value_kind:     hidden_group_size_x
      - .offset:         38
        .size:           2
        .value_kind:     hidden_group_size_y
      - .offset:         40
        .size:           2
        .value_kind:     hidden_group_size_z
      - .offset:         42
        .size:           2
        .value_kind:     hidden_remainder_x
      - .offset:         44
        .size:           2
        .value_kind:     hidden_remainder_y
      - .offset:         46
        .size:           2
        .value_kind:     hidden_remainder_z
      - .offset:         64
        .size:           8
        .value_kind:     hidden_global_offset_x
      - .offset:         72
        .size:           8
        .value_kind:     hidden_global_offset_y
      - .offset:         80
        .size:           8
        .value_kind:     hidden_global_offset_z
      - .offset:         88
        .size:           2
        .value_kind:     hidden_grid_dims
    .group_segment_fixed_size: 32
    .kernarg_segment_align: 8
    .kernarg_segment_size: 280
    .language:       OpenCL C
    .language_version:
      - 2
      - 0
    .max_flat_workgroup_size: 256
    .name:           _Z6kernelI14inclusive_scanILN6hipcub18BlockScanAlgorithmE0EEfLj256ELj3ELj100EEvPKT0_PS4_S4_
    .private_segment_fixed_size: 0
    .sgpr_count:     18
    .sgpr_spill_count: 0
    .symbol:         _Z6kernelI14inclusive_scanILN6hipcub18BlockScanAlgorithmE0EEfLj256ELj3ELj100EEvPKT0_PS4_S4_.kd
    .uniform_work_group_size: 1
    .uses_dynamic_stack: false
    .vgpr_count:     16
    .vgpr_spill_count: 0
    .wavefront_size: 32
    .workgroup_processor_mode: 1
  - .args:
      - .address_space:  global
        .offset:         0
        .size:           8
        .value_kind:     global_buffer
      - .address_space:  global
        .offset:         8
        .size:           8
        .value_kind:     global_buffer
      - .offset:         16
        .size:           4
        .value_kind:     by_value
      - .offset:         24
        .size:           4
        .value_kind:     hidden_block_count_x
      - .offset:         28
        .size:           4
        .value_kind:     hidden_block_count_y
      - .offset:         32
        .size:           4
        .value_kind:     hidden_block_count_z
      - .offset:         36
        .size:           2
        .value_kind:     hidden_group_size_x
      - .offset:         38
        .size:           2
        .value_kind:     hidden_group_size_y
      - .offset:         40
        .size:           2
        .value_kind:     hidden_group_size_z
      - .offset:         42
        .size:           2
        .value_kind:     hidden_remainder_x
      - .offset:         44
        .size:           2
        .value_kind:     hidden_remainder_y
      - .offset:         46
        .size:           2
        .value_kind:     hidden_remainder_z
      - .offset:         64
        .size:           8
        .value_kind:     hidden_global_offset_x
      - .offset:         72
        .size:           8
        .value_kind:     hidden_global_offset_y
      - .offset:         80
        .size:           8
        .value_kind:     hidden_global_offset_z
      - .offset:         88
        .size:           2
        .value_kind:     hidden_grid_dims
    .group_segment_fixed_size: 32
    .kernarg_segment_align: 8
    .kernarg_segment_size: 280
    .language:       OpenCL C
    .language_version:
      - 2
      - 0
    .max_flat_workgroup_size: 256
    .name:           _Z6kernelI14inclusive_scanILN6hipcub18BlockScanAlgorithmE0EEfLj256ELj4ELj100EEvPKT0_PS4_S4_
    .private_segment_fixed_size: 0
    .sgpr_count:     22
    .sgpr_spill_count: 0
    .symbol:         _Z6kernelI14inclusive_scanILN6hipcub18BlockScanAlgorithmE0EEfLj256ELj4ELj100EEvPKT0_PS4_S4_.kd
    .uniform_work_group_size: 1
    .uses_dynamic_stack: false
    .vgpr_count:     13
    .vgpr_spill_count: 0
    .wavefront_size: 32
    .workgroup_processor_mode: 1
  - .args:
      - .address_space:  global
        .offset:         0
        .size:           8
        .value_kind:     global_buffer
      - .address_space:  global
        .offset:         8
        .size:           8
        .value_kind:     global_buffer
      - .offset:         16
        .size:           4
        .value_kind:     by_value
      - .offset:         24
        .size:           4
        .value_kind:     hidden_block_count_x
      - .offset:         28
        .size:           4
        .value_kind:     hidden_block_count_y
      - .offset:         32
        .size:           4
        .value_kind:     hidden_block_count_z
      - .offset:         36
        .size:           2
        .value_kind:     hidden_group_size_x
      - .offset:         38
        .size:           2
        .value_kind:     hidden_group_size_y
      - .offset:         40
        .size:           2
        .value_kind:     hidden_group_size_z
      - .offset:         42
        .size:           2
        .value_kind:     hidden_remainder_x
      - .offset:         44
        .size:           2
        .value_kind:     hidden_remainder_y
      - .offset:         46
        .size:           2
        .value_kind:     hidden_remainder_z
      - .offset:         64
        .size:           8
        .value_kind:     hidden_global_offset_x
      - .offset:         72
        .size:           8
        .value_kind:     hidden_global_offset_y
      - .offset:         80
        .size:           8
        .value_kind:     hidden_global_offset_z
      - .offset:         88
        .size:           2
        .value_kind:     hidden_grid_dims
    .group_segment_fixed_size: 32
    .kernarg_segment_align: 8
    .kernarg_segment_size: 280
    .language:       OpenCL C
    .language_version:
      - 2
      - 0
    .max_flat_workgroup_size: 256
    .name:           _Z6kernelI14inclusive_scanILN6hipcub18BlockScanAlgorithmE0EEfLj256ELj8ELj100EEvPKT0_PS4_S4_
    .private_segment_fixed_size: 0
    .sgpr_count:     22
    .sgpr_spill_count: 0
    .symbol:         _Z6kernelI14inclusive_scanILN6hipcub18BlockScanAlgorithmE0EEfLj256ELj8ELj100EEvPKT0_PS4_S4_.kd
    .uniform_work_group_size: 1
    .uses_dynamic_stack: false
    .vgpr_count:     17
    .vgpr_spill_count: 0
    .wavefront_size: 32
    .workgroup_processor_mode: 1
  - .args:
      - .address_space:  global
        .offset:         0
        .size:           8
        .value_kind:     global_buffer
      - .address_space:  global
        .offset:         8
        .size:           8
        .value_kind:     global_buffer
      - .offset:         16
        .size:           4
        .value_kind:     by_value
      - .offset:         24
        .size:           4
        .value_kind:     hidden_block_count_x
      - .offset:         28
        .size:           4
        .value_kind:     hidden_block_count_y
      - .offset:         32
        .size:           4
        .value_kind:     hidden_block_count_z
      - .offset:         36
        .size:           2
        .value_kind:     hidden_group_size_x
      - .offset:         38
        .size:           2
        .value_kind:     hidden_group_size_y
      - .offset:         40
        .size:           2
        .value_kind:     hidden_group_size_z
      - .offset:         42
        .size:           2
        .value_kind:     hidden_remainder_x
      - .offset:         44
        .size:           2
        .value_kind:     hidden_remainder_y
      - .offset:         46
        .size:           2
        .value_kind:     hidden_remainder_z
      - .offset:         64
        .size:           8
        .value_kind:     hidden_global_offset_x
      - .offset:         72
        .size:           8
        .value_kind:     hidden_global_offset_y
      - .offset:         80
        .size:           8
        .value_kind:     hidden_global_offset_z
      - .offset:         88
        .size:           2
        .value_kind:     hidden_grid_dims
    .group_segment_fixed_size: 32
    .kernarg_segment_align: 8
    .kernarg_segment_size: 280
    .language:       OpenCL C
    .language_version:
      - 2
      - 0
    .max_flat_workgroup_size: 256
    .name:           _Z6kernelI14inclusive_scanILN6hipcub18BlockScanAlgorithmE0EEfLj256ELj11ELj100EEvPKT0_PS4_S4_
    .private_segment_fixed_size: 0
    .sgpr_count:     18
    .sgpr_spill_count: 0
    .symbol:         _Z6kernelI14inclusive_scanILN6hipcub18BlockScanAlgorithmE0EEfLj256ELj11ELj100EEvPKT0_PS4_S4_.kd
    .uniform_work_group_size: 1
    .uses_dynamic_stack: false
    .vgpr_count:     48
    .vgpr_spill_count: 0
    .wavefront_size: 32
    .workgroup_processor_mode: 1
  - .args:
      - .address_space:  global
        .offset:         0
        .size:           8
        .value_kind:     global_buffer
      - .address_space:  global
        .offset:         8
        .size:           8
        .value_kind:     global_buffer
      - .offset:         16
        .size:           4
        .value_kind:     by_value
      - .offset:         24
        .size:           4
        .value_kind:     hidden_block_count_x
      - .offset:         28
        .size:           4
        .value_kind:     hidden_block_count_y
      - .offset:         32
        .size:           4
        .value_kind:     hidden_block_count_z
      - .offset:         36
        .size:           2
        .value_kind:     hidden_group_size_x
      - .offset:         38
        .size:           2
        .value_kind:     hidden_group_size_y
      - .offset:         40
        .size:           2
        .value_kind:     hidden_group_size_z
      - .offset:         42
        .size:           2
        .value_kind:     hidden_remainder_x
      - .offset:         44
        .size:           2
        .value_kind:     hidden_remainder_y
      - .offset:         46
        .size:           2
        .value_kind:     hidden_remainder_z
      - .offset:         64
        .size:           8
        .value_kind:     hidden_global_offset_x
      - .offset:         72
        .size:           8
        .value_kind:     hidden_global_offset_y
      - .offset:         80
        .size:           8
        .value_kind:     hidden_global_offset_z
      - .offset:         88
        .size:           2
        .value_kind:     hidden_grid_dims
    .group_segment_fixed_size: 32
    .kernarg_segment_align: 8
    .kernarg_segment_size: 280
    .language:       OpenCL C
    .language_version:
      - 2
      - 0
    .max_flat_workgroup_size: 256
    .name:           _Z6kernelI14inclusive_scanILN6hipcub18BlockScanAlgorithmE0EEfLj256ELj16ELj100EEvPKT0_PS4_S4_
    .private_segment_fixed_size: 0
    .sgpr_count:     22
    .sgpr_spill_count: 0
    .symbol:         _Z6kernelI14inclusive_scanILN6hipcub18BlockScanAlgorithmE0EEfLj256ELj16ELj100EEvPKT0_PS4_S4_.kd
    .uniform_work_group_size: 1
    .uses_dynamic_stack: false
    .vgpr_count:     25
    .vgpr_spill_count: 0
    .wavefront_size: 32
    .workgroup_processor_mode: 1
  - .args:
      - .address_space:  global
        .offset:         0
        .size:           8
        .value_kind:     global_buffer
      - .address_space:  global
        .offset:         8
        .size:           8
        .value_kind:     global_buffer
      - .offset:         16
        .size:           8
        .value_kind:     by_value
      - .offset:         24
        .size:           4
        .value_kind:     hidden_block_count_x
      - .offset:         28
        .size:           4
        .value_kind:     hidden_block_count_y
      - .offset:         32
        .size:           4
        .value_kind:     hidden_block_count_z
      - .offset:         36
        .size:           2
        .value_kind:     hidden_group_size_x
      - .offset:         38
        .size:           2
        .value_kind:     hidden_group_size_y
      - .offset:         40
        .size:           2
        .value_kind:     hidden_group_size_z
      - .offset:         42
        .size:           2
        .value_kind:     hidden_remainder_x
      - .offset:         44
        .size:           2
        .value_kind:     hidden_remainder_y
      - .offset:         46
        .size:           2
        .value_kind:     hidden_remainder_z
      - .offset:         64
        .size:           8
        .value_kind:     hidden_global_offset_x
      - .offset:         72
        .size:           8
        .value_kind:     hidden_global_offset_y
      - .offset:         80
        .size:           8
        .value_kind:     hidden_global_offset_z
      - .offset:         88
        .size:           2
        .value_kind:     hidden_grid_dims
    .group_segment_fixed_size: 64
    .kernarg_segment_align: 8
    .kernarg_segment_size: 280
    .language:       OpenCL C
    .language_version:
      - 2
      - 0
    .max_flat_workgroup_size: 256
    .name:           _Z6kernelI14inclusive_scanILN6hipcub18BlockScanAlgorithmE0EEdLj256ELj1ELj100EEvPKT0_PS4_S4_
    .private_segment_fixed_size: 0
    .sgpr_count:     18
    .sgpr_spill_count: 0
    .symbol:         _Z6kernelI14inclusive_scanILN6hipcub18BlockScanAlgorithmE0EEdLj256ELj1ELj100EEvPKT0_PS4_S4_.kd
    .uniform_work_group_size: 1
    .uses_dynamic_stack: false
    .vgpr_count:     11
    .vgpr_spill_count: 0
    .wavefront_size: 32
    .workgroup_processor_mode: 1
  - .args:
      - .address_space:  global
        .offset:         0
        .size:           8
        .value_kind:     global_buffer
      - .address_space:  global
        .offset:         8
        .size:           8
        .value_kind:     global_buffer
      - .offset:         16
        .size:           8
        .value_kind:     by_value
      - .offset:         24
        .size:           4
        .value_kind:     hidden_block_count_x
      - .offset:         28
        .size:           4
        .value_kind:     hidden_block_count_y
      - .offset:         32
        .size:           4
        .value_kind:     hidden_block_count_z
      - .offset:         36
        .size:           2
        .value_kind:     hidden_group_size_x
      - .offset:         38
        .size:           2
        .value_kind:     hidden_group_size_y
      - .offset:         40
        .size:           2
        .value_kind:     hidden_group_size_z
      - .offset:         42
        .size:           2
        .value_kind:     hidden_remainder_x
      - .offset:         44
        .size:           2
        .value_kind:     hidden_remainder_y
      - .offset:         46
        .size:           2
        .value_kind:     hidden_remainder_z
      - .offset:         64
        .size:           8
        .value_kind:     hidden_global_offset_x
      - .offset:         72
        .size:           8
        .value_kind:     hidden_global_offset_y
      - .offset:         80
        .size:           8
        .value_kind:     hidden_global_offset_z
      - .offset:         88
        .size:           2
        .value_kind:     hidden_grid_dims
    .group_segment_fixed_size: 64
    .kernarg_segment_align: 8
    .kernarg_segment_size: 280
    .language:       OpenCL C
    .language_version:
      - 2
      - 0
    .max_flat_workgroup_size: 256
    .name:           _Z6kernelI14inclusive_scanILN6hipcub18BlockScanAlgorithmE0EEdLj256ELj3ELj100EEvPKT0_PS4_S4_
    .private_segment_fixed_size: 0
    .sgpr_count:     19
    .sgpr_spill_count: 0
    .symbol:         _Z6kernelI14inclusive_scanILN6hipcub18BlockScanAlgorithmE0EEdLj256ELj3ELj100EEvPKT0_PS4_S4_.kd
    .uniform_work_group_size: 1
    .uses_dynamic_stack: false
    .vgpr_count:     26
    .vgpr_spill_count: 0
    .wavefront_size: 32
    .workgroup_processor_mode: 1
  - .args:
      - .address_space:  global
        .offset:         0
        .size:           8
        .value_kind:     global_buffer
      - .address_space:  global
        .offset:         8
        .size:           8
        .value_kind:     global_buffer
      - .offset:         16
        .size:           8
        .value_kind:     by_value
      - .offset:         24
        .size:           4
        .value_kind:     hidden_block_count_x
      - .offset:         28
        .size:           4
        .value_kind:     hidden_block_count_y
      - .offset:         32
        .size:           4
        .value_kind:     hidden_block_count_z
      - .offset:         36
        .size:           2
        .value_kind:     hidden_group_size_x
      - .offset:         38
        .size:           2
        .value_kind:     hidden_group_size_y
      - .offset:         40
        .size:           2
        .value_kind:     hidden_group_size_z
      - .offset:         42
        .size:           2
        .value_kind:     hidden_remainder_x
      - .offset:         44
        .size:           2
        .value_kind:     hidden_remainder_y
      - .offset:         46
        .size:           2
        .value_kind:     hidden_remainder_z
      - .offset:         64
        .size:           8
        .value_kind:     hidden_global_offset_x
      - .offset:         72
        .size:           8
        .value_kind:     hidden_global_offset_y
      - .offset:         80
        .size:           8
        .value_kind:     hidden_global_offset_z
      - .offset:         88
        .size:           2
        .value_kind:     hidden_grid_dims
    .group_segment_fixed_size: 64
    .kernarg_segment_align: 8
    .kernarg_segment_size: 280
    .language:       OpenCL C
    .language_version:
      - 2
      - 0
    .max_flat_workgroup_size: 256
    .name:           _Z6kernelI14inclusive_scanILN6hipcub18BlockScanAlgorithmE0EEdLj256ELj4ELj100EEvPKT0_PS4_S4_
    .private_segment_fixed_size: 0
    .sgpr_count:     22
    .sgpr_spill_count: 0
    .symbol:         _Z6kernelI14inclusive_scanILN6hipcub18BlockScanAlgorithmE0EEdLj256ELj4ELj100EEvPKT0_PS4_S4_.kd
    .uniform_work_group_size: 1
    .uses_dynamic_stack: false
    .vgpr_count:     26
    .vgpr_spill_count: 0
    .wavefront_size: 32
    .workgroup_processor_mode: 1
  - .args:
      - .address_space:  global
        .offset:         0
        .size:           8
        .value_kind:     global_buffer
      - .address_space:  global
        .offset:         8
        .size:           8
        .value_kind:     global_buffer
      - .offset:         16
        .size:           8
        .value_kind:     by_value
      - .offset:         24
        .size:           4
        .value_kind:     hidden_block_count_x
      - .offset:         28
        .size:           4
        .value_kind:     hidden_block_count_y
      - .offset:         32
        .size:           4
        .value_kind:     hidden_block_count_z
      - .offset:         36
        .size:           2
        .value_kind:     hidden_group_size_x
      - .offset:         38
        .size:           2
        .value_kind:     hidden_group_size_y
      - .offset:         40
        .size:           2
        .value_kind:     hidden_group_size_z
      - .offset:         42
        .size:           2
        .value_kind:     hidden_remainder_x
      - .offset:         44
        .size:           2
        .value_kind:     hidden_remainder_y
      - .offset:         46
        .size:           2
        .value_kind:     hidden_remainder_z
      - .offset:         64
        .size:           8
        .value_kind:     hidden_global_offset_x
      - .offset:         72
        .size:           8
        .value_kind:     hidden_global_offset_y
      - .offset:         80
        .size:           8
        .value_kind:     hidden_global_offset_z
      - .offset:         88
        .size:           2
        .value_kind:     hidden_grid_dims
    .group_segment_fixed_size: 64
    .kernarg_segment_align: 8
    .kernarg_segment_size: 280
    .language:       OpenCL C
    .language_version:
      - 2
      - 0
    .max_flat_workgroup_size: 256
    .name:           _Z6kernelI14inclusive_scanILN6hipcub18BlockScanAlgorithmE0EEdLj256ELj8ELj100EEvPKT0_PS4_S4_
    .private_segment_fixed_size: 0
    .sgpr_count:     22
    .sgpr_spill_count: 0
    .symbol:         _Z6kernelI14inclusive_scanILN6hipcub18BlockScanAlgorithmE0EEdLj256ELj8ELj100EEvPKT0_PS4_S4_.kd
    .uniform_work_group_size: 1
    .uses_dynamic_stack: false
    .vgpr_count:     42
    .vgpr_spill_count: 0
    .wavefront_size: 32
    .workgroup_processor_mode: 1
  - .args:
      - .address_space:  global
        .offset:         0
        .size:           8
        .value_kind:     global_buffer
      - .address_space:  global
        .offset:         8
        .size:           8
        .value_kind:     global_buffer
      - .offset:         16
        .size:           8
        .value_kind:     by_value
      - .offset:         24
        .size:           4
        .value_kind:     hidden_block_count_x
      - .offset:         28
        .size:           4
        .value_kind:     hidden_block_count_y
      - .offset:         32
        .size:           4
        .value_kind:     hidden_block_count_z
      - .offset:         36
        .size:           2
        .value_kind:     hidden_group_size_x
      - .offset:         38
        .size:           2
        .value_kind:     hidden_group_size_y
      - .offset:         40
        .size:           2
        .value_kind:     hidden_group_size_z
      - .offset:         42
        .size:           2
        .value_kind:     hidden_remainder_x
      - .offset:         44
        .size:           2
        .value_kind:     hidden_remainder_y
      - .offset:         46
        .size:           2
        .value_kind:     hidden_remainder_z
      - .offset:         64
        .size:           8
        .value_kind:     hidden_global_offset_x
      - .offset:         72
        .size:           8
        .value_kind:     hidden_global_offset_y
      - .offset:         80
        .size:           8
        .value_kind:     hidden_global_offset_z
      - .offset:         88
        .size:           2
        .value_kind:     hidden_grid_dims
    .group_segment_fixed_size: 64
    .kernarg_segment_align: 8
    .kernarg_segment_size: 280
    .language:       OpenCL C
    .language_version:
      - 2
      - 0
    .max_flat_workgroup_size: 256
    .name:           _Z6kernelI14inclusive_scanILN6hipcub18BlockScanAlgorithmE0EEdLj256ELj11ELj100EEvPKT0_PS4_S4_
    .private_segment_fixed_size: 0
    .sgpr_count:     19
    .sgpr_spill_count: 0
    .symbol:         _Z6kernelI14inclusive_scanILN6hipcub18BlockScanAlgorithmE0EEdLj256ELj11ELj100EEvPKT0_PS4_S4_.kd
    .uniform_work_group_size: 1
    .uses_dynamic_stack: false
    .vgpr_count:     74
    .vgpr_spill_count: 0
    .wavefront_size: 32
    .workgroup_processor_mode: 1
  - .args:
      - .address_space:  global
        .offset:         0
        .size:           8
        .value_kind:     global_buffer
      - .address_space:  global
        .offset:         8
        .size:           8
        .value_kind:     global_buffer
      - .offset:         16
        .size:           8
        .value_kind:     by_value
      - .offset:         24
        .size:           4
        .value_kind:     hidden_block_count_x
      - .offset:         28
        .size:           4
        .value_kind:     hidden_block_count_y
      - .offset:         32
        .size:           4
        .value_kind:     hidden_block_count_z
      - .offset:         36
        .size:           2
        .value_kind:     hidden_group_size_x
      - .offset:         38
        .size:           2
        .value_kind:     hidden_group_size_y
      - .offset:         40
        .size:           2
        .value_kind:     hidden_group_size_z
      - .offset:         42
        .size:           2
        .value_kind:     hidden_remainder_x
      - .offset:         44
        .size:           2
        .value_kind:     hidden_remainder_y
      - .offset:         46
        .size:           2
        .value_kind:     hidden_remainder_z
      - .offset:         64
        .size:           8
        .value_kind:     hidden_global_offset_x
      - .offset:         72
        .size:           8
        .value_kind:     hidden_global_offset_y
      - .offset:         80
        .size:           8
        .value_kind:     hidden_global_offset_z
      - .offset:         88
        .size:           2
        .value_kind:     hidden_grid_dims
    .group_segment_fixed_size: 64
    .kernarg_segment_align: 8
    .kernarg_segment_size: 280
    .language:       OpenCL C
    .language_version:
      - 2
      - 0
    .max_flat_workgroup_size: 256
    .name:           _Z6kernelI14inclusive_scanILN6hipcub18BlockScanAlgorithmE0EEdLj256ELj16ELj100EEvPKT0_PS4_S4_
    .private_segment_fixed_size: 0
    .sgpr_count:     22
    .sgpr_spill_count: 0
    .symbol:         _Z6kernelI14inclusive_scanILN6hipcub18BlockScanAlgorithmE0EEdLj256ELj16ELj100EEvPKT0_PS4_S4_.kd
    .uniform_work_group_size: 1
    .uses_dynamic_stack: false
    .vgpr_count:     74
    .vgpr_spill_count: 0
    .wavefront_size: 32
    .workgroup_processor_mode: 1
  - .args:
      - .address_space:  global
        .offset:         0
        .size:           8
        .value_kind:     global_buffer
      - .address_space:  global
        .offset:         8
        .size:           8
        .value_kind:     global_buffer
      - .offset:         16
        .size:           1
        .value_kind:     by_value
      - .offset:         24
        .size:           4
        .value_kind:     hidden_block_count_x
      - .offset:         28
        .size:           4
        .value_kind:     hidden_block_count_y
      - .offset:         32
        .size:           4
        .value_kind:     hidden_block_count_z
      - .offset:         36
        .size:           2
        .value_kind:     hidden_group_size_x
      - .offset:         38
        .size:           2
        .value_kind:     hidden_group_size_y
      - .offset:         40
        .size:           2
        .value_kind:     hidden_group_size_z
      - .offset:         42
        .size:           2
        .value_kind:     hidden_remainder_x
      - .offset:         44
        .size:           2
        .value_kind:     hidden_remainder_y
      - .offset:         46
        .size:           2
        .value_kind:     hidden_remainder_z
      - .offset:         64
        .size:           8
        .value_kind:     hidden_global_offset_x
      - .offset:         72
        .size:           8
        .value_kind:     hidden_global_offset_y
      - .offset:         80
        .size:           8
        .value_kind:     hidden_global_offset_z
      - .offset:         88
        .size:           2
        .value_kind:     hidden_grid_dims
    .group_segment_fixed_size: 8
    .kernarg_segment_align: 8
    .kernarg_segment_size: 280
    .language:       OpenCL C
    .language_version:
      - 2
      - 0
    .max_flat_workgroup_size: 256
    .name:           _Z6kernelI14inclusive_scanILN6hipcub18BlockScanAlgorithmE0EEhLj256ELj1ELj100EEvPKT0_PS4_S4_
    .private_segment_fixed_size: 0
    .sgpr_count:     18
    .sgpr_spill_count: 0
    .symbol:         _Z6kernelI14inclusive_scanILN6hipcub18BlockScanAlgorithmE0EEhLj256ELj1ELj100EEvPKT0_PS4_S4_.kd
    .uniform_work_group_size: 1
    .uses_dynamic_stack: false
    .vgpr_count:     7
    .vgpr_spill_count: 0
    .wavefront_size: 32
    .workgroup_processor_mode: 1
  - .args:
      - .address_space:  global
        .offset:         0
        .size:           8
        .value_kind:     global_buffer
      - .address_space:  global
        .offset:         8
        .size:           8
        .value_kind:     global_buffer
      - .offset:         16
        .size:           1
        .value_kind:     by_value
      - .offset:         24
        .size:           4
        .value_kind:     hidden_block_count_x
      - .offset:         28
        .size:           4
        .value_kind:     hidden_block_count_y
      - .offset:         32
        .size:           4
        .value_kind:     hidden_block_count_z
      - .offset:         36
        .size:           2
        .value_kind:     hidden_group_size_x
      - .offset:         38
        .size:           2
        .value_kind:     hidden_group_size_y
      - .offset:         40
        .size:           2
        .value_kind:     hidden_group_size_z
      - .offset:         42
        .size:           2
        .value_kind:     hidden_remainder_x
      - .offset:         44
        .size:           2
        .value_kind:     hidden_remainder_y
      - .offset:         46
        .size:           2
        .value_kind:     hidden_remainder_z
      - .offset:         64
        .size:           8
        .value_kind:     hidden_global_offset_x
      - .offset:         72
        .size:           8
        .value_kind:     hidden_global_offset_y
      - .offset:         80
        .size:           8
        .value_kind:     hidden_global_offset_z
      - .offset:         88
        .size:           2
        .value_kind:     hidden_grid_dims
    .group_segment_fixed_size: 8
    .kernarg_segment_align: 8
    .kernarg_segment_size: 280
    .language:       OpenCL C
    .language_version:
      - 2
      - 0
    .max_flat_workgroup_size: 256
    .name:           _Z6kernelI14inclusive_scanILN6hipcub18BlockScanAlgorithmE0EEhLj256ELj3ELj100EEvPKT0_PS4_S4_
    .private_segment_fixed_size: 0
    .sgpr_count:     22
    .sgpr_spill_count: 0
    .symbol:         _Z6kernelI14inclusive_scanILN6hipcub18BlockScanAlgorithmE0EEhLj256ELj3ELj100EEvPKT0_PS4_S4_.kd
    .uniform_work_group_size: 1
    .uses_dynamic_stack: false
    .vgpr_count:     14
    .vgpr_spill_count: 0
    .wavefront_size: 32
    .workgroup_processor_mode: 1
  - .args:
      - .address_space:  global
        .offset:         0
        .size:           8
        .value_kind:     global_buffer
      - .address_space:  global
        .offset:         8
        .size:           8
        .value_kind:     global_buffer
      - .offset:         16
        .size:           1
        .value_kind:     by_value
      - .offset:         24
        .size:           4
        .value_kind:     hidden_block_count_x
      - .offset:         28
        .size:           4
        .value_kind:     hidden_block_count_y
      - .offset:         32
        .size:           4
        .value_kind:     hidden_block_count_z
      - .offset:         36
        .size:           2
        .value_kind:     hidden_group_size_x
      - .offset:         38
        .size:           2
        .value_kind:     hidden_group_size_y
      - .offset:         40
        .size:           2
        .value_kind:     hidden_group_size_z
      - .offset:         42
        .size:           2
        .value_kind:     hidden_remainder_x
      - .offset:         44
        .size:           2
        .value_kind:     hidden_remainder_y
      - .offset:         46
        .size:           2
        .value_kind:     hidden_remainder_z
      - .offset:         64
        .size:           8
        .value_kind:     hidden_global_offset_x
      - .offset:         72
        .size:           8
        .value_kind:     hidden_global_offset_y
      - .offset:         80
        .size:           8
        .value_kind:     hidden_global_offset_z
      - .offset:         88
        .size:           2
        .value_kind:     hidden_grid_dims
    .group_segment_fixed_size: 8
    .kernarg_segment_align: 8
    .kernarg_segment_size: 280
    .language:       OpenCL C
    .language_version:
      - 2
      - 0
    .max_flat_workgroup_size: 256
    .name:           _Z6kernelI14inclusive_scanILN6hipcub18BlockScanAlgorithmE0EEhLj256ELj4ELj100EEvPKT0_PS4_S4_
    .private_segment_fixed_size: 0
    .sgpr_count:     22
    .sgpr_spill_count: 0
    .symbol:         _Z6kernelI14inclusive_scanILN6hipcub18BlockScanAlgorithmE0EEhLj256ELj4ELj100EEvPKT0_PS4_S4_.kd
    .uniform_work_group_size: 1
    .uses_dynamic_stack: false
    .vgpr_count:     12
    .vgpr_spill_count: 0
    .wavefront_size: 32
    .workgroup_processor_mode: 1
  - .args:
      - .address_space:  global
        .offset:         0
        .size:           8
        .value_kind:     global_buffer
      - .address_space:  global
        .offset:         8
        .size:           8
        .value_kind:     global_buffer
      - .offset:         16
        .size:           1
        .value_kind:     by_value
      - .offset:         24
        .size:           4
        .value_kind:     hidden_block_count_x
      - .offset:         28
        .size:           4
        .value_kind:     hidden_block_count_y
      - .offset:         32
        .size:           4
        .value_kind:     hidden_block_count_z
      - .offset:         36
        .size:           2
        .value_kind:     hidden_group_size_x
      - .offset:         38
        .size:           2
        .value_kind:     hidden_group_size_y
      - .offset:         40
        .size:           2
        .value_kind:     hidden_group_size_z
      - .offset:         42
        .size:           2
        .value_kind:     hidden_remainder_x
      - .offset:         44
        .size:           2
        .value_kind:     hidden_remainder_y
      - .offset:         46
        .size:           2
        .value_kind:     hidden_remainder_z
      - .offset:         64
        .size:           8
        .value_kind:     hidden_global_offset_x
      - .offset:         72
        .size:           8
        .value_kind:     hidden_global_offset_y
      - .offset:         80
        .size:           8
        .value_kind:     hidden_global_offset_z
      - .offset:         88
        .size:           2
        .value_kind:     hidden_grid_dims
    .group_segment_fixed_size: 8
    .kernarg_segment_align: 8
    .kernarg_segment_size: 280
    .language:       OpenCL C
    .language_version:
      - 2
      - 0
    .max_flat_workgroup_size: 256
    .name:           _Z6kernelI14inclusive_scanILN6hipcub18BlockScanAlgorithmE0EEhLj256ELj8ELj100EEvPKT0_PS4_S4_
    .private_segment_fixed_size: 0
    .sgpr_count:     22
    .sgpr_spill_count: 0
    .symbol:         _Z6kernelI14inclusive_scanILN6hipcub18BlockScanAlgorithmE0EEhLj256ELj8ELj100EEvPKT0_PS4_S4_.kd
    .uniform_work_group_size: 1
    .uses_dynamic_stack: false
    .vgpr_count:     16
    .vgpr_spill_count: 0
    .wavefront_size: 32
    .workgroup_processor_mode: 1
  - .args:
      - .address_space:  global
        .offset:         0
        .size:           8
        .value_kind:     global_buffer
      - .address_space:  global
        .offset:         8
        .size:           8
        .value_kind:     global_buffer
      - .offset:         16
        .size:           1
        .value_kind:     by_value
      - .offset:         24
        .size:           4
        .value_kind:     hidden_block_count_x
      - .offset:         28
        .size:           4
        .value_kind:     hidden_block_count_y
      - .offset:         32
        .size:           4
        .value_kind:     hidden_block_count_z
      - .offset:         36
        .size:           2
        .value_kind:     hidden_group_size_x
      - .offset:         38
        .size:           2
        .value_kind:     hidden_group_size_y
      - .offset:         40
        .size:           2
        .value_kind:     hidden_group_size_z
      - .offset:         42
        .size:           2
        .value_kind:     hidden_remainder_x
      - .offset:         44
        .size:           2
        .value_kind:     hidden_remainder_y
      - .offset:         46
        .size:           2
        .value_kind:     hidden_remainder_z
      - .offset:         64
        .size:           8
        .value_kind:     hidden_global_offset_x
      - .offset:         72
        .size:           8
        .value_kind:     hidden_global_offset_y
      - .offset:         80
        .size:           8
        .value_kind:     hidden_global_offset_z
      - .offset:         88
        .size:           2
        .value_kind:     hidden_grid_dims
    .group_segment_fixed_size: 8
    .kernarg_segment_align: 8
    .kernarg_segment_size: 280
    .language:       OpenCL C
    .language_version:
      - 2
      - 0
    .max_flat_workgroup_size: 256
    .name:           _Z6kernelI14inclusive_scanILN6hipcub18BlockScanAlgorithmE0EEhLj256ELj11ELj100EEvPKT0_PS4_S4_
    .private_segment_fixed_size: 0
    .sgpr_count:     18
    .sgpr_spill_count: 0
    .symbol:         _Z6kernelI14inclusive_scanILN6hipcub18BlockScanAlgorithmE0EEhLj256ELj11ELj100EEvPKT0_PS4_S4_.kd
    .uniform_work_group_size: 1
    .uses_dynamic_stack: false
    .vgpr_count:     36
    .vgpr_spill_count: 0
    .wavefront_size: 32
    .workgroup_processor_mode: 1
  - .args:
      - .address_space:  global
        .offset:         0
        .size:           8
        .value_kind:     global_buffer
      - .address_space:  global
        .offset:         8
        .size:           8
        .value_kind:     global_buffer
      - .offset:         16
        .size:           1
        .value_kind:     by_value
      - .offset:         24
        .size:           4
        .value_kind:     hidden_block_count_x
      - .offset:         28
        .size:           4
        .value_kind:     hidden_block_count_y
      - .offset:         32
        .size:           4
        .value_kind:     hidden_block_count_z
      - .offset:         36
        .size:           2
        .value_kind:     hidden_group_size_x
      - .offset:         38
        .size:           2
        .value_kind:     hidden_group_size_y
      - .offset:         40
        .size:           2
        .value_kind:     hidden_group_size_z
      - .offset:         42
        .size:           2
        .value_kind:     hidden_remainder_x
      - .offset:         44
        .size:           2
        .value_kind:     hidden_remainder_y
      - .offset:         46
        .size:           2
        .value_kind:     hidden_remainder_z
      - .offset:         64
        .size:           8
        .value_kind:     hidden_global_offset_x
      - .offset:         72
        .size:           8
        .value_kind:     hidden_global_offset_y
      - .offset:         80
        .size:           8
        .value_kind:     hidden_global_offset_z
      - .offset:         88
        .size:           2
        .value_kind:     hidden_grid_dims
    .group_segment_fixed_size: 8
    .kernarg_segment_align: 8
    .kernarg_segment_size: 280
    .language:       OpenCL C
    .language_version:
      - 2
      - 0
    .max_flat_workgroup_size: 256
    .name:           _Z6kernelI14inclusive_scanILN6hipcub18BlockScanAlgorithmE0EEhLj256ELj16ELj100EEvPKT0_PS4_S4_
    .private_segment_fixed_size: 0
    .sgpr_count:     22
    .sgpr_spill_count: 0
    .symbol:         _Z6kernelI14inclusive_scanILN6hipcub18BlockScanAlgorithmE0EEhLj256ELj16ELj100EEvPKT0_PS4_S4_.kd
    .uniform_work_group_size: 1
    .uses_dynamic_stack: false
    .vgpr_count:     24
    .vgpr_spill_count: 0
    .wavefront_size: 32
    .workgroup_processor_mode: 1
  - .args:
      - .address_space:  global
        .offset:         0
        .size:           8
        .value_kind:     global_buffer
      - .address_space:  global
        .offset:         8
        .size:           8
        .value_kind:     global_buffer
      - .offset:         16
        .size:           8
        .value_kind:     by_value
      - .offset:         24
        .size:           4
        .value_kind:     hidden_block_count_x
      - .offset:         28
        .size:           4
        .value_kind:     hidden_block_count_y
      - .offset:         32
        .size:           4
        .value_kind:     hidden_block_count_z
      - .offset:         36
        .size:           2
        .value_kind:     hidden_group_size_x
      - .offset:         38
        .size:           2
        .value_kind:     hidden_group_size_y
      - .offset:         40
        .size:           2
        .value_kind:     hidden_group_size_z
      - .offset:         42
        .size:           2
        .value_kind:     hidden_remainder_x
      - .offset:         44
        .size:           2
        .value_kind:     hidden_remainder_y
      - .offset:         46
        .size:           2
        .value_kind:     hidden_remainder_z
      - .offset:         64
        .size:           8
        .value_kind:     hidden_global_offset_x
      - .offset:         72
        .size:           8
        .value_kind:     hidden_global_offset_y
      - .offset:         80
        .size:           8
        .value_kind:     hidden_global_offset_z
      - .offset:         88
        .size:           2
        .value_kind:     hidden_grid_dims
    .group_segment_fixed_size: 64
    .kernarg_segment_align: 8
    .kernarg_segment_size: 280
    .language:       OpenCL C
    .language_version:
      - 2
      - 0
    .max_flat_workgroup_size: 256
    .name:           _Z6kernelI14inclusive_scanILN6hipcub18BlockScanAlgorithmE0EEN15benchmark_utils11custom_typeIffEELj256ELj1ELj100EEvPKT0_PS7_S7_
    .private_segment_fixed_size: 0
    .sgpr_count:     18
    .sgpr_spill_count: 0
    .symbol:         _Z6kernelI14inclusive_scanILN6hipcub18BlockScanAlgorithmE0EEN15benchmark_utils11custom_typeIffEELj256ELj1ELj100EEvPKT0_PS7_S7_.kd
    .uniform_work_group_size: 1
    .uses_dynamic_stack: false
    .vgpr_count:     11
    .vgpr_spill_count: 0
    .wavefront_size: 32
    .workgroup_processor_mode: 1
  - .args:
      - .address_space:  global
        .offset:         0
        .size:           8
        .value_kind:     global_buffer
      - .address_space:  global
        .offset:         8
        .size:           8
        .value_kind:     global_buffer
      - .offset:         16
        .size:           8
        .value_kind:     by_value
      - .offset:         24
        .size:           4
        .value_kind:     hidden_block_count_x
      - .offset:         28
        .size:           4
        .value_kind:     hidden_block_count_y
      - .offset:         32
        .size:           4
        .value_kind:     hidden_block_count_z
      - .offset:         36
        .size:           2
        .value_kind:     hidden_group_size_x
      - .offset:         38
        .size:           2
        .value_kind:     hidden_group_size_y
      - .offset:         40
        .size:           2
        .value_kind:     hidden_group_size_z
      - .offset:         42
        .size:           2
        .value_kind:     hidden_remainder_x
      - .offset:         44
        .size:           2
        .value_kind:     hidden_remainder_y
      - .offset:         46
        .size:           2
        .value_kind:     hidden_remainder_z
      - .offset:         64
        .size:           8
        .value_kind:     hidden_global_offset_x
      - .offset:         72
        .size:           8
        .value_kind:     hidden_global_offset_y
      - .offset:         80
        .size:           8
        .value_kind:     hidden_global_offset_z
      - .offset:         88
        .size:           2
        .value_kind:     hidden_grid_dims
    .group_segment_fixed_size: 64
    .kernarg_segment_align: 8
    .kernarg_segment_size: 280
    .language:       OpenCL C
    .language_version:
      - 2
      - 0
    .max_flat_workgroup_size: 256
    .name:           _Z6kernelI14inclusive_scanILN6hipcub18BlockScanAlgorithmE0EEN15benchmark_utils11custom_typeIffEELj256ELj4ELj100EEvPKT0_PS7_S7_
    .private_segment_fixed_size: 0
    .sgpr_count:     22
    .sgpr_spill_count: 0
    .symbol:         _Z6kernelI14inclusive_scanILN6hipcub18BlockScanAlgorithmE0EEN15benchmark_utils11custom_typeIffEELj256ELj4ELj100EEvPKT0_PS7_S7_.kd
    .uniform_work_group_size: 1
    .uses_dynamic_stack: false
    .vgpr_count:     26
    .vgpr_spill_count: 0
    .wavefront_size: 32
    .workgroup_processor_mode: 1
  - .args:
      - .address_space:  global
        .offset:         0
        .size:           8
        .value_kind:     global_buffer
      - .address_space:  global
        .offset:         8
        .size:           8
        .value_kind:     global_buffer
      - .offset:         16
        .size:           8
        .value_kind:     by_value
      - .offset:         24
        .size:           4
        .value_kind:     hidden_block_count_x
      - .offset:         28
        .size:           4
        .value_kind:     hidden_block_count_y
      - .offset:         32
        .size:           4
        .value_kind:     hidden_block_count_z
      - .offset:         36
        .size:           2
        .value_kind:     hidden_group_size_x
      - .offset:         38
        .size:           2
        .value_kind:     hidden_group_size_y
      - .offset:         40
        .size:           2
        .value_kind:     hidden_group_size_z
      - .offset:         42
        .size:           2
        .value_kind:     hidden_remainder_x
      - .offset:         44
        .size:           2
        .value_kind:     hidden_remainder_y
      - .offset:         46
        .size:           2
        .value_kind:     hidden_remainder_z
      - .offset:         64
        .size:           8
        .value_kind:     hidden_global_offset_x
      - .offset:         72
        .size:           8
        .value_kind:     hidden_global_offset_y
      - .offset:         80
        .size:           8
        .value_kind:     hidden_global_offset_z
      - .offset:         88
        .size:           2
        .value_kind:     hidden_grid_dims
    .group_segment_fixed_size: 64
    .kernarg_segment_align: 8
    .kernarg_segment_size: 280
    .language:       OpenCL C
    .language_version:
      - 2
      - 0
    .max_flat_workgroup_size: 256
    .name:           _Z6kernelI14inclusive_scanILN6hipcub18BlockScanAlgorithmE0EEN15benchmark_utils11custom_typeIffEELj256ELj8ELj100EEvPKT0_PS7_S7_
    .private_segment_fixed_size: 0
    .sgpr_count:     22
    .sgpr_spill_count: 0
    .symbol:         _Z6kernelI14inclusive_scanILN6hipcub18BlockScanAlgorithmE0EEN15benchmark_utils11custom_typeIffEELj256ELj8ELj100EEvPKT0_PS7_S7_.kd
    .uniform_work_group_size: 1
    .uses_dynamic_stack: false
    .vgpr_count:     42
    .vgpr_spill_count: 0
    .wavefront_size: 32
    .workgroup_processor_mode: 1
  - .args:
      - .address_space:  global
        .offset:         0
        .size:           8
        .value_kind:     global_buffer
      - .address_space:  global
        .offset:         8
        .size:           8
        .value_kind:     global_buffer
      - .offset:         16
        .size:           16
        .value_kind:     by_value
      - .offset:         32
        .size:           4
        .value_kind:     hidden_block_count_x
      - .offset:         36
        .size:           4
        .value_kind:     hidden_block_count_y
      - .offset:         40
        .size:           4
        .value_kind:     hidden_block_count_z
      - .offset:         44
        .size:           2
        .value_kind:     hidden_group_size_x
      - .offset:         46
        .size:           2
        .value_kind:     hidden_group_size_y
      - .offset:         48
        .size:           2
        .value_kind:     hidden_group_size_z
      - .offset:         50
        .size:           2
        .value_kind:     hidden_remainder_x
      - .offset:         52
        .size:           2
        .value_kind:     hidden_remainder_y
      - .offset:         54
        .size:           2
        .value_kind:     hidden_remainder_z
      - .offset:         72
        .size:           8
        .value_kind:     hidden_global_offset_x
      - .offset:         80
        .size:           8
        .value_kind:     hidden_global_offset_y
      - .offset:         88
        .size:           8
        .value_kind:     hidden_global_offset_z
      - .offset:         96
        .size:           2
        .value_kind:     hidden_grid_dims
    .group_segment_fixed_size: 128
    .kernarg_segment_align: 8
    .kernarg_segment_size: 288
    .language:       OpenCL C
    .language_version:
      - 2
      - 0
    .max_flat_workgroup_size: 256
    .name:           _Z6kernelI14inclusive_scanILN6hipcub18BlockScanAlgorithmE0EEN15benchmark_utils11custom_typeIddEELj256ELj1ELj100EEvPKT0_PS7_S7_
    .private_segment_fixed_size: 0
    .sgpr_count:     18
    .sgpr_spill_count: 0
    .symbol:         _Z6kernelI14inclusive_scanILN6hipcub18BlockScanAlgorithmE0EEN15benchmark_utils11custom_typeIddEELj256ELj1ELj100EEvPKT0_PS7_S7_.kd
    .uniform_work_group_size: 1
    .uses_dynamic_stack: false
    .vgpr_count:     17
    .vgpr_spill_count: 0
    .wavefront_size: 32
    .workgroup_processor_mode: 1
  - .args:
      - .address_space:  global
        .offset:         0
        .size:           8
        .value_kind:     global_buffer
      - .address_space:  global
        .offset:         8
        .size:           8
        .value_kind:     global_buffer
      - .offset:         16
        .size:           16
        .value_kind:     by_value
      - .offset:         32
        .size:           4
        .value_kind:     hidden_block_count_x
      - .offset:         36
        .size:           4
        .value_kind:     hidden_block_count_y
      - .offset:         40
        .size:           4
        .value_kind:     hidden_block_count_z
      - .offset:         44
        .size:           2
        .value_kind:     hidden_group_size_x
      - .offset:         46
        .size:           2
        .value_kind:     hidden_group_size_y
      - .offset:         48
        .size:           2
        .value_kind:     hidden_group_size_z
      - .offset:         50
        .size:           2
        .value_kind:     hidden_remainder_x
      - .offset:         52
        .size:           2
        .value_kind:     hidden_remainder_y
      - .offset:         54
        .size:           2
        .value_kind:     hidden_remainder_z
      - .offset:         72
        .size:           8
        .value_kind:     hidden_global_offset_x
      - .offset:         80
        .size:           8
        .value_kind:     hidden_global_offset_y
      - .offset:         88
        .size:           8
        .value_kind:     hidden_global_offset_z
      - .offset:         96
        .size:           2
        .value_kind:     hidden_grid_dims
    .group_segment_fixed_size: 128
    .kernarg_segment_align: 8
    .kernarg_segment_size: 288
    .language:       OpenCL C
    .language_version:
      - 2
      - 0
    .max_flat_workgroup_size: 256
    .name:           _Z6kernelI14inclusive_scanILN6hipcub18BlockScanAlgorithmE0EEN15benchmark_utils11custom_typeIddEELj256ELj4ELj100EEvPKT0_PS7_S7_
    .private_segment_fixed_size: 0
    .sgpr_count:     22
    .sgpr_spill_count: 0
    .symbol:         _Z6kernelI14inclusive_scanILN6hipcub18BlockScanAlgorithmE0EEN15benchmark_utils11custom_typeIddEELj256ELj4ELj100EEvPKT0_PS7_S7_.kd
    .uniform_work_group_size: 1
    .uses_dynamic_stack: false
    .vgpr_count:     46
    .vgpr_spill_count: 0
    .wavefront_size: 32
    .workgroup_processor_mode: 1
  - .args:
      - .address_space:  global
        .offset:         0
        .size:           8
        .value_kind:     global_buffer
      - .address_space:  global
        .offset:         8
        .size:           8
        .value_kind:     global_buffer
      - .offset:         16
        .size:           16
        .value_kind:     by_value
      - .offset:         32
        .size:           4
        .value_kind:     hidden_block_count_x
      - .offset:         36
        .size:           4
        .value_kind:     hidden_block_count_y
      - .offset:         40
        .size:           4
        .value_kind:     hidden_block_count_z
      - .offset:         44
        .size:           2
        .value_kind:     hidden_group_size_x
      - .offset:         46
        .size:           2
        .value_kind:     hidden_group_size_y
      - .offset:         48
        .size:           2
        .value_kind:     hidden_group_size_z
      - .offset:         50
        .size:           2
        .value_kind:     hidden_remainder_x
      - .offset:         52
        .size:           2
        .value_kind:     hidden_remainder_y
      - .offset:         54
        .size:           2
        .value_kind:     hidden_remainder_z
      - .offset:         72
        .size:           8
        .value_kind:     hidden_global_offset_x
      - .offset:         80
        .size:           8
        .value_kind:     hidden_global_offset_y
      - .offset:         88
        .size:           8
        .value_kind:     hidden_global_offset_z
      - .offset:         96
        .size:           2
        .value_kind:     hidden_grid_dims
    .group_segment_fixed_size: 128
    .kernarg_segment_align: 8
    .kernarg_segment_size: 288
    .language:       OpenCL C
    .language_version:
      - 2
      - 0
    .max_flat_workgroup_size: 256
    .name:           _Z6kernelI14inclusive_scanILN6hipcub18BlockScanAlgorithmE0EEN15benchmark_utils11custom_typeIddEELj256ELj8ELj100EEvPKT0_PS7_S7_
    .private_segment_fixed_size: 0
    .sgpr_count:     22
    .sgpr_spill_count: 0
    .symbol:         _Z6kernelI14inclusive_scanILN6hipcub18BlockScanAlgorithmE0EEN15benchmark_utils11custom_typeIddEELj256ELj8ELj100EEvPKT0_PS7_S7_.kd
    .uniform_work_group_size: 1
    .uses_dynamic_stack: false
    .vgpr_count:     78
    .vgpr_spill_count: 0
    .wavefront_size: 32
    .workgroup_processor_mode: 1
  - .args:
      - .address_space:  global
        .offset:         0
        .size:           8
        .value_kind:     global_buffer
      - .address_space:  global
        .offset:         8
        .size:           8
        .value_kind:     global_buffer
      - .offset:         16
        .size:           4
        .value_kind:     by_value
      - .offset:         24
        .size:           4
        .value_kind:     hidden_block_count_x
      - .offset:         28
        .size:           4
        .value_kind:     hidden_block_count_y
      - .offset:         32
        .size:           4
        .value_kind:     hidden_block_count_z
      - .offset:         36
        .size:           2
        .value_kind:     hidden_group_size_x
      - .offset:         38
        .size:           2
        .value_kind:     hidden_group_size_y
      - .offset:         40
        .size:           2
        .value_kind:     hidden_group_size_z
      - .offset:         42
        .size:           2
        .value_kind:     hidden_remainder_x
      - .offset:         44
        .size:           2
        .value_kind:     hidden_remainder_y
      - .offset:         46
        .size:           2
        .value_kind:     hidden_remainder_z
      - .offset:         64
        .size:           8
        .value_kind:     hidden_global_offset_x
      - .offset:         72
        .size:           8
        .value_kind:     hidden_global_offset_y
      - .offset:         80
        .size:           8
        .value_kind:     hidden_global_offset_z
      - .offset:         88
        .size:           2
        .value_kind:     hidden_grid_dims
    .group_segment_fixed_size: 264
    .kernarg_segment_align: 8
    .kernarg_segment_size: 280
    .language:       OpenCL C
    .language_version:
      - 2
      - 0
    .max_flat_workgroup_size: 64
    .name:           _Z6kernelI14exclusive_scanILN6hipcub18BlockScanAlgorithmE1EEiLj64ELj1ELj100EEvPKT0_PS4_S4_
    .private_segment_fixed_size: 0
    .sgpr_count:     18
    .sgpr_spill_count: 0
    .symbol:         _Z6kernelI14exclusive_scanILN6hipcub18BlockScanAlgorithmE1EEiLj64ELj1ELj100EEvPKT0_PS4_S4_.kd
    .uniform_work_group_size: 1
    .uses_dynamic_stack: false
    .vgpr_count:     15
    .vgpr_spill_count: 0
    .wavefront_size: 32
    .workgroup_processor_mode: 1
  - .args:
      - .address_space:  global
        .offset:         0
        .size:           8
        .value_kind:     global_buffer
      - .address_space:  global
        .offset:         8
        .size:           8
        .value_kind:     global_buffer
      - .offset:         16
        .size:           4
        .value_kind:     by_value
      - .offset:         24
        .size:           4
        .value_kind:     hidden_block_count_x
      - .offset:         28
        .size:           4
        .value_kind:     hidden_block_count_y
      - .offset:         32
        .size:           4
        .value_kind:     hidden_block_count_z
      - .offset:         36
        .size:           2
        .value_kind:     hidden_group_size_x
      - .offset:         38
        .size:           2
        .value_kind:     hidden_group_size_y
      - .offset:         40
        .size:           2
        .value_kind:     hidden_group_size_z
      - .offset:         42
        .size:           2
        .value_kind:     hidden_remainder_x
      - .offset:         44
        .size:           2
        .value_kind:     hidden_remainder_y
      - .offset:         46
        .size:           2
        .value_kind:     hidden_remainder_z
      - .offset:         64
        .size:           8
        .value_kind:     hidden_global_offset_x
      - .offset:         72
        .size:           8
        .value_kind:     hidden_global_offset_y
      - .offset:         80
        .size:           8
        .value_kind:     hidden_global_offset_z
      - .offset:         88
        .size:           2
        .value_kind:     hidden_grid_dims
    .group_segment_fixed_size: 264
    .kernarg_segment_align: 8
    .kernarg_segment_size: 280
    .language:       OpenCL C
    .language_version:
      - 2
      - 0
    .max_flat_workgroup_size: 64
    .name:           _Z6kernelI14exclusive_scanILN6hipcub18BlockScanAlgorithmE1EEiLj64ELj3ELj100EEvPKT0_PS4_S4_
    .private_segment_fixed_size: 0
    .sgpr_count:     18
    .sgpr_spill_count: 0
    .symbol:         _Z6kernelI14exclusive_scanILN6hipcub18BlockScanAlgorithmE1EEiLj64ELj3ELj100EEvPKT0_PS4_S4_.kd
    .uniform_work_group_size: 1
    .uses_dynamic_stack: false
    .vgpr_count:     21
    .vgpr_spill_count: 0
    .wavefront_size: 32
    .workgroup_processor_mode: 1
  - .args:
      - .address_space:  global
        .offset:         0
        .size:           8
        .value_kind:     global_buffer
      - .address_space:  global
        .offset:         8
        .size:           8
        .value_kind:     global_buffer
      - .offset:         16
        .size:           4
        .value_kind:     by_value
      - .offset:         24
        .size:           4
        .value_kind:     hidden_block_count_x
      - .offset:         28
        .size:           4
        .value_kind:     hidden_block_count_y
      - .offset:         32
        .size:           4
        .value_kind:     hidden_block_count_z
      - .offset:         36
        .size:           2
        .value_kind:     hidden_group_size_x
      - .offset:         38
        .size:           2
        .value_kind:     hidden_group_size_y
      - .offset:         40
        .size:           2
        .value_kind:     hidden_group_size_z
      - .offset:         42
        .size:           2
        .value_kind:     hidden_remainder_x
      - .offset:         44
        .size:           2
        .value_kind:     hidden_remainder_y
      - .offset:         46
        .size:           2
        .value_kind:     hidden_remainder_z
      - .offset:         64
        .size:           8
        .value_kind:     hidden_global_offset_x
      - .offset:         72
        .size:           8
        .value_kind:     hidden_global_offset_y
      - .offset:         80
        .size:           8
        .value_kind:     hidden_global_offset_z
      - .offset:         88
        .size:           2
        .value_kind:     hidden_grid_dims
    .group_segment_fixed_size: 264
    .kernarg_segment_align: 8
    .kernarg_segment_size: 280
    .language:       OpenCL C
    .language_version:
      - 2
      - 0
    .max_flat_workgroup_size: 64
    .name:           _Z6kernelI14exclusive_scanILN6hipcub18BlockScanAlgorithmE1EEiLj64ELj4ELj100EEvPKT0_PS4_S4_
    .private_segment_fixed_size: 0
    .sgpr_count:     18
    .sgpr_spill_count: 0
    .symbol:         _Z6kernelI14exclusive_scanILN6hipcub18BlockScanAlgorithmE1EEiLj64ELj4ELj100EEvPKT0_PS4_S4_.kd
    .uniform_work_group_size: 1
    .uses_dynamic_stack: false
    .vgpr_count:     18
    .vgpr_spill_count: 0
    .wavefront_size: 32
    .workgroup_processor_mode: 1
  - .args:
      - .address_space:  global
        .offset:         0
        .size:           8
        .value_kind:     global_buffer
      - .address_space:  global
        .offset:         8
        .size:           8
        .value_kind:     global_buffer
      - .offset:         16
        .size:           4
        .value_kind:     by_value
      - .offset:         24
        .size:           4
        .value_kind:     hidden_block_count_x
      - .offset:         28
        .size:           4
        .value_kind:     hidden_block_count_y
      - .offset:         32
        .size:           4
        .value_kind:     hidden_block_count_z
      - .offset:         36
        .size:           2
        .value_kind:     hidden_group_size_x
      - .offset:         38
        .size:           2
        .value_kind:     hidden_group_size_y
      - .offset:         40
        .size:           2
        .value_kind:     hidden_group_size_z
      - .offset:         42
        .size:           2
        .value_kind:     hidden_remainder_x
      - .offset:         44
        .size:           2
        .value_kind:     hidden_remainder_y
      - .offset:         46
        .size:           2
        .value_kind:     hidden_remainder_z
      - .offset:         64
        .size:           8
        .value_kind:     hidden_global_offset_x
      - .offset:         72
        .size:           8
        .value_kind:     hidden_global_offset_y
      - .offset:         80
        .size:           8
        .value_kind:     hidden_global_offset_z
      - .offset:         88
        .size:           2
        .value_kind:     hidden_grid_dims
    .group_segment_fixed_size: 264
    .kernarg_segment_align: 8
    .kernarg_segment_size: 280
    .language:       OpenCL C
    .language_version:
      - 2
      - 0
    .max_flat_workgroup_size: 64
    .name:           _Z6kernelI14exclusive_scanILN6hipcub18BlockScanAlgorithmE1EEiLj64ELj8ELj100EEvPKT0_PS4_S4_
    .private_segment_fixed_size: 0
    .sgpr_count:     18
    .sgpr_spill_count: 0
    .symbol:         _Z6kernelI14exclusive_scanILN6hipcub18BlockScanAlgorithmE1EEiLj64ELj8ELj100EEvPKT0_PS4_S4_.kd
    .uniform_work_group_size: 1
    .uses_dynamic_stack: false
    .vgpr_count:     24
    .vgpr_spill_count: 0
    .wavefront_size: 32
    .workgroup_processor_mode: 1
  - .args:
      - .address_space:  global
        .offset:         0
        .size:           8
        .value_kind:     global_buffer
      - .address_space:  global
        .offset:         8
        .size:           8
        .value_kind:     global_buffer
      - .offset:         16
        .size:           4
        .value_kind:     by_value
      - .offset:         24
        .size:           4
        .value_kind:     hidden_block_count_x
      - .offset:         28
        .size:           4
        .value_kind:     hidden_block_count_y
      - .offset:         32
        .size:           4
        .value_kind:     hidden_block_count_z
      - .offset:         36
        .size:           2
        .value_kind:     hidden_group_size_x
      - .offset:         38
        .size:           2
        .value_kind:     hidden_group_size_y
      - .offset:         40
        .size:           2
        .value_kind:     hidden_group_size_z
      - .offset:         42
        .size:           2
        .value_kind:     hidden_remainder_x
      - .offset:         44
        .size:           2
        .value_kind:     hidden_remainder_y
      - .offset:         46
        .size:           2
        .value_kind:     hidden_remainder_z
      - .offset:         64
        .size:           8
        .value_kind:     hidden_global_offset_x
      - .offset:         72
        .size:           8
        .value_kind:     hidden_global_offset_y
      - .offset:         80
        .size:           8
        .value_kind:     hidden_global_offset_z
      - .offset:         88
        .size:           2
        .value_kind:     hidden_grid_dims
    .group_segment_fixed_size: 264
    .kernarg_segment_align: 8
    .kernarg_segment_size: 280
    .language:       OpenCL C
    .language_version:
      - 2
      - 0
    .max_flat_workgroup_size: 64
    .name:           _Z6kernelI14exclusive_scanILN6hipcub18BlockScanAlgorithmE1EEiLj64ELj11ELj100EEvPKT0_PS4_S4_
    .private_segment_fixed_size: 0
    .sgpr_count:     18
    .sgpr_spill_count: 0
    .symbol:         _Z6kernelI14exclusive_scanILN6hipcub18BlockScanAlgorithmE1EEiLj64ELj11ELj100EEvPKT0_PS4_S4_.kd
    .uniform_work_group_size: 1
    .uses_dynamic_stack: false
    .vgpr_count:     49
    .vgpr_spill_count: 0
    .wavefront_size: 32
    .workgroup_processor_mode: 1
  - .args:
      - .address_space:  global
        .offset:         0
        .size:           8
        .value_kind:     global_buffer
      - .address_space:  global
        .offset:         8
        .size:           8
        .value_kind:     global_buffer
      - .offset:         16
        .size:           4
        .value_kind:     by_value
      - .offset:         24
        .size:           4
        .value_kind:     hidden_block_count_x
      - .offset:         28
        .size:           4
        .value_kind:     hidden_block_count_y
      - .offset:         32
        .size:           4
        .value_kind:     hidden_block_count_z
      - .offset:         36
        .size:           2
        .value_kind:     hidden_group_size_x
      - .offset:         38
        .size:           2
        .value_kind:     hidden_group_size_y
      - .offset:         40
        .size:           2
        .value_kind:     hidden_group_size_z
      - .offset:         42
        .size:           2
        .value_kind:     hidden_remainder_x
      - .offset:         44
        .size:           2
        .value_kind:     hidden_remainder_y
      - .offset:         46
        .size:           2
        .value_kind:     hidden_remainder_z
      - .offset:         64
        .size:           8
        .value_kind:     hidden_global_offset_x
      - .offset:         72
        .size:           8
        .value_kind:     hidden_global_offset_y
      - .offset:         80
        .size:           8
        .value_kind:     hidden_global_offset_z
      - .offset:         88
        .size:           2
        .value_kind:     hidden_grid_dims
    .group_segment_fixed_size: 264
    .kernarg_segment_align: 8
    .kernarg_segment_size: 280
    .language:       OpenCL C
    .language_version:
      - 2
      - 0
    .max_flat_workgroup_size: 64
    .name:           _Z6kernelI14exclusive_scanILN6hipcub18BlockScanAlgorithmE1EEiLj64ELj16ELj100EEvPKT0_PS4_S4_
    .private_segment_fixed_size: 0
    .sgpr_count:     18
    .sgpr_spill_count: 0
    .symbol:         _Z6kernelI14exclusive_scanILN6hipcub18BlockScanAlgorithmE1EEiLj64ELj16ELj100EEvPKT0_PS4_S4_.kd
    .uniform_work_group_size: 1
    .uses_dynamic_stack: false
    .vgpr_count:     30
    .vgpr_spill_count: 0
    .wavefront_size: 32
    .workgroup_processor_mode: 1
  - .args:
      - .address_space:  global
        .offset:         0
        .size:           8
        .value_kind:     global_buffer
      - .address_space:  global
        .offset:         8
        .size:           8
        .value_kind:     global_buffer
      - .offset:         16
        .size:           4
        .value_kind:     by_value
      - .offset:         24
        .size:           4
        .value_kind:     hidden_block_count_x
      - .offset:         28
        .size:           4
        .value_kind:     hidden_block_count_y
      - .offset:         32
        .size:           4
        .value_kind:     hidden_block_count_z
      - .offset:         36
        .size:           2
        .value_kind:     hidden_group_size_x
      - .offset:         38
        .size:           2
        .value_kind:     hidden_group_size_y
      - .offset:         40
        .size:           2
        .value_kind:     hidden_group_size_z
      - .offset:         42
        .size:           2
        .value_kind:     hidden_remainder_x
      - .offset:         44
        .size:           2
        .value_kind:     hidden_remainder_y
      - .offset:         46
        .size:           2
        .value_kind:     hidden_remainder_z
      - .offset:         64
        .size:           8
        .value_kind:     hidden_global_offset_x
      - .offset:         72
        .size:           8
        .value_kind:     hidden_global_offset_y
      - .offset:         80
        .size:           8
        .value_kind:     hidden_global_offset_z
      - .offset:         88
        .size:           2
        .value_kind:     hidden_grid_dims
    .group_segment_fixed_size: 264
    .kernarg_segment_align: 8
    .kernarg_segment_size: 280
    .language:       OpenCL C
    .language_version:
      - 2
      - 0
    .max_flat_workgroup_size: 64
    .name:           _Z6kernelI14exclusive_scanILN6hipcub18BlockScanAlgorithmE1EEfLj64ELj1ELj100EEvPKT0_PS4_S4_
    .private_segment_fixed_size: 0
    .sgpr_count:     18
    .sgpr_spill_count: 0
    .symbol:         _Z6kernelI14exclusive_scanILN6hipcub18BlockScanAlgorithmE1EEfLj64ELj1ELj100EEvPKT0_PS4_S4_.kd
    .uniform_work_group_size: 1
    .uses_dynamic_stack: false
    .vgpr_count:     15
    .vgpr_spill_count: 0
    .wavefront_size: 32
    .workgroup_processor_mode: 1
  - .args:
      - .address_space:  global
        .offset:         0
        .size:           8
        .value_kind:     global_buffer
      - .address_space:  global
        .offset:         8
        .size:           8
        .value_kind:     global_buffer
      - .offset:         16
        .size:           4
        .value_kind:     by_value
      - .offset:         24
        .size:           4
        .value_kind:     hidden_block_count_x
      - .offset:         28
        .size:           4
        .value_kind:     hidden_block_count_y
      - .offset:         32
        .size:           4
        .value_kind:     hidden_block_count_z
      - .offset:         36
        .size:           2
        .value_kind:     hidden_group_size_x
      - .offset:         38
        .size:           2
        .value_kind:     hidden_group_size_y
      - .offset:         40
        .size:           2
        .value_kind:     hidden_group_size_z
      - .offset:         42
        .size:           2
        .value_kind:     hidden_remainder_x
      - .offset:         44
        .size:           2
        .value_kind:     hidden_remainder_y
      - .offset:         46
        .size:           2
        .value_kind:     hidden_remainder_z
      - .offset:         64
        .size:           8
        .value_kind:     hidden_global_offset_x
      - .offset:         72
        .size:           8
        .value_kind:     hidden_global_offset_y
      - .offset:         80
        .size:           8
        .value_kind:     hidden_global_offset_z
      - .offset:         88
        .size:           2
        .value_kind:     hidden_grid_dims
    .group_segment_fixed_size: 264
    .kernarg_segment_align: 8
    .kernarg_segment_size: 280
    .language:       OpenCL C
    .language_version:
      - 2
      - 0
    .max_flat_workgroup_size: 64
    .name:           _Z6kernelI14exclusive_scanILN6hipcub18BlockScanAlgorithmE1EEfLj64ELj3ELj100EEvPKT0_PS4_S4_
    .private_segment_fixed_size: 0
    .sgpr_count:     18
    .sgpr_spill_count: 0
    .symbol:         _Z6kernelI14exclusive_scanILN6hipcub18BlockScanAlgorithmE1EEfLj64ELj3ELj100EEvPKT0_PS4_S4_.kd
    .uniform_work_group_size: 1
    .uses_dynamic_stack: false
    .vgpr_count:     21
    .vgpr_spill_count: 0
    .wavefront_size: 32
    .workgroup_processor_mode: 1
  - .args:
      - .address_space:  global
        .offset:         0
        .size:           8
        .value_kind:     global_buffer
      - .address_space:  global
        .offset:         8
        .size:           8
        .value_kind:     global_buffer
      - .offset:         16
        .size:           4
        .value_kind:     by_value
      - .offset:         24
        .size:           4
        .value_kind:     hidden_block_count_x
      - .offset:         28
        .size:           4
        .value_kind:     hidden_block_count_y
      - .offset:         32
        .size:           4
        .value_kind:     hidden_block_count_z
      - .offset:         36
        .size:           2
        .value_kind:     hidden_group_size_x
      - .offset:         38
        .size:           2
        .value_kind:     hidden_group_size_y
      - .offset:         40
        .size:           2
        .value_kind:     hidden_group_size_z
      - .offset:         42
        .size:           2
        .value_kind:     hidden_remainder_x
      - .offset:         44
        .size:           2
        .value_kind:     hidden_remainder_y
      - .offset:         46
        .size:           2
        .value_kind:     hidden_remainder_z
      - .offset:         64
        .size:           8
        .value_kind:     hidden_global_offset_x
      - .offset:         72
        .size:           8
        .value_kind:     hidden_global_offset_y
      - .offset:         80
        .size:           8
        .value_kind:     hidden_global_offset_z
      - .offset:         88
        .size:           2
        .value_kind:     hidden_grid_dims
    .group_segment_fixed_size: 264
    .kernarg_segment_align: 8
    .kernarg_segment_size: 280
    .language:       OpenCL C
    .language_version:
      - 2
      - 0
    .max_flat_workgroup_size: 64
    .name:           _Z6kernelI14exclusive_scanILN6hipcub18BlockScanAlgorithmE1EEfLj64ELj4ELj100EEvPKT0_PS4_S4_
    .private_segment_fixed_size: 0
    .sgpr_count:     18
    .sgpr_spill_count: 0
    .symbol:         _Z6kernelI14exclusive_scanILN6hipcub18BlockScanAlgorithmE1EEfLj64ELj4ELj100EEvPKT0_PS4_S4_.kd
    .uniform_work_group_size: 1
    .uses_dynamic_stack: false
    .vgpr_count:     18
    .vgpr_spill_count: 0
    .wavefront_size: 32
    .workgroup_processor_mode: 1
  - .args:
      - .address_space:  global
        .offset:         0
        .size:           8
        .value_kind:     global_buffer
      - .address_space:  global
        .offset:         8
        .size:           8
        .value_kind:     global_buffer
      - .offset:         16
        .size:           4
        .value_kind:     by_value
      - .offset:         24
        .size:           4
        .value_kind:     hidden_block_count_x
      - .offset:         28
        .size:           4
        .value_kind:     hidden_block_count_y
      - .offset:         32
        .size:           4
        .value_kind:     hidden_block_count_z
      - .offset:         36
        .size:           2
        .value_kind:     hidden_group_size_x
      - .offset:         38
        .size:           2
        .value_kind:     hidden_group_size_y
      - .offset:         40
        .size:           2
        .value_kind:     hidden_group_size_z
      - .offset:         42
        .size:           2
        .value_kind:     hidden_remainder_x
      - .offset:         44
        .size:           2
        .value_kind:     hidden_remainder_y
      - .offset:         46
        .size:           2
        .value_kind:     hidden_remainder_z
      - .offset:         64
        .size:           8
        .value_kind:     hidden_global_offset_x
      - .offset:         72
        .size:           8
        .value_kind:     hidden_global_offset_y
      - .offset:         80
        .size:           8
        .value_kind:     hidden_global_offset_z
      - .offset:         88
        .size:           2
        .value_kind:     hidden_grid_dims
    .group_segment_fixed_size: 264
    .kernarg_segment_align: 8
    .kernarg_segment_size: 280
    .language:       OpenCL C
    .language_version:
      - 2
      - 0
    .max_flat_workgroup_size: 64
    .name:           _Z6kernelI14exclusive_scanILN6hipcub18BlockScanAlgorithmE1EEfLj64ELj8ELj100EEvPKT0_PS4_S4_
    .private_segment_fixed_size: 0
    .sgpr_count:     18
    .sgpr_spill_count: 0
    .symbol:         _Z6kernelI14exclusive_scanILN6hipcub18BlockScanAlgorithmE1EEfLj64ELj8ELj100EEvPKT0_PS4_S4_.kd
    .uniform_work_group_size: 1
    .uses_dynamic_stack: false
    .vgpr_count:     24
    .vgpr_spill_count: 0
    .wavefront_size: 32
    .workgroup_processor_mode: 1
  - .args:
      - .address_space:  global
        .offset:         0
        .size:           8
        .value_kind:     global_buffer
      - .address_space:  global
        .offset:         8
        .size:           8
        .value_kind:     global_buffer
      - .offset:         16
        .size:           4
        .value_kind:     by_value
      - .offset:         24
        .size:           4
        .value_kind:     hidden_block_count_x
      - .offset:         28
        .size:           4
        .value_kind:     hidden_block_count_y
      - .offset:         32
        .size:           4
        .value_kind:     hidden_block_count_z
      - .offset:         36
        .size:           2
        .value_kind:     hidden_group_size_x
      - .offset:         38
        .size:           2
        .value_kind:     hidden_group_size_y
      - .offset:         40
        .size:           2
        .value_kind:     hidden_group_size_z
      - .offset:         42
        .size:           2
        .value_kind:     hidden_remainder_x
      - .offset:         44
        .size:           2
        .value_kind:     hidden_remainder_y
      - .offset:         46
        .size:           2
        .value_kind:     hidden_remainder_z
      - .offset:         64
        .size:           8
        .value_kind:     hidden_global_offset_x
      - .offset:         72
        .size:           8
        .value_kind:     hidden_global_offset_y
      - .offset:         80
        .size:           8
        .value_kind:     hidden_global_offset_z
      - .offset:         88
        .size:           2
        .value_kind:     hidden_grid_dims
    .group_segment_fixed_size: 264
    .kernarg_segment_align: 8
    .kernarg_segment_size: 280
    .language:       OpenCL C
    .language_version:
      - 2
      - 0
    .max_flat_workgroup_size: 64
    .name:           _Z6kernelI14exclusive_scanILN6hipcub18BlockScanAlgorithmE1EEfLj64ELj11ELj100EEvPKT0_PS4_S4_
    .private_segment_fixed_size: 0
    .sgpr_count:     18
    .sgpr_spill_count: 0
    .symbol:         _Z6kernelI14exclusive_scanILN6hipcub18BlockScanAlgorithmE1EEfLj64ELj11ELj100EEvPKT0_PS4_S4_.kd
    .uniform_work_group_size: 1
    .uses_dynamic_stack: false
    .vgpr_count:     49
    .vgpr_spill_count: 0
    .wavefront_size: 32
    .workgroup_processor_mode: 1
  - .args:
      - .address_space:  global
        .offset:         0
        .size:           8
        .value_kind:     global_buffer
      - .address_space:  global
        .offset:         8
        .size:           8
        .value_kind:     global_buffer
      - .offset:         16
        .size:           4
        .value_kind:     by_value
      - .offset:         24
        .size:           4
        .value_kind:     hidden_block_count_x
      - .offset:         28
        .size:           4
        .value_kind:     hidden_block_count_y
      - .offset:         32
        .size:           4
        .value_kind:     hidden_block_count_z
      - .offset:         36
        .size:           2
        .value_kind:     hidden_group_size_x
      - .offset:         38
        .size:           2
        .value_kind:     hidden_group_size_y
      - .offset:         40
        .size:           2
        .value_kind:     hidden_group_size_z
      - .offset:         42
        .size:           2
        .value_kind:     hidden_remainder_x
      - .offset:         44
        .size:           2
        .value_kind:     hidden_remainder_y
      - .offset:         46
        .size:           2
        .value_kind:     hidden_remainder_z
      - .offset:         64
        .size:           8
        .value_kind:     hidden_global_offset_x
      - .offset:         72
        .size:           8
        .value_kind:     hidden_global_offset_y
      - .offset:         80
        .size:           8
        .value_kind:     hidden_global_offset_z
      - .offset:         88
        .size:           2
        .value_kind:     hidden_grid_dims
    .group_segment_fixed_size: 264
    .kernarg_segment_align: 8
    .kernarg_segment_size: 280
    .language:       OpenCL C
    .language_version:
      - 2
      - 0
    .max_flat_workgroup_size: 64
    .name:           _Z6kernelI14exclusive_scanILN6hipcub18BlockScanAlgorithmE1EEfLj64ELj16ELj100EEvPKT0_PS4_S4_
    .private_segment_fixed_size: 0
    .sgpr_count:     18
    .sgpr_spill_count: 0
    .symbol:         _Z6kernelI14exclusive_scanILN6hipcub18BlockScanAlgorithmE1EEfLj64ELj16ELj100EEvPKT0_PS4_S4_.kd
    .uniform_work_group_size: 1
    .uses_dynamic_stack: false
    .vgpr_count:     30
    .vgpr_spill_count: 0
    .wavefront_size: 32
    .workgroup_processor_mode: 1
  - .args:
      - .address_space:  global
        .offset:         0
        .size:           8
        .value_kind:     global_buffer
      - .address_space:  global
        .offset:         8
        .size:           8
        .value_kind:     global_buffer
      - .offset:         16
        .size:           8
        .value_kind:     by_value
      - .offset:         24
        .size:           4
        .value_kind:     hidden_block_count_x
      - .offset:         28
        .size:           4
        .value_kind:     hidden_block_count_y
      - .offset:         32
        .size:           4
        .value_kind:     hidden_block_count_z
      - .offset:         36
        .size:           2
        .value_kind:     hidden_group_size_x
      - .offset:         38
        .size:           2
        .value_kind:     hidden_group_size_y
      - .offset:         40
        .size:           2
        .value_kind:     hidden_group_size_z
      - .offset:         42
        .size:           2
        .value_kind:     hidden_remainder_x
      - .offset:         44
        .size:           2
        .value_kind:     hidden_remainder_y
      - .offset:         46
        .size:           2
        .value_kind:     hidden_remainder_z
      - .offset:         64
        .size:           8
        .value_kind:     hidden_global_offset_x
      - .offset:         72
        .size:           8
        .value_kind:     hidden_global_offset_y
      - .offset:         80
        .size:           8
        .value_kind:     hidden_global_offset_z
      - .offset:         88
        .size:           2
        .value_kind:     hidden_grid_dims
    .group_segment_fixed_size: 528
    .kernarg_segment_align: 8
    .kernarg_segment_size: 280
    .language:       OpenCL C
    .language_version:
      - 2
      - 0
    .max_flat_workgroup_size: 64
    .name:           _Z6kernelI14exclusive_scanILN6hipcub18BlockScanAlgorithmE1EEdLj64ELj1ELj100EEvPKT0_PS4_S4_
    .private_segment_fixed_size: 0
    .sgpr_count:     18
    .sgpr_spill_count: 0
    .symbol:         _Z6kernelI14exclusive_scanILN6hipcub18BlockScanAlgorithmE1EEdLj64ELj1ELj100EEvPKT0_PS4_S4_.kd
    .uniform_work_group_size: 1
    .uses_dynamic_stack: false
    .vgpr_count:     19
    .vgpr_spill_count: 0
    .wavefront_size: 32
    .workgroup_processor_mode: 1
  - .args:
      - .address_space:  global
        .offset:         0
        .size:           8
        .value_kind:     global_buffer
      - .address_space:  global
        .offset:         8
        .size:           8
        .value_kind:     global_buffer
      - .offset:         16
        .size:           8
        .value_kind:     by_value
      - .offset:         24
        .size:           4
        .value_kind:     hidden_block_count_x
      - .offset:         28
        .size:           4
        .value_kind:     hidden_block_count_y
      - .offset:         32
        .size:           4
        .value_kind:     hidden_block_count_z
      - .offset:         36
        .size:           2
        .value_kind:     hidden_group_size_x
      - .offset:         38
        .size:           2
        .value_kind:     hidden_group_size_y
      - .offset:         40
        .size:           2
        .value_kind:     hidden_group_size_z
      - .offset:         42
        .size:           2
        .value_kind:     hidden_remainder_x
      - .offset:         44
        .size:           2
        .value_kind:     hidden_remainder_y
      - .offset:         46
        .size:           2
        .value_kind:     hidden_remainder_z
      - .offset:         64
        .size:           8
        .value_kind:     hidden_global_offset_x
      - .offset:         72
        .size:           8
        .value_kind:     hidden_global_offset_y
      - .offset:         80
        .size:           8
        .value_kind:     hidden_global_offset_z
      - .offset:         88
        .size:           2
        .value_kind:     hidden_grid_dims
    .group_segment_fixed_size: 528
    .kernarg_segment_align: 8
    .kernarg_segment_size: 280
    .language:       OpenCL C
    .language_version:
      - 2
      - 0
    .max_flat_workgroup_size: 64
    .name:           _Z6kernelI14exclusive_scanILN6hipcub18BlockScanAlgorithmE1EEdLj64ELj3ELj100EEvPKT0_PS4_S4_
    .private_segment_fixed_size: 0
    .sgpr_count:     18
    .sgpr_spill_count: 0
    .symbol:         _Z6kernelI14exclusive_scanILN6hipcub18BlockScanAlgorithmE1EEdLj64ELj3ELj100EEvPKT0_PS4_S4_.kd
    .uniform_work_group_size: 1
    .uses_dynamic_stack: false
    .vgpr_count:     27
    .vgpr_spill_count: 0
    .wavefront_size: 32
    .workgroup_processor_mode: 1
  - .args:
      - .address_space:  global
        .offset:         0
        .size:           8
        .value_kind:     global_buffer
      - .address_space:  global
        .offset:         8
        .size:           8
        .value_kind:     global_buffer
      - .offset:         16
        .size:           8
        .value_kind:     by_value
      - .offset:         24
        .size:           4
        .value_kind:     hidden_block_count_x
      - .offset:         28
        .size:           4
        .value_kind:     hidden_block_count_y
      - .offset:         32
        .size:           4
        .value_kind:     hidden_block_count_z
      - .offset:         36
        .size:           2
        .value_kind:     hidden_group_size_x
      - .offset:         38
        .size:           2
        .value_kind:     hidden_group_size_y
      - .offset:         40
        .size:           2
        .value_kind:     hidden_group_size_z
      - .offset:         42
        .size:           2
        .value_kind:     hidden_remainder_x
      - .offset:         44
        .size:           2
        .value_kind:     hidden_remainder_y
      - .offset:         46
        .size:           2
        .value_kind:     hidden_remainder_z
      - .offset:         64
        .size:           8
        .value_kind:     hidden_global_offset_x
      - .offset:         72
        .size:           8
        .value_kind:     hidden_global_offset_y
      - .offset:         80
        .size:           8
        .value_kind:     hidden_global_offset_z
      - .offset:         88
        .size:           2
        .value_kind:     hidden_grid_dims
    .group_segment_fixed_size: 528
    .kernarg_segment_align: 8
    .kernarg_segment_size: 280
    .language:       OpenCL C
    .language_version:
      - 2
      - 0
    .max_flat_workgroup_size: 64
    .name:           _Z6kernelI14exclusive_scanILN6hipcub18BlockScanAlgorithmE1EEdLj64ELj4ELj100EEvPKT0_PS4_S4_
    .private_segment_fixed_size: 0
    .sgpr_count:     18
    .sgpr_spill_count: 0
    .symbol:         _Z6kernelI14exclusive_scanILN6hipcub18BlockScanAlgorithmE1EEdLj64ELj4ELj100EEvPKT0_PS4_S4_.kd
    .uniform_work_group_size: 1
    .uses_dynamic_stack: false
    .vgpr_count:     25
    .vgpr_spill_count: 0
    .wavefront_size: 32
    .workgroup_processor_mode: 1
  - .args:
      - .address_space:  global
        .offset:         0
        .size:           8
        .value_kind:     global_buffer
      - .address_space:  global
        .offset:         8
        .size:           8
        .value_kind:     global_buffer
      - .offset:         16
        .size:           8
        .value_kind:     by_value
      - .offset:         24
        .size:           4
        .value_kind:     hidden_block_count_x
      - .offset:         28
        .size:           4
        .value_kind:     hidden_block_count_y
      - .offset:         32
        .size:           4
        .value_kind:     hidden_block_count_z
      - .offset:         36
        .size:           2
        .value_kind:     hidden_group_size_x
      - .offset:         38
        .size:           2
        .value_kind:     hidden_group_size_y
      - .offset:         40
        .size:           2
        .value_kind:     hidden_group_size_z
      - .offset:         42
        .size:           2
        .value_kind:     hidden_remainder_x
      - .offset:         44
        .size:           2
        .value_kind:     hidden_remainder_y
      - .offset:         46
        .size:           2
        .value_kind:     hidden_remainder_z
      - .offset:         64
        .size:           8
        .value_kind:     hidden_global_offset_x
      - .offset:         72
        .size:           8
        .value_kind:     hidden_global_offset_y
      - .offset:         80
        .size:           8
        .value_kind:     hidden_global_offset_z
      - .offset:         88
        .size:           2
        .value_kind:     hidden_grid_dims
    .group_segment_fixed_size: 528
    .kernarg_segment_align: 8
    .kernarg_segment_size: 280
    .language:       OpenCL C
    .language_version:
      - 2
      - 0
    .max_flat_workgroup_size: 64
    .name:           _Z6kernelI14exclusive_scanILN6hipcub18BlockScanAlgorithmE1EEdLj64ELj8ELj100EEvPKT0_PS4_S4_
    .private_segment_fixed_size: 0
    .sgpr_count:     18
    .sgpr_spill_count: 0
    .symbol:         _Z6kernelI14exclusive_scanILN6hipcub18BlockScanAlgorithmE1EEdLj64ELj8ELj100EEvPKT0_PS4_S4_.kd
    .uniform_work_group_size: 1
    .uses_dynamic_stack: false
    .vgpr_count:     32
    .vgpr_spill_count: 0
    .wavefront_size: 32
    .workgroup_processor_mode: 1
  - .args:
      - .address_space:  global
        .offset:         0
        .size:           8
        .value_kind:     global_buffer
      - .address_space:  global
        .offset:         8
        .size:           8
        .value_kind:     global_buffer
      - .offset:         16
        .size:           8
        .value_kind:     by_value
      - .offset:         24
        .size:           4
        .value_kind:     hidden_block_count_x
      - .offset:         28
        .size:           4
        .value_kind:     hidden_block_count_y
      - .offset:         32
        .size:           4
        .value_kind:     hidden_block_count_z
      - .offset:         36
        .size:           2
        .value_kind:     hidden_group_size_x
      - .offset:         38
        .size:           2
        .value_kind:     hidden_group_size_y
      - .offset:         40
        .size:           2
        .value_kind:     hidden_group_size_z
      - .offset:         42
        .size:           2
        .value_kind:     hidden_remainder_x
      - .offset:         44
        .size:           2
        .value_kind:     hidden_remainder_y
      - .offset:         46
        .size:           2
        .value_kind:     hidden_remainder_z
      - .offset:         64
        .size:           8
        .value_kind:     hidden_global_offset_x
      - .offset:         72
        .size:           8
        .value_kind:     hidden_global_offset_y
      - .offset:         80
        .size:           8
        .value_kind:     hidden_global_offset_z
      - .offset:         88
        .size:           2
        .value_kind:     hidden_grid_dims
    .group_segment_fixed_size: 528
    .kernarg_segment_align: 8
    .kernarg_segment_size: 280
    .language:       OpenCL C
    .language_version:
      - 2
      - 0
    .max_flat_workgroup_size: 64
    .name:           _Z6kernelI14exclusive_scanILN6hipcub18BlockScanAlgorithmE1EEdLj64ELj11ELj100EEvPKT0_PS4_S4_
    .private_segment_fixed_size: 0
    .sgpr_count:     18
    .sgpr_spill_count: 0
    .symbol:         _Z6kernelI14exclusive_scanILN6hipcub18BlockScanAlgorithmE1EEdLj64ELj11ELj100EEvPKT0_PS4_S4_.kd
    .uniform_work_group_size: 1
    .uses_dynamic_stack: false
    .vgpr_count:     58
    .vgpr_spill_count: 0
    .wavefront_size: 32
    .workgroup_processor_mode: 1
  - .args:
      - .address_space:  global
        .offset:         0
        .size:           8
        .value_kind:     global_buffer
      - .address_space:  global
        .offset:         8
        .size:           8
        .value_kind:     global_buffer
      - .offset:         16
        .size:           8
        .value_kind:     by_value
      - .offset:         24
        .size:           4
        .value_kind:     hidden_block_count_x
      - .offset:         28
        .size:           4
        .value_kind:     hidden_block_count_y
      - .offset:         32
        .size:           4
        .value_kind:     hidden_block_count_z
      - .offset:         36
        .size:           2
        .value_kind:     hidden_group_size_x
      - .offset:         38
        .size:           2
        .value_kind:     hidden_group_size_y
      - .offset:         40
        .size:           2
        .value_kind:     hidden_group_size_z
      - .offset:         42
        .size:           2
        .value_kind:     hidden_remainder_x
      - .offset:         44
        .size:           2
        .value_kind:     hidden_remainder_y
      - .offset:         46
        .size:           2
        .value_kind:     hidden_remainder_z
      - .offset:         64
        .size:           8
        .value_kind:     hidden_global_offset_x
      - .offset:         72
        .size:           8
        .value_kind:     hidden_global_offset_y
      - .offset:         80
        .size:           8
        .value_kind:     hidden_global_offset_z
      - .offset:         88
        .size:           2
        .value_kind:     hidden_grid_dims
    .group_segment_fixed_size: 528
    .kernarg_segment_align: 8
    .kernarg_segment_size: 280
    .language:       OpenCL C
    .language_version:
      - 2
      - 0
    .max_flat_workgroup_size: 64
    .name:           _Z6kernelI14exclusive_scanILN6hipcub18BlockScanAlgorithmE1EEdLj64ELj16ELj100EEvPKT0_PS4_S4_
    .private_segment_fixed_size: 0
    .sgpr_count:     18
    .sgpr_spill_count: 0
    .symbol:         _Z6kernelI14exclusive_scanILN6hipcub18BlockScanAlgorithmE1EEdLj64ELj16ELj100EEvPKT0_PS4_S4_.kd
    .uniform_work_group_size: 1
    .uses_dynamic_stack: false
    .vgpr_count:     47
    .vgpr_spill_count: 0
    .wavefront_size: 32
    .workgroup_processor_mode: 1
  - .args:
      - .address_space:  global
        .offset:         0
        .size:           8
        .value_kind:     global_buffer
      - .address_space:  global
        .offset:         8
        .size:           8
        .value_kind:     global_buffer
      - .offset:         16
        .size:           1
        .value_kind:     by_value
      - .offset:         24
        .size:           4
        .value_kind:     hidden_block_count_x
      - .offset:         28
        .size:           4
        .value_kind:     hidden_block_count_y
      - .offset:         32
        .size:           4
        .value_kind:     hidden_block_count_z
      - .offset:         36
        .size:           2
        .value_kind:     hidden_group_size_x
      - .offset:         38
        .size:           2
        .value_kind:     hidden_group_size_y
      - .offset:         40
        .size:           2
        .value_kind:     hidden_group_size_z
      - .offset:         42
        .size:           2
        .value_kind:     hidden_remainder_x
      - .offset:         44
        .size:           2
        .value_kind:     hidden_remainder_y
      - .offset:         46
        .size:           2
        .value_kind:     hidden_remainder_z
      - .offset:         64
        .size:           8
        .value_kind:     hidden_global_offset_x
      - .offset:         72
        .size:           8
        .value_kind:     hidden_global_offset_y
      - .offset:         80
        .size:           8
        .value_kind:     hidden_global_offset_z
      - .offset:         88
        .size:           2
        .value_kind:     hidden_grid_dims
    .group_segment_fixed_size: 66
    .kernarg_segment_align: 8
    .kernarg_segment_size: 280
    .language:       OpenCL C
    .language_version:
      - 2
      - 0
    .max_flat_workgroup_size: 64
    .name:           _Z6kernelI14exclusive_scanILN6hipcub18BlockScanAlgorithmE1EEhLj64ELj1ELj100EEvPKT0_PS4_S4_
    .private_segment_fixed_size: 0
    .sgpr_count:     18
    .sgpr_spill_count: 0
    .symbol:         _Z6kernelI14exclusive_scanILN6hipcub18BlockScanAlgorithmE1EEhLj64ELj1ELj100EEvPKT0_PS4_S4_.kd
    .uniform_work_group_size: 1
    .uses_dynamic_stack: false
    .vgpr_count:     13
    .vgpr_spill_count: 0
    .wavefront_size: 32
    .workgroup_processor_mode: 1
  - .args:
      - .address_space:  global
        .offset:         0
        .size:           8
        .value_kind:     global_buffer
      - .address_space:  global
        .offset:         8
        .size:           8
        .value_kind:     global_buffer
      - .offset:         16
        .size:           1
        .value_kind:     by_value
      - .offset:         24
        .size:           4
        .value_kind:     hidden_block_count_x
      - .offset:         28
        .size:           4
        .value_kind:     hidden_block_count_y
      - .offset:         32
        .size:           4
        .value_kind:     hidden_block_count_z
      - .offset:         36
        .size:           2
        .value_kind:     hidden_group_size_x
      - .offset:         38
        .size:           2
        .value_kind:     hidden_group_size_y
      - .offset:         40
        .size:           2
        .value_kind:     hidden_group_size_z
      - .offset:         42
        .size:           2
        .value_kind:     hidden_remainder_x
      - .offset:         44
        .size:           2
        .value_kind:     hidden_remainder_y
      - .offset:         46
        .size:           2
        .value_kind:     hidden_remainder_z
      - .offset:         64
        .size:           8
        .value_kind:     hidden_global_offset_x
      - .offset:         72
        .size:           8
        .value_kind:     hidden_global_offset_y
      - .offset:         80
        .size:           8
        .value_kind:     hidden_global_offset_z
      - .offset:         88
        .size:           2
        .value_kind:     hidden_grid_dims
    .group_segment_fixed_size: 66
    .kernarg_segment_align: 8
    .kernarg_segment_size: 280
    .language:       OpenCL C
    .language_version:
      - 2
      - 0
    .max_flat_workgroup_size: 64
    .name:           _Z6kernelI14exclusive_scanILN6hipcub18BlockScanAlgorithmE1EEhLj64ELj3ELj100EEvPKT0_PS4_S4_
    .private_segment_fixed_size: 0
    .sgpr_count:     18
    .sgpr_spill_count: 0
    .symbol:         _Z6kernelI14exclusive_scanILN6hipcub18BlockScanAlgorithmE1EEhLj64ELj3ELj100EEvPKT0_PS4_S4_.kd
    .uniform_work_group_size: 1
    .uses_dynamic_stack: false
    .vgpr_count:     17
    .vgpr_spill_count: 0
    .wavefront_size: 32
    .workgroup_processor_mode: 1
  - .args:
      - .address_space:  global
        .offset:         0
        .size:           8
        .value_kind:     global_buffer
      - .address_space:  global
        .offset:         8
        .size:           8
        .value_kind:     global_buffer
      - .offset:         16
        .size:           1
        .value_kind:     by_value
      - .offset:         24
        .size:           4
        .value_kind:     hidden_block_count_x
      - .offset:         28
        .size:           4
        .value_kind:     hidden_block_count_y
      - .offset:         32
        .size:           4
        .value_kind:     hidden_block_count_z
      - .offset:         36
        .size:           2
        .value_kind:     hidden_group_size_x
      - .offset:         38
        .size:           2
        .value_kind:     hidden_group_size_y
      - .offset:         40
        .size:           2
        .value_kind:     hidden_group_size_z
      - .offset:         42
        .size:           2
        .value_kind:     hidden_remainder_x
      - .offset:         44
        .size:           2
        .value_kind:     hidden_remainder_y
      - .offset:         46
        .size:           2
        .value_kind:     hidden_remainder_z
      - .offset:         64
        .size:           8
        .value_kind:     hidden_global_offset_x
      - .offset:         72
        .size:           8
        .value_kind:     hidden_global_offset_y
      - .offset:         80
        .size:           8
        .value_kind:     hidden_global_offset_z
      - .offset:         88
        .size:           2
        .value_kind:     hidden_grid_dims
    .group_segment_fixed_size: 66
    .kernarg_segment_align: 8
    .kernarg_segment_size: 280
    .language:       OpenCL C
    .language_version:
      - 2
      - 0
    .max_flat_workgroup_size: 64
    .name:           _Z6kernelI14exclusive_scanILN6hipcub18BlockScanAlgorithmE1EEhLj64ELj4ELj100EEvPKT0_PS4_S4_
    .private_segment_fixed_size: 0
    .sgpr_count:     18
    .sgpr_spill_count: 0
    .symbol:         _Z6kernelI14exclusive_scanILN6hipcub18BlockScanAlgorithmE1EEhLj64ELj4ELj100EEvPKT0_PS4_S4_.kd
    .uniform_work_group_size: 1
    .uses_dynamic_stack: false
    .vgpr_count:     16
    .vgpr_spill_count: 0
    .wavefront_size: 32
    .workgroup_processor_mode: 1
  - .args:
      - .address_space:  global
        .offset:         0
        .size:           8
        .value_kind:     global_buffer
      - .address_space:  global
        .offset:         8
        .size:           8
        .value_kind:     global_buffer
      - .offset:         16
        .size:           1
        .value_kind:     by_value
      - .offset:         24
        .size:           4
        .value_kind:     hidden_block_count_x
      - .offset:         28
        .size:           4
        .value_kind:     hidden_block_count_y
      - .offset:         32
        .size:           4
        .value_kind:     hidden_block_count_z
      - .offset:         36
        .size:           2
        .value_kind:     hidden_group_size_x
      - .offset:         38
        .size:           2
        .value_kind:     hidden_group_size_y
      - .offset:         40
        .size:           2
        .value_kind:     hidden_group_size_z
      - .offset:         42
        .size:           2
        .value_kind:     hidden_remainder_x
      - .offset:         44
        .size:           2
        .value_kind:     hidden_remainder_y
      - .offset:         46
        .size:           2
        .value_kind:     hidden_remainder_z
      - .offset:         64
        .size:           8
        .value_kind:     hidden_global_offset_x
      - .offset:         72
        .size:           8
        .value_kind:     hidden_global_offset_y
      - .offset:         80
        .size:           8
        .value_kind:     hidden_global_offset_z
      - .offset:         88
        .size:           2
        .value_kind:     hidden_grid_dims
    .group_segment_fixed_size: 66
    .kernarg_segment_align: 8
    .kernarg_segment_size: 280
    .language:       OpenCL C
    .language_version:
      - 2
      - 0
    .max_flat_workgroup_size: 64
    .name:           _Z6kernelI14exclusive_scanILN6hipcub18BlockScanAlgorithmE1EEhLj64ELj8ELj100EEvPKT0_PS4_S4_
    .private_segment_fixed_size: 0
    .sgpr_count:     18
    .sgpr_spill_count: 0
    .symbol:         _Z6kernelI14exclusive_scanILN6hipcub18BlockScanAlgorithmE1EEhLj64ELj8ELj100EEvPKT0_PS4_S4_.kd
    .uniform_work_group_size: 1
    .uses_dynamic_stack: false
    .vgpr_count:     20
    .vgpr_spill_count: 0
    .wavefront_size: 32
    .workgroup_processor_mode: 1
  - .args:
      - .address_space:  global
        .offset:         0
        .size:           8
        .value_kind:     global_buffer
      - .address_space:  global
        .offset:         8
        .size:           8
        .value_kind:     global_buffer
      - .offset:         16
        .size:           1
        .value_kind:     by_value
      - .offset:         24
        .size:           4
        .value_kind:     hidden_block_count_x
      - .offset:         28
        .size:           4
        .value_kind:     hidden_block_count_y
      - .offset:         32
        .size:           4
        .value_kind:     hidden_block_count_z
      - .offset:         36
        .size:           2
        .value_kind:     hidden_group_size_x
      - .offset:         38
        .size:           2
        .value_kind:     hidden_group_size_y
      - .offset:         40
        .size:           2
        .value_kind:     hidden_group_size_z
      - .offset:         42
        .size:           2
        .value_kind:     hidden_remainder_x
      - .offset:         44
        .size:           2
        .value_kind:     hidden_remainder_y
      - .offset:         46
        .size:           2
        .value_kind:     hidden_remainder_z
      - .offset:         64
        .size:           8
        .value_kind:     hidden_global_offset_x
      - .offset:         72
        .size:           8
        .value_kind:     hidden_global_offset_y
      - .offset:         80
        .size:           8
        .value_kind:     hidden_global_offset_z
      - .offset:         88
        .size:           2
        .value_kind:     hidden_grid_dims
    .group_segment_fixed_size: 66
    .kernarg_segment_align: 8
    .kernarg_segment_size: 280
    .language:       OpenCL C
    .language_version:
      - 2
      - 0
    .max_flat_workgroup_size: 64
    .name:           _Z6kernelI14exclusive_scanILN6hipcub18BlockScanAlgorithmE1EEhLj64ELj11ELj100EEvPKT0_PS4_S4_
    .private_segment_fixed_size: 0
    .sgpr_count:     18
    .sgpr_spill_count: 0
    .symbol:         _Z6kernelI14exclusive_scanILN6hipcub18BlockScanAlgorithmE1EEhLj64ELj11ELj100EEvPKT0_PS4_S4_.kd
    .uniform_work_group_size: 1
    .uses_dynamic_stack: false
    .vgpr_count:     37
    .vgpr_spill_count: 0
    .wavefront_size: 32
    .workgroup_processor_mode: 1
  - .args:
      - .address_space:  global
        .offset:         0
        .size:           8
        .value_kind:     global_buffer
      - .address_space:  global
        .offset:         8
        .size:           8
        .value_kind:     global_buffer
      - .offset:         16
        .size:           1
        .value_kind:     by_value
      - .offset:         24
        .size:           4
        .value_kind:     hidden_block_count_x
      - .offset:         28
        .size:           4
        .value_kind:     hidden_block_count_y
      - .offset:         32
        .size:           4
        .value_kind:     hidden_block_count_z
      - .offset:         36
        .size:           2
        .value_kind:     hidden_group_size_x
      - .offset:         38
        .size:           2
        .value_kind:     hidden_group_size_y
      - .offset:         40
        .size:           2
        .value_kind:     hidden_group_size_z
      - .offset:         42
        .size:           2
        .value_kind:     hidden_remainder_x
      - .offset:         44
        .size:           2
        .value_kind:     hidden_remainder_y
      - .offset:         46
        .size:           2
        .value_kind:     hidden_remainder_z
      - .offset:         64
        .size:           8
        .value_kind:     hidden_global_offset_x
      - .offset:         72
        .size:           8
        .value_kind:     hidden_global_offset_y
      - .offset:         80
        .size:           8
        .value_kind:     hidden_global_offset_z
      - .offset:         88
        .size:           2
        .value_kind:     hidden_grid_dims
    .group_segment_fixed_size: 66
    .kernarg_segment_align: 8
    .kernarg_segment_size: 280
    .language:       OpenCL C
    .language_version:
      - 2
      - 0
    .max_flat_workgroup_size: 64
    .name:           _Z6kernelI14exclusive_scanILN6hipcub18BlockScanAlgorithmE1EEhLj64ELj16ELj100EEvPKT0_PS4_S4_
    .private_segment_fixed_size: 0
    .sgpr_count:     18
    .sgpr_spill_count: 0
    .symbol:         _Z6kernelI14exclusive_scanILN6hipcub18BlockScanAlgorithmE1EEhLj64ELj16ELj100EEvPKT0_PS4_S4_.kd
    .uniform_work_group_size: 1
    .uses_dynamic_stack: false
    .vgpr_count:     28
    .vgpr_spill_count: 0
    .wavefront_size: 32
    .workgroup_processor_mode: 1
  - .args:
      - .address_space:  global
        .offset:         0
        .size:           8
        .value_kind:     global_buffer
      - .address_space:  global
        .offset:         8
        .size:           8
        .value_kind:     global_buffer
      - .offset:         16
        .size:           4
        .value_kind:     by_value
      - .offset:         24
        .size:           4
        .value_kind:     hidden_block_count_x
      - .offset:         28
        .size:           4
        .value_kind:     hidden_block_count_y
      - .offset:         32
        .size:           4
        .value_kind:     hidden_block_count_z
      - .offset:         36
        .size:           2
        .value_kind:     hidden_group_size_x
      - .offset:         38
        .size:           2
        .value_kind:     hidden_group_size_y
      - .offset:         40
        .size:           2
        .value_kind:     hidden_group_size_z
      - .offset:         42
        .size:           2
        .value_kind:     hidden_remainder_x
      - .offset:         44
        .size:           2
        .value_kind:     hidden_remainder_y
      - .offset:         46
        .size:           2
        .value_kind:     hidden_remainder_z
      - .offset:         64
        .size:           8
        .value_kind:     hidden_global_offset_x
      - .offset:         72
        .size:           8
        .value_kind:     hidden_global_offset_y
      - .offset:         80
        .size:           8
        .value_kind:     hidden_global_offset_z
      - .offset:         88
        .size:           2
        .value_kind:     hidden_grid_dims
    .group_segment_fixed_size: 1056
    .kernarg_segment_align: 8
    .kernarg_segment_size: 280
    .language:       OpenCL C
    .language_version:
      - 2
      - 0
    .max_flat_workgroup_size: 256
    .name:           _Z6kernelI14exclusive_scanILN6hipcub18BlockScanAlgorithmE1EEiLj256ELj1ELj100EEvPKT0_PS4_S4_
    .private_segment_fixed_size: 0
    .sgpr_count:     18
    .sgpr_spill_count: 0
    .symbol:         _Z6kernelI14exclusive_scanILN6hipcub18BlockScanAlgorithmE1EEiLj256ELj1ELj100EEvPKT0_PS4_S4_.kd
    .uniform_work_group_size: 1
    .uses_dynamic_stack: false
    .vgpr_count:     21
    .vgpr_spill_count: 0
    .wavefront_size: 32
    .workgroup_processor_mode: 1
  - .args:
      - .address_space:  global
        .offset:         0
        .size:           8
        .value_kind:     global_buffer
      - .address_space:  global
        .offset:         8
        .size:           8
        .value_kind:     global_buffer
      - .offset:         16
        .size:           4
        .value_kind:     by_value
      - .offset:         24
        .size:           4
        .value_kind:     hidden_block_count_x
      - .offset:         28
        .size:           4
        .value_kind:     hidden_block_count_y
      - .offset:         32
        .size:           4
        .value_kind:     hidden_block_count_z
      - .offset:         36
        .size:           2
        .value_kind:     hidden_group_size_x
      - .offset:         38
        .size:           2
        .value_kind:     hidden_group_size_y
      - .offset:         40
        .size:           2
        .value_kind:     hidden_group_size_z
      - .offset:         42
        .size:           2
        .value_kind:     hidden_remainder_x
      - .offset:         44
        .size:           2
        .value_kind:     hidden_remainder_y
      - .offset:         46
        .size:           2
        .value_kind:     hidden_remainder_z
      - .offset:         64
        .size:           8
        .value_kind:     hidden_global_offset_x
      - .offset:         72
        .size:           8
        .value_kind:     hidden_global_offset_y
      - .offset:         80
        .size:           8
        .value_kind:     hidden_global_offset_z
      - .offset:         88
        .size:           2
        .value_kind:     hidden_grid_dims
    .group_segment_fixed_size: 1056
    .kernarg_segment_align: 8
    .kernarg_segment_size: 280
    .language:       OpenCL C
    .language_version:
      - 2
      - 0
    .max_flat_workgroup_size: 256
    .name:           _Z6kernelI14exclusive_scanILN6hipcub18BlockScanAlgorithmE1EEiLj256ELj3ELj100EEvPKT0_PS4_S4_
    .private_segment_fixed_size: 0
    .sgpr_count:     18
    .sgpr_spill_count: 0
    .symbol:         _Z6kernelI14exclusive_scanILN6hipcub18BlockScanAlgorithmE1EEiLj256ELj3ELj100EEvPKT0_PS4_S4_.kd
    .uniform_work_group_size: 1
    .uses_dynamic_stack: false
    .vgpr_count:     27
    .vgpr_spill_count: 0
    .wavefront_size: 32
    .workgroup_processor_mode: 1
  - .args:
      - .address_space:  global
        .offset:         0
        .size:           8
        .value_kind:     global_buffer
      - .address_space:  global
        .offset:         8
        .size:           8
        .value_kind:     global_buffer
      - .offset:         16
        .size:           4
        .value_kind:     by_value
      - .offset:         24
        .size:           4
        .value_kind:     hidden_block_count_x
      - .offset:         28
        .size:           4
        .value_kind:     hidden_block_count_y
      - .offset:         32
        .size:           4
        .value_kind:     hidden_block_count_z
      - .offset:         36
        .size:           2
        .value_kind:     hidden_group_size_x
      - .offset:         38
        .size:           2
        .value_kind:     hidden_group_size_y
      - .offset:         40
        .size:           2
        .value_kind:     hidden_group_size_z
      - .offset:         42
        .size:           2
        .value_kind:     hidden_remainder_x
      - .offset:         44
        .size:           2
        .value_kind:     hidden_remainder_y
      - .offset:         46
        .size:           2
        .value_kind:     hidden_remainder_z
      - .offset:         64
        .size:           8
        .value_kind:     hidden_global_offset_x
      - .offset:         72
        .size:           8
        .value_kind:     hidden_global_offset_y
      - .offset:         80
        .size:           8
        .value_kind:     hidden_global_offset_z
      - .offset:         88
        .size:           2
        .value_kind:     hidden_grid_dims
    .group_segment_fixed_size: 1056
    .kernarg_segment_align: 8
    .kernarg_segment_size: 280
    .language:       OpenCL C
    .language_version:
      - 2
      - 0
    .max_flat_workgroup_size: 256
    .name:           _Z6kernelI14exclusive_scanILN6hipcub18BlockScanAlgorithmE1EEiLj256ELj4ELj100EEvPKT0_PS4_S4_
    .private_segment_fixed_size: 0
    .sgpr_count:     18
    .sgpr_spill_count: 0
    .symbol:         _Z6kernelI14exclusive_scanILN6hipcub18BlockScanAlgorithmE1EEiLj256ELj4ELj100EEvPKT0_PS4_S4_.kd
    .uniform_work_group_size: 1
    .uses_dynamic_stack: false
    .vgpr_count:     24
    .vgpr_spill_count: 0
    .wavefront_size: 32
    .workgroup_processor_mode: 1
  - .args:
      - .address_space:  global
        .offset:         0
        .size:           8
        .value_kind:     global_buffer
      - .address_space:  global
        .offset:         8
        .size:           8
        .value_kind:     global_buffer
      - .offset:         16
        .size:           4
        .value_kind:     by_value
      - .offset:         24
        .size:           4
        .value_kind:     hidden_block_count_x
      - .offset:         28
        .size:           4
        .value_kind:     hidden_block_count_y
      - .offset:         32
        .size:           4
        .value_kind:     hidden_block_count_z
      - .offset:         36
        .size:           2
        .value_kind:     hidden_group_size_x
      - .offset:         38
        .size:           2
        .value_kind:     hidden_group_size_y
      - .offset:         40
        .size:           2
        .value_kind:     hidden_group_size_z
      - .offset:         42
        .size:           2
        .value_kind:     hidden_remainder_x
      - .offset:         44
        .size:           2
        .value_kind:     hidden_remainder_y
      - .offset:         46
        .size:           2
        .value_kind:     hidden_remainder_z
      - .offset:         64
        .size:           8
        .value_kind:     hidden_global_offset_x
      - .offset:         72
        .size:           8
        .value_kind:     hidden_global_offset_y
      - .offset:         80
        .size:           8
        .value_kind:     hidden_global_offset_z
      - .offset:         88
        .size:           2
        .value_kind:     hidden_grid_dims
    .group_segment_fixed_size: 1056
    .kernarg_segment_align: 8
    .kernarg_segment_size: 280
    .language:       OpenCL C
    .language_version:
      - 2
      - 0
    .max_flat_workgroup_size: 256
    .name:           _Z6kernelI14exclusive_scanILN6hipcub18BlockScanAlgorithmE1EEiLj256ELj8ELj100EEvPKT0_PS4_S4_
    .private_segment_fixed_size: 0
    .sgpr_count:     18
    .sgpr_spill_count: 0
    .symbol:         _Z6kernelI14exclusive_scanILN6hipcub18BlockScanAlgorithmE1EEiLj256ELj8ELj100EEvPKT0_PS4_S4_.kd
    .uniform_work_group_size: 1
    .uses_dynamic_stack: false
    .vgpr_count:     28
    .vgpr_spill_count: 0
    .wavefront_size: 32
    .workgroup_processor_mode: 1
  - .args:
      - .address_space:  global
        .offset:         0
        .size:           8
        .value_kind:     global_buffer
      - .address_space:  global
        .offset:         8
        .size:           8
        .value_kind:     global_buffer
      - .offset:         16
        .size:           4
        .value_kind:     by_value
      - .offset:         24
        .size:           4
        .value_kind:     hidden_block_count_x
      - .offset:         28
        .size:           4
        .value_kind:     hidden_block_count_y
      - .offset:         32
        .size:           4
        .value_kind:     hidden_block_count_z
      - .offset:         36
        .size:           2
        .value_kind:     hidden_group_size_x
      - .offset:         38
        .size:           2
        .value_kind:     hidden_group_size_y
      - .offset:         40
        .size:           2
        .value_kind:     hidden_group_size_z
      - .offset:         42
        .size:           2
        .value_kind:     hidden_remainder_x
      - .offset:         44
        .size:           2
        .value_kind:     hidden_remainder_y
      - .offset:         46
        .size:           2
        .value_kind:     hidden_remainder_z
      - .offset:         64
        .size:           8
        .value_kind:     hidden_global_offset_x
      - .offset:         72
        .size:           8
        .value_kind:     hidden_global_offset_y
      - .offset:         80
        .size:           8
        .value_kind:     hidden_global_offset_z
      - .offset:         88
        .size:           2
        .value_kind:     hidden_grid_dims
    .group_segment_fixed_size: 1056
    .kernarg_segment_align: 8
    .kernarg_segment_size: 280
    .language:       OpenCL C
    .language_version:
      - 2
      - 0
    .max_flat_workgroup_size: 256
    .name:           _Z6kernelI14exclusive_scanILN6hipcub18BlockScanAlgorithmE1EEiLj256ELj11ELj100EEvPKT0_PS4_S4_
    .private_segment_fixed_size: 0
    .sgpr_count:     18
    .sgpr_spill_count: 0
    .symbol:         _Z6kernelI14exclusive_scanILN6hipcub18BlockScanAlgorithmE1EEiLj256ELj11ELj100EEvPKT0_PS4_S4_.kd
    .uniform_work_group_size: 1
    .uses_dynamic_stack: false
    .vgpr_count:     51
    .vgpr_spill_count: 0
    .wavefront_size: 32
    .workgroup_processor_mode: 1
  - .args:
      - .address_space:  global
        .offset:         0
        .size:           8
        .value_kind:     global_buffer
      - .address_space:  global
        .offset:         8
        .size:           8
        .value_kind:     global_buffer
      - .offset:         16
        .size:           4
        .value_kind:     by_value
      - .offset:         24
        .size:           4
        .value_kind:     hidden_block_count_x
      - .offset:         28
        .size:           4
        .value_kind:     hidden_block_count_y
      - .offset:         32
        .size:           4
        .value_kind:     hidden_block_count_z
      - .offset:         36
        .size:           2
        .value_kind:     hidden_group_size_x
      - .offset:         38
        .size:           2
        .value_kind:     hidden_group_size_y
      - .offset:         40
        .size:           2
        .value_kind:     hidden_group_size_z
      - .offset:         42
        .size:           2
        .value_kind:     hidden_remainder_x
      - .offset:         44
        .size:           2
        .value_kind:     hidden_remainder_y
      - .offset:         46
        .size:           2
        .value_kind:     hidden_remainder_z
      - .offset:         64
        .size:           8
        .value_kind:     hidden_global_offset_x
      - .offset:         72
        .size:           8
        .value_kind:     hidden_global_offset_y
      - .offset:         80
        .size:           8
        .value_kind:     hidden_global_offset_z
      - .offset:         88
        .size:           2
        .value_kind:     hidden_grid_dims
    .group_segment_fixed_size: 1056
    .kernarg_segment_align: 8
    .kernarg_segment_size: 280
    .language:       OpenCL C
    .language_version:
      - 2
      - 0
    .max_flat_workgroup_size: 256
    .name:           _Z6kernelI14exclusive_scanILN6hipcub18BlockScanAlgorithmE1EEiLj256ELj16ELj100EEvPKT0_PS4_S4_
    .private_segment_fixed_size: 0
    .sgpr_count:     18
    .sgpr_spill_count: 0
    .symbol:         _Z6kernelI14exclusive_scanILN6hipcub18BlockScanAlgorithmE1EEiLj256ELj16ELj100EEvPKT0_PS4_S4_.kd
    .uniform_work_group_size: 1
    .uses_dynamic_stack: false
    .vgpr_count:     36
    .vgpr_spill_count: 0
    .wavefront_size: 32
    .workgroup_processor_mode: 1
  - .args:
      - .address_space:  global
        .offset:         0
        .size:           8
        .value_kind:     global_buffer
      - .address_space:  global
        .offset:         8
        .size:           8
        .value_kind:     global_buffer
      - .offset:         16
        .size:           4
        .value_kind:     by_value
      - .offset:         24
        .size:           4
        .value_kind:     hidden_block_count_x
      - .offset:         28
        .size:           4
        .value_kind:     hidden_block_count_y
      - .offset:         32
        .size:           4
        .value_kind:     hidden_block_count_z
      - .offset:         36
        .size:           2
        .value_kind:     hidden_group_size_x
      - .offset:         38
        .size:           2
        .value_kind:     hidden_group_size_y
      - .offset:         40
        .size:           2
        .value_kind:     hidden_group_size_z
      - .offset:         42
        .size:           2
        .value_kind:     hidden_remainder_x
      - .offset:         44
        .size:           2
        .value_kind:     hidden_remainder_y
      - .offset:         46
        .size:           2
        .value_kind:     hidden_remainder_z
      - .offset:         64
        .size:           8
        .value_kind:     hidden_global_offset_x
      - .offset:         72
        .size:           8
        .value_kind:     hidden_global_offset_y
      - .offset:         80
        .size:           8
        .value_kind:     hidden_global_offset_z
      - .offset:         88
        .size:           2
        .value_kind:     hidden_grid_dims
    .group_segment_fixed_size: 1056
    .kernarg_segment_align: 8
    .kernarg_segment_size: 280
    .language:       OpenCL C
    .language_version:
      - 2
      - 0
    .max_flat_workgroup_size: 256
    .name:           _Z6kernelI14exclusive_scanILN6hipcub18BlockScanAlgorithmE1EEfLj256ELj1ELj100EEvPKT0_PS4_S4_
    .private_segment_fixed_size: 0
    .sgpr_count:     18
    .sgpr_spill_count: 0
    .symbol:         _Z6kernelI14exclusive_scanILN6hipcub18BlockScanAlgorithmE1EEfLj256ELj1ELj100EEvPKT0_PS4_S4_.kd
    .uniform_work_group_size: 1
    .uses_dynamic_stack: false
    .vgpr_count:     21
    .vgpr_spill_count: 0
    .wavefront_size: 32
    .workgroup_processor_mode: 1
  - .args:
      - .address_space:  global
        .offset:         0
        .size:           8
        .value_kind:     global_buffer
      - .address_space:  global
        .offset:         8
        .size:           8
        .value_kind:     global_buffer
      - .offset:         16
        .size:           4
        .value_kind:     by_value
      - .offset:         24
        .size:           4
        .value_kind:     hidden_block_count_x
      - .offset:         28
        .size:           4
        .value_kind:     hidden_block_count_y
      - .offset:         32
        .size:           4
        .value_kind:     hidden_block_count_z
      - .offset:         36
        .size:           2
        .value_kind:     hidden_group_size_x
      - .offset:         38
        .size:           2
        .value_kind:     hidden_group_size_y
      - .offset:         40
        .size:           2
        .value_kind:     hidden_group_size_z
      - .offset:         42
        .size:           2
        .value_kind:     hidden_remainder_x
      - .offset:         44
        .size:           2
        .value_kind:     hidden_remainder_y
      - .offset:         46
        .size:           2
        .value_kind:     hidden_remainder_z
      - .offset:         64
        .size:           8
        .value_kind:     hidden_global_offset_x
      - .offset:         72
        .size:           8
        .value_kind:     hidden_global_offset_y
      - .offset:         80
        .size:           8
        .value_kind:     hidden_global_offset_z
      - .offset:         88
        .size:           2
        .value_kind:     hidden_grid_dims
    .group_segment_fixed_size: 1056
    .kernarg_segment_align: 8
    .kernarg_segment_size: 280
    .language:       OpenCL C
    .language_version:
      - 2
      - 0
    .max_flat_workgroup_size: 256
    .name:           _Z6kernelI14exclusive_scanILN6hipcub18BlockScanAlgorithmE1EEfLj256ELj3ELj100EEvPKT0_PS4_S4_
    .private_segment_fixed_size: 0
    .sgpr_count:     18
    .sgpr_spill_count: 0
    .symbol:         _Z6kernelI14exclusive_scanILN6hipcub18BlockScanAlgorithmE1EEfLj256ELj3ELj100EEvPKT0_PS4_S4_.kd
    .uniform_work_group_size: 1
    .uses_dynamic_stack: false
    .vgpr_count:     27
    .vgpr_spill_count: 0
    .wavefront_size: 32
    .workgroup_processor_mode: 1
  - .args:
      - .address_space:  global
        .offset:         0
        .size:           8
        .value_kind:     global_buffer
      - .address_space:  global
        .offset:         8
        .size:           8
        .value_kind:     global_buffer
      - .offset:         16
        .size:           4
        .value_kind:     by_value
      - .offset:         24
        .size:           4
        .value_kind:     hidden_block_count_x
      - .offset:         28
        .size:           4
        .value_kind:     hidden_block_count_y
      - .offset:         32
        .size:           4
        .value_kind:     hidden_block_count_z
      - .offset:         36
        .size:           2
        .value_kind:     hidden_group_size_x
      - .offset:         38
        .size:           2
        .value_kind:     hidden_group_size_y
      - .offset:         40
        .size:           2
        .value_kind:     hidden_group_size_z
      - .offset:         42
        .size:           2
        .value_kind:     hidden_remainder_x
      - .offset:         44
        .size:           2
        .value_kind:     hidden_remainder_y
      - .offset:         46
        .size:           2
        .value_kind:     hidden_remainder_z
      - .offset:         64
        .size:           8
        .value_kind:     hidden_global_offset_x
      - .offset:         72
        .size:           8
        .value_kind:     hidden_global_offset_y
      - .offset:         80
        .size:           8
        .value_kind:     hidden_global_offset_z
      - .offset:         88
        .size:           2
        .value_kind:     hidden_grid_dims
    .group_segment_fixed_size: 1056
    .kernarg_segment_align: 8
    .kernarg_segment_size: 280
    .language:       OpenCL C
    .language_version:
      - 2
      - 0
    .max_flat_workgroup_size: 256
    .name:           _Z6kernelI14exclusive_scanILN6hipcub18BlockScanAlgorithmE1EEfLj256ELj4ELj100EEvPKT0_PS4_S4_
    .private_segment_fixed_size: 0
    .sgpr_count:     18
    .sgpr_spill_count: 0
    .symbol:         _Z6kernelI14exclusive_scanILN6hipcub18BlockScanAlgorithmE1EEfLj256ELj4ELj100EEvPKT0_PS4_S4_.kd
    .uniform_work_group_size: 1
    .uses_dynamic_stack: false
    .vgpr_count:     24
    .vgpr_spill_count: 0
    .wavefront_size: 32
    .workgroup_processor_mode: 1
  - .args:
      - .address_space:  global
        .offset:         0
        .size:           8
        .value_kind:     global_buffer
      - .address_space:  global
        .offset:         8
        .size:           8
        .value_kind:     global_buffer
      - .offset:         16
        .size:           4
        .value_kind:     by_value
      - .offset:         24
        .size:           4
        .value_kind:     hidden_block_count_x
      - .offset:         28
        .size:           4
        .value_kind:     hidden_block_count_y
      - .offset:         32
        .size:           4
        .value_kind:     hidden_block_count_z
      - .offset:         36
        .size:           2
        .value_kind:     hidden_group_size_x
      - .offset:         38
        .size:           2
        .value_kind:     hidden_group_size_y
      - .offset:         40
        .size:           2
        .value_kind:     hidden_group_size_z
      - .offset:         42
        .size:           2
        .value_kind:     hidden_remainder_x
      - .offset:         44
        .size:           2
        .value_kind:     hidden_remainder_y
      - .offset:         46
        .size:           2
        .value_kind:     hidden_remainder_z
      - .offset:         64
        .size:           8
        .value_kind:     hidden_global_offset_x
      - .offset:         72
        .size:           8
        .value_kind:     hidden_global_offset_y
      - .offset:         80
        .size:           8
        .value_kind:     hidden_global_offset_z
      - .offset:         88
        .size:           2
        .value_kind:     hidden_grid_dims
    .group_segment_fixed_size: 1056
    .kernarg_segment_align: 8
    .kernarg_segment_size: 280
    .language:       OpenCL C
    .language_version:
      - 2
      - 0
    .max_flat_workgroup_size: 256
    .name:           _Z6kernelI14exclusive_scanILN6hipcub18BlockScanAlgorithmE1EEfLj256ELj8ELj100EEvPKT0_PS4_S4_
    .private_segment_fixed_size: 0
    .sgpr_count:     18
    .sgpr_spill_count: 0
    .symbol:         _Z6kernelI14exclusive_scanILN6hipcub18BlockScanAlgorithmE1EEfLj256ELj8ELj100EEvPKT0_PS4_S4_.kd
    .uniform_work_group_size: 1
    .uses_dynamic_stack: false
    .vgpr_count:     28
    .vgpr_spill_count: 0
    .wavefront_size: 32
    .workgroup_processor_mode: 1
  - .args:
      - .address_space:  global
        .offset:         0
        .size:           8
        .value_kind:     global_buffer
      - .address_space:  global
        .offset:         8
        .size:           8
        .value_kind:     global_buffer
      - .offset:         16
        .size:           4
        .value_kind:     by_value
      - .offset:         24
        .size:           4
        .value_kind:     hidden_block_count_x
      - .offset:         28
        .size:           4
        .value_kind:     hidden_block_count_y
      - .offset:         32
        .size:           4
        .value_kind:     hidden_block_count_z
      - .offset:         36
        .size:           2
        .value_kind:     hidden_group_size_x
      - .offset:         38
        .size:           2
        .value_kind:     hidden_group_size_y
      - .offset:         40
        .size:           2
        .value_kind:     hidden_group_size_z
      - .offset:         42
        .size:           2
        .value_kind:     hidden_remainder_x
      - .offset:         44
        .size:           2
        .value_kind:     hidden_remainder_y
      - .offset:         46
        .size:           2
        .value_kind:     hidden_remainder_z
      - .offset:         64
        .size:           8
        .value_kind:     hidden_global_offset_x
      - .offset:         72
        .size:           8
        .value_kind:     hidden_global_offset_y
      - .offset:         80
        .size:           8
        .value_kind:     hidden_global_offset_z
      - .offset:         88
        .size:           2
        .value_kind:     hidden_grid_dims
    .group_segment_fixed_size: 1056
    .kernarg_segment_align: 8
    .kernarg_segment_size: 280
    .language:       OpenCL C
    .language_version:
      - 2
      - 0
    .max_flat_workgroup_size: 256
    .name:           _Z6kernelI14exclusive_scanILN6hipcub18BlockScanAlgorithmE1EEfLj256ELj11ELj100EEvPKT0_PS4_S4_
    .private_segment_fixed_size: 0
    .sgpr_count:     18
    .sgpr_spill_count: 0
    .symbol:         _Z6kernelI14exclusive_scanILN6hipcub18BlockScanAlgorithmE1EEfLj256ELj11ELj100EEvPKT0_PS4_S4_.kd
    .uniform_work_group_size: 1
    .uses_dynamic_stack: false
    .vgpr_count:     51
    .vgpr_spill_count: 0
    .wavefront_size: 32
    .workgroup_processor_mode: 1
  - .args:
      - .address_space:  global
        .offset:         0
        .size:           8
        .value_kind:     global_buffer
      - .address_space:  global
        .offset:         8
        .size:           8
        .value_kind:     global_buffer
      - .offset:         16
        .size:           4
        .value_kind:     by_value
      - .offset:         24
        .size:           4
        .value_kind:     hidden_block_count_x
      - .offset:         28
        .size:           4
        .value_kind:     hidden_block_count_y
      - .offset:         32
        .size:           4
        .value_kind:     hidden_block_count_z
      - .offset:         36
        .size:           2
        .value_kind:     hidden_group_size_x
      - .offset:         38
        .size:           2
        .value_kind:     hidden_group_size_y
      - .offset:         40
        .size:           2
        .value_kind:     hidden_group_size_z
      - .offset:         42
        .size:           2
        .value_kind:     hidden_remainder_x
      - .offset:         44
        .size:           2
        .value_kind:     hidden_remainder_y
      - .offset:         46
        .size:           2
        .value_kind:     hidden_remainder_z
      - .offset:         64
        .size:           8
        .value_kind:     hidden_global_offset_x
      - .offset:         72
        .size:           8
        .value_kind:     hidden_global_offset_y
      - .offset:         80
        .size:           8
        .value_kind:     hidden_global_offset_z
      - .offset:         88
        .size:           2
        .value_kind:     hidden_grid_dims
    .group_segment_fixed_size: 1056
    .kernarg_segment_align: 8
    .kernarg_segment_size: 280
    .language:       OpenCL C
    .language_version:
      - 2
      - 0
    .max_flat_workgroup_size: 256
    .name:           _Z6kernelI14exclusive_scanILN6hipcub18BlockScanAlgorithmE1EEfLj256ELj16ELj100EEvPKT0_PS4_S4_
    .private_segment_fixed_size: 0
    .sgpr_count:     18
    .sgpr_spill_count: 0
    .symbol:         _Z6kernelI14exclusive_scanILN6hipcub18BlockScanAlgorithmE1EEfLj256ELj16ELj100EEvPKT0_PS4_S4_.kd
    .uniform_work_group_size: 1
    .uses_dynamic_stack: false
    .vgpr_count:     36
    .vgpr_spill_count: 0
    .wavefront_size: 32
    .workgroup_processor_mode: 1
  - .args:
      - .address_space:  global
        .offset:         0
        .size:           8
        .value_kind:     global_buffer
      - .address_space:  global
        .offset:         8
        .size:           8
        .value_kind:     global_buffer
      - .offset:         16
        .size:           8
        .value_kind:     by_value
      - .offset:         24
        .size:           4
        .value_kind:     hidden_block_count_x
      - .offset:         28
        .size:           4
        .value_kind:     hidden_block_count_y
      - .offset:         32
        .size:           4
        .value_kind:     hidden_block_count_z
      - .offset:         36
        .size:           2
        .value_kind:     hidden_group_size_x
      - .offset:         38
        .size:           2
        .value_kind:     hidden_group_size_y
      - .offset:         40
        .size:           2
        .value_kind:     hidden_group_size_z
      - .offset:         42
        .size:           2
        .value_kind:     hidden_remainder_x
      - .offset:         44
        .size:           2
        .value_kind:     hidden_remainder_y
      - .offset:         46
        .size:           2
        .value_kind:     hidden_remainder_z
      - .offset:         64
        .size:           8
        .value_kind:     hidden_global_offset_x
      - .offset:         72
        .size:           8
        .value_kind:     hidden_global_offset_y
      - .offset:         80
        .size:           8
        .value_kind:     hidden_global_offset_z
      - .offset:         88
        .size:           2
        .value_kind:     hidden_grid_dims
    .group_segment_fixed_size: 2112
    .kernarg_segment_align: 8
    .kernarg_segment_size: 280
    .language:       OpenCL C
    .language_version:
      - 2
      - 0
    .max_flat_workgroup_size: 256
    .name:           _Z6kernelI14exclusive_scanILN6hipcub18BlockScanAlgorithmE1EEdLj256ELj1ELj100EEvPKT0_PS4_S4_
    .private_segment_fixed_size: 0
    .sgpr_count:     18
    .sgpr_spill_count: 0
    .symbol:         _Z6kernelI14exclusive_scanILN6hipcub18BlockScanAlgorithmE1EEdLj256ELj1ELj100EEvPKT0_PS4_S4_.kd
    .uniform_work_group_size: 1
    .uses_dynamic_stack: false
    .vgpr_count:     30
    .vgpr_spill_count: 0
    .wavefront_size: 32
    .workgroup_processor_mode: 1
  - .args:
      - .address_space:  global
        .offset:         0
        .size:           8
        .value_kind:     global_buffer
      - .address_space:  global
        .offset:         8
        .size:           8
        .value_kind:     global_buffer
      - .offset:         16
        .size:           8
        .value_kind:     by_value
      - .offset:         24
        .size:           4
        .value_kind:     hidden_block_count_x
      - .offset:         28
        .size:           4
        .value_kind:     hidden_block_count_y
      - .offset:         32
        .size:           4
        .value_kind:     hidden_block_count_z
      - .offset:         36
        .size:           2
        .value_kind:     hidden_group_size_x
      - .offset:         38
        .size:           2
        .value_kind:     hidden_group_size_y
      - .offset:         40
        .size:           2
        .value_kind:     hidden_group_size_z
      - .offset:         42
        .size:           2
        .value_kind:     hidden_remainder_x
      - .offset:         44
        .size:           2
        .value_kind:     hidden_remainder_y
      - .offset:         46
        .size:           2
        .value_kind:     hidden_remainder_z
      - .offset:         64
        .size:           8
        .value_kind:     hidden_global_offset_x
      - .offset:         72
        .size:           8
        .value_kind:     hidden_global_offset_y
      - .offset:         80
        .size:           8
        .value_kind:     hidden_global_offset_z
      - .offset:         88
        .size:           2
        .value_kind:     hidden_grid_dims
    .group_segment_fixed_size: 2112
    .kernarg_segment_align: 8
    .kernarg_segment_size: 280
    .language:       OpenCL C
    .language_version:
      - 2
      - 0
    .max_flat_workgroup_size: 256
    .name:           _Z6kernelI14exclusive_scanILN6hipcub18BlockScanAlgorithmE1EEdLj256ELj3ELj100EEvPKT0_PS4_S4_
    .private_segment_fixed_size: 0
    .sgpr_count:     18
    .sgpr_spill_count: 0
    .symbol:         _Z6kernelI14exclusive_scanILN6hipcub18BlockScanAlgorithmE1EEdLj256ELj3ELj100EEvPKT0_PS4_S4_.kd
    .uniform_work_group_size: 1
    .uses_dynamic_stack: false
    .vgpr_count:     38
    .vgpr_spill_count: 0
    .wavefront_size: 32
    .workgroup_processor_mode: 1
  - .args:
      - .address_space:  global
        .offset:         0
        .size:           8
        .value_kind:     global_buffer
      - .address_space:  global
        .offset:         8
        .size:           8
        .value_kind:     global_buffer
      - .offset:         16
        .size:           8
        .value_kind:     by_value
      - .offset:         24
        .size:           4
        .value_kind:     hidden_block_count_x
      - .offset:         28
        .size:           4
        .value_kind:     hidden_block_count_y
      - .offset:         32
        .size:           4
        .value_kind:     hidden_block_count_z
      - .offset:         36
        .size:           2
        .value_kind:     hidden_group_size_x
      - .offset:         38
        .size:           2
        .value_kind:     hidden_group_size_y
      - .offset:         40
        .size:           2
        .value_kind:     hidden_group_size_z
      - .offset:         42
        .size:           2
        .value_kind:     hidden_remainder_x
      - .offset:         44
        .size:           2
        .value_kind:     hidden_remainder_y
      - .offset:         46
        .size:           2
        .value_kind:     hidden_remainder_z
      - .offset:         64
        .size:           8
        .value_kind:     hidden_global_offset_x
      - .offset:         72
        .size:           8
        .value_kind:     hidden_global_offset_y
      - .offset:         80
        .size:           8
        .value_kind:     hidden_global_offset_z
      - .offset:         88
        .size:           2
        .value_kind:     hidden_grid_dims
    .group_segment_fixed_size: 2112
    .kernarg_segment_align: 8
    .kernarg_segment_size: 280
    .language:       OpenCL C
    .language_version:
      - 2
      - 0
    .max_flat_workgroup_size: 256
    .name:           _Z6kernelI14exclusive_scanILN6hipcub18BlockScanAlgorithmE1EEdLj256ELj4ELj100EEvPKT0_PS4_S4_
    .private_segment_fixed_size: 0
    .sgpr_count:     18
    .sgpr_spill_count: 0
    .symbol:         _Z6kernelI14exclusive_scanILN6hipcub18BlockScanAlgorithmE1EEdLj256ELj4ELj100EEvPKT0_PS4_S4_.kd
    .uniform_work_group_size: 1
    .uses_dynamic_stack: false
    .vgpr_count:     36
    .vgpr_spill_count: 0
    .wavefront_size: 32
    .workgroup_processor_mode: 1
  - .args:
      - .address_space:  global
        .offset:         0
        .size:           8
        .value_kind:     global_buffer
      - .address_space:  global
        .offset:         8
        .size:           8
        .value_kind:     global_buffer
      - .offset:         16
        .size:           8
        .value_kind:     by_value
      - .offset:         24
        .size:           4
        .value_kind:     hidden_block_count_x
      - .offset:         28
        .size:           4
        .value_kind:     hidden_block_count_y
      - .offset:         32
        .size:           4
        .value_kind:     hidden_block_count_z
      - .offset:         36
        .size:           2
        .value_kind:     hidden_group_size_x
      - .offset:         38
        .size:           2
        .value_kind:     hidden_group_size_y
      - .offset:         40
        .size:           2
        .value_kind:     hidden_group_size_z
      - .offset:         42
        .size:           2
        .value_kind:     hidden_remainder_x
      - .offset:         44
        .size:           2
        .value_kind:     hidden_remainder_y
      - .offset:         46
        .size:           2
        .value_kind:     hidden_remainder_z
      - .offset:         64
        .size:           8
        .value_kind:     hidden_global_offset_x
      - .offset:         72
        .size:           8
        .value_kind:     hidden_global_offset_y
      - .offset:         80
        .size:           8
        .value_kind:     hidden_global_offset_z
      - .offset:         88
        .size:           2
        .value_kind:     hidden_grid_dims
    .group_segment_fixed_size: 2112
    .kernarg_segment_align: 8
    .kernarg_segment_size: 280
    .language:       OpenCL C
    .language_version:
      - 2
      - 0
    .max_flat_workgroup_size: 256
    .name:           _Z6kernelI14exclusive_scanILN6hipcub18BlockScanAlgorithmE1EEdLj256ELj8ELj100EEvPKT0_PS4_S4_
    .private_segment_fixed_size: 0
    .sgpr_count:     18
    .sgpr_spill_count: 0
    .symbol:         _Z6kernelI14exclusive_scanILN6hipcub18BlockScanAlgorithmE1EEdLj256ELj8ELj100EEvPKT0_PS4_S4_.kd
    .uniform_work_group_size: 1
    .uses_dynamic_stack: false
    .vgpr_count:     44
    .vgpr_spill_count: 0
    .wavefront_size: 32
    .workgroup_processor_mode: 1
  - .args:
      - .address_space:  global
        .offset:         0
        .size:           8
        .value_kind:     global_buffer
      - .address_space:  global
        .offset:         8
        .size:           8
        .value_kind:     global_buffer
      - .offset:         16
        .size:           8
        .value_kind:     by_value
      - .offset:         24
        .size:           4
        .value_kind:     hidden_block_count_x
      - .offset:         28
        .size:           4
        .value_kind:     hidden_block_count_y
      - .offset:         32
        .size:           4
        .value_kind:     hidden_block_count_z
      - .offset:         36
        .size:           2
        .value_kind:     hidden_group_size_x
      - .offset:         38
        .size:           2
        .value_kind:     hidden_group_size_y
      - .offset:         40
        .size:           2
        .value_kind:     hidden_group_size_z
      - .offset:         42
        .size:           2
        .value_kind:     hidden_remainder_x
      - .offset:         44
        .size:           2
        .value_kind:     hidden_remainder_y
      - .offset:         46
        .size:           2
        .value_kind:     hidden_remainder_z
      - .offset:         64
        .size:           8
        .value_kind:     hidden_global_offset_x
      - .offset:         72
        .size:           8
        .value_kind:     hidden_global_offset_y
      - .offset:         80
        .size:           8
        .value_kind:     hidden_global_offset_z
      - .offset:         88
        .size:           2
        .value_kind:     hidden_grid_dims
    .group_segment_fixed_size: 2112
    .kernarg_segment_align: 8
    .kernarg_segment_size: 280
    .language:       OpenCL C
    .language_version:
      - 2
      - 0
    .max_flat_workgroup_size: 256
    .name:           _Z6kernelI14exclusive_scanILN6hipcub18BlockScanAlgorithmE1EEdLj256ELj11ELj100EEvPKT0_PS4_S4_
    .private_segment_fixed_size: 0
    .sgpr_count:     18
    .sgpr_spill_count: 0
    .symbol:         _Z6kernelI14exclusive_scanILN6hipcub18BlockScanAlgorithmE1EEdLj256ELj11ELj100EEvPKT0_PS4_S4_.kd
    .uniform_work_group_size: 1
    .uses_dynamic_stack: false
    .vgpr_count:     69
    .vgpr_spill_count: 0
    .wavefront_size: 32
    .workgroup_processor_mode: 1
  - .args:
      - .address_space:  global
        .offset:         0
        .size:           8
        .value_kind:     global_buffer
      - .address_space:  global
        .offset:         8
        .size:           8
        .value_kind:     global_buffer
      - .offset:         16
        .size:           8
        .value_kind:     by_value
      - .offset:         24
        .size:           4
        .value_kind:     hidden_block_count_x
      - .offset:         28
        .size:           4
        .value_kind:     hidden_block_count_y
      - .offset:         32
        .size:           4
        .value_kind:     hidden_block_count_z
      - .offset:         36
        .size:           2
        .value_kind:     hidden_group_size_x
      - .offset:         38
        .size:           2
        .value_kind:     hidden_group_size_y
      - .offset:         40
        .size:           2
        .value_kind:     hidden_group_size_z
      - .offset:         42
        .size:           2
        .value_kind:     hidden_remainder_x
      - .offset:         44
        .size:           2
        .value_kind:     hidden_remainder_y
      - .offset:         46
        .size:           2
        .value_kind:     hidden_remainder_z
      - .offset:         64
        .size:           8
        .value_kind:     hidden_global_offset_x
      - .offset:         72
        .size:           8
        .value_kind:     hidden_global_offset_y
      - .offset:         80
        .size:           8
        .value_kind:     hidden_global_offset_z
      - .offset:         88
        .size:           2
        .value_kind:     hidden_grid_dims
    .group_segment_fixed_size: 2112
    .kernarg_segment_align: 8
    .kernarg_segment_size: 280
    .language:       OpenCL C
    .language_version:
      - 2
      - 0
    .max_flat_workgroup_size: 256
    .name:           _Z6kernelI14exclusive_scanILN6hipcub18BlockScanAlgorithmE1EEdLj256ELj16ELj100EEvPKT0_PS4_S4_
    .private_segment_fixed_size: 0
    .sgpr_count:     18
    .sgpr_spill_count: 0
    .symbol:         _Z6kernelI14exclusive_scanILN6hipcub18BlockScanAlgorithmE1EEdLj256ELj16ELj100EEvPKT0_PS4_S4_.kd
    .uniform_work_group_size: 1
    .uses_dynamic_stack: false
    .vgpr_count:     59
    .vgpr_spill_count: 0
    .wavefront_size: 32
    .workgroup_processor_mode: 1
  - .args:
      - .address_space:  global
        .offset:         0
        .size:           8
        .value_kind:     global_buffer
      - .address_space:  global
        .offset:         8
        .size:           8
        .value_kind:     global_buffer
      - .offset:         16
        .size:           1
        .value_kind:     by_value
      - .offset:         24
        .size:           4
        .value_kind:     hidden_block_count_x
      - .offset:         28
        .size:           4
        .value_kind:     hidden_block_count_y
      - .offset:         32
        .size:           4
        .value_kind:     hidden_block_count_z
      - .offset:         36
        .size:           2
        .value_kind:     hidden_group_size_x
      - .offset:         38
        .size:           2
        .value_kind:     hidden_group_size_y
      - .offset:         40
        .size:           2
        .value_kind:     hidden_group_size_z
      - .offset:         42
        .size:           2
        .value_kind:     hidden_remainder_x
      - .offset:         44
        .size:           2
        .value_kind:     hidden_remainder_y
      - .offset:         46
        .size:           2
        .value_kind:     hidden_remainder_z
      - .offset:         64
        .size:           8
        .value_kind:     hidden_global_offset_x
      - .offset:         72
        .size:           8
        .value_kind:     hidden_global_offset_y
      - .offset:         80
        .size:           8
        .value_kind:     hidden_global_offset_z
      - .offset:         88
        .size:           2
        .value_kind:     hidden_grid_dims
    .group_segment_fixed_size: 264
    .kernarg_segment_align: 8
    .kernarg_segment_size: 280
    .language:       OpenCL C
    .language_version:
      - 2
      - 0
    .max_flat_workgroup_size: 256
    .name:           _Z6kernelI14exclusive_scanILN6hipcub18BlockScanAlgorithmE1EEhLj256ELj1ELj100EEvPKT0_PS4_S4_
    .private_segment_fixed_size: 0
    .sgpr_count:     18
    .sgpr_spill_count: 0
    .symbol:         _Z6kernelI14exclusive_scanILN6hipcub18BlockScanAlgorithmE1EEhLj256ELj1ELj100EEvPKT0_PS4_S4_.kd
    .uniform_work_group_size: 1
    .uses_dynamic_stack: false
    .vgpr_count:     20
    .vgpr_spill_count: 0
    .wavefront_size: 32
    .workgroup_processor_mode: 1
  - .args:
      - .address_space:  global
        .offset:         0
        .size:           8
        .value_kind:     global_buffer
      - .address_space:  global
        .offset:         8
        .size:           8
        .value_kind:     global_buffer
      - .offset:         16
        .size:           1
        .value_kind:     by_value
      - .offset:         24
        .size:           4
        .value_kind:     hidden_block_count_x
      - .offset:         28
        .size:           4
        .value_kind:     hidden_block_count_y
      - .offset:         32
        .size:           4
        .value_kind:     hidden_block_count_z
      - .offset:         36
        .size:           2
        .value_kind:     hidden_group_size_x
      - .offset:         38
        .size:           2
        .value_kind:     hidden_group_size_y
      - .offset:         40
        .size:           2
        .value_kind:     hidden_group_size_z
      - .offset:         42
        .size:           2
        .value_kind:     hidden_remainder_x
      - .offset:         44
        .size:           2
        .value_kind:     hidden_remainder_y
      - .offset:         46
        .size:           2
        .value_kind:     hidden_remainder_z
      - .offset:         64
        .size:           8
        .value_kind:     hidden_global_offset_x
      - .offset:         72
        .size:           8
        .value_kind:     hidden_global_offset_y
      - .offset:         80
        .size:           8
        .value_kind:     hidden_global_offset_z
      - .offset:         88
        .size:           2
        .value_kind:     hidden_grid_dims
    .group_segment_fixed_size: 264
    .kernarg_segment_align: 8
    .kernarg_segment_size: 280
    .language:       OpenCL C
    .language_version:
      - 2
      - 0
    .max_flat_workgroup_size: 256
    .name:           _Z6kernelI14exclusive_scanILN6hipcub18BlockScanAlgorithmE1EEhLj256ELj3ELj100EEvPKT0_PS4_S4_
    .private_segment_fixed_size: 0
    .sgpr_count:     18
    .sgpr_spill_count: 0
    .symbol:         _Z6kernelI14exclusive_scanILN6hipcub18BlockScanAlgorithmE1EEhLj256ELj3ELj100EEvPKT0_PS4_S4_.kd
    .uniform_work_group_size: 1
    .uses_dynamic_stack: false
    .vgpr_count:     24
    .vgpr_spill_count: 0
    .wavefront_size: 32
    .workgroup_processor_mode: 1
  - .args:
      - .address_space:  global
        .offset:         0
        .size:           8
        .value_kind:     global_buffer
      - .address_space:  global
        .offset:         8
        .size:           8
        .value_kind:     global_buffer
      - .offset:         16
        .size:           1
        .value_kind:     by_value
      - .offset:         24
        .size:           4
        .value_kind:     hidden_block_count_x
      - .offset:         28
        .size:           4
        .value_kind:     hidden_block_count_y
      - .offset:         32
        .size:           4
        .value_kind:     hidden_block_count_z
      - .offset:         36
        .size:           2
        .value_kind:     hidden_group_size_x
      - .offset:         38
        .size:           2
        .value_kind:     hidden_group_size_y
      - .offset:         40
        .size:           2
        .value_kind:     hidden_group_size_z
      - .offset:         42
        .size:           2
        .value_kind:     hidden_remainder_x
      - .offset:         44
        .size:           2
        .value_kind:     hidden_remainder_y
      - .offset:         46
        .size:           2
        .value_kind:     hidden_remainder_z
      - .offset:         64
        .size:           8
        .value_kind:     hidden_global_offset_x
      - .offset:         72
        .size:           8
        .value_kind:     hidden_global_offset_y
      - .offset:         80
        .size:           8
        .value_kind:     hidden_global_offset_z
      - .offset:         88
        .size:           2
        .value_kind:     hidden_grid_dims
    .group_segment_fixed_size: 264
    .kernarg_segment_align: 8
    .kernarg_segment_size: 280
    .language:       OpenCL C
    .language_version:
      - 2
      - 0
    .max_flat_workgroup_size: 256
    .name:           _Z6kernelI14exclusive_scanILN6hipcub18BlockScanAlgorithmE1EEhLj256ELj4ELj100EEvPKT0_PS4_S4_
    .private_segment_fixed_size: 0
    .sgpr_count:     18
    .sgpr_spill_count: 0
    .symbol:         _Z6kernelI14exclusive_scanILN6hipcub18BlockScanAlgorithmE1EEhLj256ELj4ELj100EEvPKT0_PS4_S4_.kd
    .uniform_work_group_size: 1
    .uses_dynamic_stack: false
    .vgpr_count:     23
    .vgpr_spill_count: 0
    .wavefront_size: 32
    .workgroup_processor_mode: 1
  - .args:
      - .address_space:  global
        .offset:         0
        .size:           8
        .value_kind:     global_buffer
      - .address_space:  global
        .offset:         8
        .size:           8
        .value_kind:     global_buffer
      - .offset:         16
        .size:           1
        .value_kind:     by_value
      - .offset:         24
        .size:           4
        .value_kind:     hidden_block_count_x
      - .offset:         28
        .size:           4
        .value_kind:     hidden_block_count_y
      - .offset:         32
        .size:           4
        .value_kind:     hidden_block_count_z
      - .offset:         36
        .size:           2
        .value_kind:     hidden_group_size_x
      - .offset:         38
        .size:           2
        .value_kind:     hidden_group_size_y
      - .offset:         40
        .size:           2
        .value_kind:     hidden_group_size_z
      - .offset:         42
        .size:           2
        .value_kind:     hidden_remainder_x
      - .offset:         44
        .size:           2
        .value_kind:     hidden_remainder_y
      - .offset:         46
        .size:           2
        .value_kind:     hidden_remainder_z
      - .offset:         64
        .size:           8
        .value_kind:     hidden_global_offset_x
      - .offset:         72
        .size:           8
        .value_kind:     hidden_global_offset_y
      - .offset:         80
        .size:           8
        .value_kind:     hidden_global_offset_z
      - .offset:         88
        .size:           2
        .value_kind:     hidden_grid_dims
    .group_segment_fixed_size: 264
    .kernarg_segment_align: 8
    .kernarg_segment_size: 280
    .language:       OpenCL C
    .language_version:
      - 2
      - 0
    .max_flat_workgroup_size: 256
    .name:           _Z6kernelI14exclusive_scanILN6hipcub18BlockScanAlgorithmE1EEhLj256ELj8ELj100EEvPKT0_PS4_S4_
    .private_segment_fixed_size: 0
    .sgpr_count:     18
    .sgpr_spill_count: 0
    .symbol:         _Z6kernelI14exclusive_scanILN6hipcub18BlockScanAlgorithmE1EEhLj256ELj8ELj100EEvPKT0_PS4_S4_.kd
    .uniform_work_group_size: 1
    .uses_dynamic_stack: false
    .vgpr_count:     27
    .vgpr_spill_count: 0
    .wavefront_size: 32
    .workgroup_processor_mode: 1
  - .args:
      - .address_space:  global
        .offset:         0
        .size:           8
        .value_kind:     global_buffer
      - .address_space:  global
        .offset:         8
        .size:           8
        .value_kind:     global_buffer
      - .offset:         16
        .size:           1
        .value_kind:     by_value
      - .offset:         24
        .size:           4
        .value_kind:     hidden_block_count_x
      - .offset:         28
        .size:           4
        .value_kind:     hidden_block_count_y
      - .offset:         32
        .size:           4
        .value_kind:     hidden_block_count_z
      - .offset:         36
        .size:           2
        .value_kind:     hidden_group_size_x
      - .offset:         38
        .size:           2
        .value_kind:     hidden_group_size_y
      - .offset:         40
        .size:           2
        .value_kind:     hidden_group_size_z
      - .offset:         42
        .size:           2
        .value_kind:     hidden_remainder_x
      - .offset:         44
        .size:           2
        .value_kind:     hidden_remainder_y
      - .offset:         46
        .size:           2
        .value_kind:     hidden_remainder_z
      - .offset:         64
        .size:           8
        .value_kind:     hidden_global_offset_x
      - .offset:         72
        .size:           8
        .value_kind:     hidden_global_offset_y
      - .offset:         80
        .size:           8
        .value_kind:     hidden_global_offset_z
      - .offset:         88
        .size:           2
        .value_kind:     hidden_grid_dims
    .group_segment_fixed_size: 264
    .kernarg_segment_align: 8
    .kernarg_segment_size: 280
    .language:       OpenCL C
    .language_version:
      - 2
      - 0
    .max_flat_workgroup_size: 256
    .name:           _Z6kernelI14exclusive_scanILN6hipcub18BlockScanAlgorithmE1EEhLj256ELj11ELj100EEvPKT0_PS4_S4_
    .private_segment_fixed_size: 0
    .sgpr_count:     18
    .sgpr_spill_count: 0
    .symbol:         _Z6kernelI14exclusive_scanILN6hipcub18BlockScanAlgorithmE1EEhLj256ELj11ELj100EEvPKT0_PS4_S4_.kd
    .uniform_work_group_size: 1
    .uses_dynamic_stack: false
    .vgpr_count:     40
    .vgpr_spill_count: 0
    .wavefront_size: 32
    .workgroup_processor_mode: 1
  - .args:
      - .address_space:  global
        .offset:         0
        .size:           8
        .value_kind:     global_buffer
      - .address_space:  global
        .offset:         8
        .size:           8
        .value_kind:     global_buffer
      - .offset:         16
        .size:           1
        .value_kind:     by_value
      - .offset:         24
        .size:           4
        .value_kind:     hidden_block_count_x
      - .offset:         28
        .size:           4
        .value_kind:     hidden_block_count_y
      - .offset:         32
        .size:           4
        .value_kind:     hidden_block_count_z
      - .offset:         36
        .size:           2
        .value_kind:     hidden_group_size_x
      - .offset:         38
        .size:           2
        .value_kind:     hidden_group_size_y
      - .offset:         40
        .size:           2
        .value_kind:     hidden_group_size_z
      - .offset:         42
        .size:           2
        .value_kind:     hidden_remainder_x
      - .offset:         44
        .size:           2
        .value_kind:     hidden_remainder_y
      - .offset:         46
        .size:           2
        .value_kind:     hidden_remainder_z
      - .offset:         64
        .size:           8
        .value_kind:     hidden_global_offset_x
      - .offset:         72
        .size:           8
        .value_kind:     hidden_global_offset_y
      - .offset:         80
        .size:           8
        .value_kind:     hidden_global_offset_z
      - .offset:         88
        .size:           2
        .value_kind:     hidden_grid_dims
    .group_segment_fixed_size: 264
    .kernarg_segment_align: 8
    .kernarg_segment_size: 280
    .language:       OpenCL C
    .language_version:
      - 2
      - 0
    .max_flat_workgroup_size: 256
    .name:           _Z6kernelI14exclusive_scanILN6hipcub18BlockScanAlgorithmE1EEhLj256ELj16ELj100EEvPKT0_PS4_S4_
    .private_segment_fixed_size: 0
    .sgpr_count:     18
    .sgpr_spill_count: 0
    .symbol:         _Z6kernelI14exclusive_scanILN6hipcub18BlockScanAlgorithmE1EEhLj256ELj16ELj100EEvPKT0_PS4_S4_.kd
    .uniform_work_group_size: 1
    .uses_dynamic_stack: false
    .vgpr_count:     35
    .vgpr_spill_count: 0
    .wavefront_size: 32
    .workgroup_processor_mode: 1
  - .args:
      - .address_space:  global
        .offset:         0
        .size:           8
        .value_kind:     global_buffer
      - .address_space:  global
        .offset:         8
        .size:           8
        .value_kind:     global_buffer
      - .offset:         16
        .size:           8
        .value_kind:     by_value
      - .offset:         24
        .size:           4
        .value_kind:     hidden_block_count_x
      - .offset:         28
        .size:           4
        .value_kind:     hidden_block_count_y
      - .offset:         32
        .size:           4
        .value_kind:     hidden_block_count_z
      - .offset:         36
        .size:           2
        .value_kind:     hidden_group_size_x
      - .offset:         38
        .size:           2
        .value_kind:     hidden_group_size_y
      - .offset:         40
        .size:           2
        .value_kind:     hidden_group_size_z
      - .offset:         42
        .size:           2
        .value_kind:     hidden_remainder_x
      - .offset:         44
        .size:           2
        .value_kind:     hidden_remainder_y
      - .offset:         46
        .size:           2
        .value_kind:     hidden_remainder_z
      - .offset:         64
        .size:           8
        .value_kind:     hidden_global_offset_x
      - .offset:         72
        .size:           8
        .value_kind:     hidden_global_offset_y
      - .offset:         80
        .size:           8
        .value_kind:     hidden_global_offset_z
      - .offset:         88
        .size:           2
        .value_kind:     hidden_grid_dims
    .group_segment_fixed_size: 2112
    .kernarg_segment_align: 8
    .kernarg_segment_size: 280
    .language:       OpenCL C
    .language_version:
      - 2
      - 0
    .max_flat_workgroup_size: 256
    .name:           _Z6kernelI14exclusive_scanILN6hipcub18BlockScanAlgorithmE1EEN15benchmark_utils11custom_typeIffEELj256ELj1ELj100EEvPKT0_PS7_S7_
    .private_segment_fixed_size: 0
    .sgpr_count:     18
    .sgpr_spill_count: 0
    .symbol:         _Z6kernelI14exclusive_scanILN6hipcub18BlockScanAlgorithmE1EEN15benchmark_utils11custom_typeIffEELj256ELj1ELj100EEvPKT0_PS7_S7_.kd
    .uniform_work_group_size: 1
    .uses_dynamic_stack: false
    .vgpr_count:     32
    .vgpr_spill_count: 0
    .wavefront_size: 32
    .workgroup_processor_mode: 1
  - .args:
      - .address_space:  global
        .offset:         0
        .size:           8
        .value_kind:     global_buffer
      - .address_space:  global
        .offset:         8
        .size:           8
        .value_kind:     global_buffer
      - .offset:         16
        .size:           8
        .value_kind:     by_value
      - .offset:         24
        .size:           4
        .value_kind:     hidden_block_count_x
      - .offset:         28
        .size:           4
        .value_kind:     hidden_block_count_y
      - .offset:         32
        .size:           4
        .value_kind:     hidden_block_count_z
      - .offset:         36
        .size:           2
        .value_kind:     hidden_group_size_x
      - .offset:         38
        .size:           2
        .value_kind:     hidden_group_size_y
      - .offset:         40
        .size:           2
        .value_kind:     hidden_group_size_z
      - .offset:         42
        .size:           2
        .value_kind:     hidden_remainder_x
      - .offset:         44
        .size:           2
        .value_kind:     hidden_remainder_y
      - .offset:         46
        .size:           2
        .value_kind:     hidden_remainder_z
      - .offset:         64
        .size:           8
        .value_kind:     hidden_global_offset_x
      - .offset:         72
        .size:           8
        .value_kind:     hidden_global_offset_y
      - .offset:         80
        .size:           8
        .value_kind:     hidden_global_offset_z
      - .offset:         88
        .size:           2
        .value_kind:     hidden_grid_dims
    .group_segment_fixed_size: 2112
    .kernarg_segment_align: 8
    .kernarg_segment_size: 280
    .language:       OpenCL C
    .language_version:
      - 2
      - 0
    .max_flat_workgroup_size: 256
    .name:           _Z6kernelI14exclusive_scanILN6hipcub18BlockScanAlgorithmE1EEN15benchmark_utils11custom_typeIffEELj256ELj4ELj100EEvPKT0_PS7_S7_
    .private_segment_fixed_size: 0
    .sgpr_count:     18
    .sgpr_spill_count: 0
    .symbol:         _Z6kernelI14exclusive_scanILN6hipcub18BlockScanAlgorithmE1EEN15benchmark_utils11custom_typeIffEELj256ELj4ELj100EEvPKT0_PS7_S7_.kd
    .uniform_work_group_size: 1
    .uses_dynamic_stack: false
    .vgpr_count:     38
    .vgpr_spill_count: 0
    .wavefront_size: 32
    .workgroup_processor_mode: 1
  - .args:
      - .address_space:  global
        .offset:         0
        .size:           8
        .value_kind:     global_buffer
      - .address_space:  global
        .offset:         8
        .size:           8
        .value_kind:     global_buffer
      - .offset:         16
        .size:           8
        .value_kind:     by_value
      - .offset:         24
        .size:           4
        .value_kind:     hidden_block_count_x
      - .offset:         28
        .size:           4
        .value_kind:     hidden_block_count_y
      - .offset:         32
        .size:           4
        .value_kind:     hidden_block_count_z
      - .offset:         36
        .size:           2
        .value_kind:     hidden_group_size_x
      - .offset:         38
        .size:           2
        .value_kind:     hidden_group_size_y
      - .offset:         40
        .size:           2
        .value_kind:     hidden_group_size_z
      - .offset:         42
        .size:           2
        .value_kind:     hidden_remainder_x
      - .offset:         44
        .size:           2
        .value_kind:     hidden_remainder_y
      - .offset:         46
        .size:           2
        .value_kind:     hidden_remainder_z
      - .offset:         64
        .size:           8
        .value_kind:     hidden_global_offset_x
      - .offset:         72
        .size:           8
        .value_kind:     hidden_global_offset_y
      - .offset:         80
        .size:           8
        .value_kind:     hidden_global_offset_z
      - .offset:         88
        .size:           2
        .value_kind:     hidden_grid_dims
    .group_segment_fixed_size: 2112
    .kernarg_segment_align: 8
    .kernarg_segment_size: 280
    .language:       OpenCL C
    .language_version:
      - 2
      - 0
    .max_flat_workgroup_size: 256
    .name:           _Z6kernelI14exclusive_scanILN6hipcub18BlockScanAlgorithmE1EEN15benchmark_utils11custom_typeIffEELj256ELj8ELj100EEvPKT0_PS7_S7_
    .private_segment_fixed_size: 0
    .sgpr_count:     18
    .sgpr_spill_count: 0
    .symbol:         _Z6kernelI14exclusive_scanILN6hipcub18BlockScanAlgorithmE1EEN15benchmark_utils11custom_typeIffEELj256ELj8ELj100EEvPKT0_PS7_S7_.kd
    .uniform_work_group_size: 1
    .uses_dynamic_stack: false
    .vgpr_count:     45
    .vgpr_spill_count: 0
    .wavefront_size: 32
    .workgroup_processor_mode: 1
  - .args:
      - .address_space:  global
        .offset:         0
        .size:           8
        .value_kind:     global_buffer
      - .address_space:  global
        .offset:         8
        .size:           8
        .value_kind:     global_buffer
      - .offset:         16
        .size:           16
        .value_kind:     by_value
      - .offset:         32
        .size:           4
        .value_kind:     hidden_block_count_x
      - .offset:         36
        .size:           4
        .value_kind:     hidden_block_count_y
      - .offset:         40
        .size:           4
        .value_kind:     hidden_block_count_z
      - .offset:         44
        .size:           2
        .value_kind:     hidden_group_size_x
      - .offset:         46
        .size:           2
        .value_kind:     hidden_group_size_y
      - .offset:         48
        .size:           2
        .value_kind:     hidden_group_size_z
      - .offset:         50
        .size:           2
        .value_kind:     hidden_remainder_x
      - .offset:         52
        .size:           2
        .value_kind:     hidden_remainder_y
      - .offset:         54
        .size:           2
        .value_kind:     hidden_remainder_z
      - .offset:         72
        .size:           8
        .value_kind:     hidden_global_offset_x
      - .offset:         80
        .size:           8
        .value_kind:     hidden_global_offset_y
      - .offset:         88
        .size:           8
        .value_kind:     hidden_global_offset_z
      - .offset:         96
        .size:           2
        .value_kind:     hidden_grid_dims
    .group_segment_fixed_size: 4224
    .kernarg_segment_align: 8
    .kernarg_segment_size: 288
    .language:       OpenCL C
    .language_version:
      - 2
      - 0
    .max_flat_workgroup_size: 256
    .name:           _Z6kernelI14exclusive_scanILN6hipcub18BlockScanAlgorithmE1EEN15benchmark_utils11custom_typeIddEELj256ELj1ELj100EEvPKT0_PS7_S7_
    .private_segment_fixed_size: 0
    .sgpr_count:     18
    .sgpr_spill_count: 0
    .symbol:         _Z6kernelI14exclusive_scanILN6hipcub18BlockScanAlgorithmE1EEN15benchmark_utils11custom_typeIddEELj256ELj1ELj100EEvPKT0_PS7_S7_.kd
    .uniform_work_group_size: 1
    .uses_dynamic_stack: false
    .vgpr_count:     52
    .vgpr_spill_count: 0
    .wavefront_size: 32
    .workgroup_processor_mode: 1
  - .args:
      - .address_space:  global
        .offset:         0
        .size:           8
        .value_kind:     global_buffer
      - .address_space:  global
        .offset:         8
        .size:           8
        .value_kind:     global_buffer
      - .offset:         16
        .size:           16
        .value_kind:     by_value
      - .offset:         32
        .size:           4
        .value_kind:     hidden_block_count_x
      - .offset:         36
        .size:           4
        .value_kind:     hidden_block_count_y
      - .offset:         40
        .size:           4
        .value_kind:     hidden_block_count_z
      - .offset:         44
        .size:           2
        .value_kind:     hidden_group_size_x
      - .offset:         46
        .size:           2
        .value_kind:     hidden_group_size_y
      - .offset:         48
        .size:           2
        .value_kind:     hidden_group_size_z
      - .offset:         50
        .size:           2
        .value_kind:     hidden_remainder_x
      - .offset:         52
        .size:           2
        .value_kind:     hidden_remainder_y
      - .offset:         54
        .size:           2
        .value_kind:     hidden_remainder_z
      - .offset:         72
        .size:           8
        .value_kind:     hidden_global_offset_x
      - .offset:         80
        .size:           8
        .value_kind:     hidden_global_offset_y
      - .offset:         88
        .size:           8
        .value_kind:     hidden_global_offset_z
      - .offset:         96
        .size:           2
        .value_kind:     hidden_grid_dims
    .group_segment_fixed_size: 4224
    .kernarg_segment_align: 8
    .kernarg_segment_size: 288
    .language:       OpenCL C
    .language_version:
      - 2
      - 0
    .max_flat_workgroup_size: 256
    .name:           _Z6kernelI14exclusive_scanILN6hipcub18BlockScanAlgorithmE1EEN15benchmark_utils11custom_typeIddEELj256ELj4ELj100EEvPKT0_PS7_S7_
    .private_segment_fixed_size: 0
    .sgpr_count:     18
    .sgpr_spill_count: 0
    .symbol:         _Z6kernelI14exclusive_scanILN6hipcub18BlockScanAlgorithmE1EEN15benchmark_utils11custom_typeIddEELj256ELj4ELj100EEvPKT0_PS7_S7_.kd
    .uniform_work_group_size: 1
    .uses_dynamic_stack: false
    .vgpr_count:     64
    .vgpr_spill_count: 0
    .wavefront_size: 32
    .workgroup_processor_mode: 1
  - .args:
      - .address_space:  global
        .offset:         0
        .size:           8
        .value_kind:     global_buffer
      - .address_space:  global
        .offset:         8
        .size:           8
        .value_kind:     global_buffer
      - .offset:         16
        .size:           16
        .value_kind:     by_value
      - .offset:         32
        .size:           4
        .value_kind:     hidden_block_count_x
      - .offset:         36
        .size:           4
        .value_kind:     hidden_block_count_y
      - .offset:         40
        .size:           4
        .value_kind:     hidden_block_count_z
      - .offset:         44
        .size:           2
        .value_kind:     hidden_group_size_x
      - .offset:         46
        .size:           2
        .value_kind:     hidden_group_size_y
      - .offset:         48
        .size:           2
        .value_kind:     hidden_group_size_z
      - .offset:         50
        .size:           2
        .value_kind:     hidden_remainder_x
      - .offset:         52
        .size:           2
        .value_kind:     hidden_remainder_y
      - .offset:         54
        .size:           2
        .value_kind:     hidden_remainder_z
      - .offset:         72
        .size:           8
        .value_kind:     hidden_global_offset_x
      - .offset:         80
        .size:           8
        .value_kind:     hidden_global_offset_y
      - .offset:         88
        .size:           8
        .value_kind:     hidden_global_offset_z
      - .offset:         96
        .size:           2
        .value_kind:     hidden_grid_dims
    .group_segment_fixed_size: 4224
    .kernarg_segment_align: 8
    .kernarg_segment_size: 288
    .language:       OpenCL C
    .language_version:
      - 2
      - 0
    .max_flat_workgroup_size: 256
    .name:           _Z6kernelI14exclusive_scanILN6hipcub18BlockScanAlgorithmE1EEN15benchmark_utils11custom_typeIddEELj256ELj8ELj100EEvPKT0_PS7_S7_
    .private_segment_fixed_size: 0
    .sgpr_count:     18
    .sgpr_spill_count: 0
    .symbol:         _Z6kernelI14exclusive_scanILN6hipcub18BlockScanAlgorithmE1EEN15benchmark_utils11custom_typeIddEELj256ELj8ELj100EEvPKT0_PS7_S7_.kd
    .uniform_work_group_size: 1
    .uses_dynamic_stack: false
    .vgpr_count:     79
    .vgpr_spill_count: 0
    .wavefront_size: 32
    .workgroup_processor_mode: 1
  - .args:
      - .address_space:  global
        .offset:         0
        .size:           8
        .value_kind:     global_buffer
      - .address_space:  global
        .offset:         8
        .size:           8
        .value_kind:     global_buffer
      - .offset:         16
        .size:           4
        .value_kind:     by_value
      - .offset:         24
        .size:           4
        .value_kind:     hidden_block_count_x
      - .offset:         28
        .size:           4
        .value_kind:     hidden_block_count_y
      - .offset:         32
        .size:           4
        .value_kind:     hidden_block_count_z
      - .offset:         36
        .size:           2
        .value_kind:     hidden_group_size_x
      - .offset:         38
        .size:           2
        .value_kind:     hidden_group_size_y
      - .offset:         40
        .size:           2
        .value_kind:     hidden_group_size_z
      - .offset:         42
        .size:           2
        .value_kind:     hidden_remainder_x
      - .offset:         44
        .size:           2
        .value_kind:     hidden_remainder_y
      - .offset:         46
        .size:           2
        .value_kind:     hidden_remainder_z
      - .offset:         64
        .size:           8
        .value_kind:     hidden_global_offset_x
      - .offset:         72
        .size:           8
        .value_kind:     hidden_global_offset_y
      - .offset:         80
        .size:           8
        .value_kind:     hidden_global_offset_z
      - .offset:         88
        .size:           2
        .value_kind:     hidden_grid_dims
    .group_segment_fixed_size: 8
    .kernarg_segment_align: 8
    .kernarg_segment_size: 280
    .language:       OpenCL C
    .language_version:
      - 2
      - 0
    .max_flat_workgroup_size: 64
    .name:           _Z6kernelI14exclusive_scanILN6hipcub18BlockScanAlgorithmE0EEiLj64ELj1ELj100EEvPKT0_PS4_S4_
    .private_segment_fixed_size: 0
    .sgpr_count:     18
    .sgpr_spill_count: 0
    .symbol:         _Z6kernelI14exclusive_scanILN6hipcub18BlockScanAlgorithmE0EEiLj64ELj1ELj100EEvPKT0_PS4_S4_.kd
    .uniform_work_group_size: 1
    .uses_dynamic_stack: false
    .vgpr_count:     9
    .vgpr_spill_count: 0
    .wavefront_size: 32
    .workgroup_processor_mode: 1
  - .args:
      - .address_space:  global
        .offset:         0
        .size:           8
        .value_kind:     global_buffer
      - .address_space:  global
        .offset:         8
        .size:           8
        .value_kind:     global_buffer
      - .offset:         16
        .size:           4
        .value_kind:     by_value
      - .offset:         24
        .size:           4
        .value_kind:     hidden_block_count_x
      - .offset:         28
        .size:           4
        .value_kind:     hidden_block_count_y
      - .offset:         32
        .size:           4
        .value_kind:     hidden_block_count_z
      - .offset:         36
        .size:           2
        .value_kind:     hidden_group_size_x
      - .offset:         38
        .size:           2
        .value_kind:     hidden_group_size_y
      - .offset:         40
        .size:           2
        .value_kind:     hidden_group_size_z
      - .offset:         42
        .size:           2
        .value_kind:     hidden_remainder_x
      - .offset:         44
        .size:           2
        .value_kind:     hidden_remainder_y
      - .offset:         46
        .size:           2
        .value_kind:     hidden_remainder_z
      - .offset:         64
        .size:           8
        .value_kind:     hidden_global_offset_x
      - .offset:         72
        .size:           8
        .value_kind:     hidden_global_offset_y
      - .offset:         80
        .size:           8
        .value_kind:     hidden_global_offset_z
      - .offset:         88
        .size:           2
        .value_kind:     hidden_grid_dims
    .group_segment_fixed_size: 8
    .kernarg_segment_align: 8
    .kernarg_segment_size: 280
    .language:       OpenCL C
    .language_version:
      - 2
      - 0
    .max_flat_workgroup_size: 64
    .name:           _Z6kernelI14exclusive_scanILN6hipcub18BlockScanAlgorithmE0EEiLj64ELj3ELj100EEvPKT0_PS4_S4_
    .private_segment_fixed_size: 0
    .sgpr_count:     18
    .sgpr_spill_count: 0
    .symbol:         _Z6kernelI14exclusive_scanILN6hipcub18BlockScanAlgorithmE0EEiLj64ELj3ELj100EEvPKT0_PS4_S4_.kd
    .uniform_work_group_size: 1
    .uses_dynamic_stack: false
    .vgpr_count:     15
    .vgpr_spill_count: 0
    .wavefront_size: 32
    .workgroup_processor_mode: 1
  - .args:
      - .address_space:  global
        .offset:         0
        .size:           8
        .value_kind:     global_buffer
      - .address_space:  global
        .offset:         8
        .size:           8
        .value_kind:     global_buffer
      - .offset:         16
        .size:           4
        .value_kind:     by_value
      - .offset:         24
        .size:           4
        .value_kind:     hidden_block_count_x
      - .offset:         28
        .size:           4
        .value_kind:     hidden_block_count_y
      - .offset:         32
        .size:           4
        .value_kind:     hidden_block_count_z
      - .offset:         36
        .size:           2
        .value_kind:     hidden_group_size_x
      - .offset:         38
        .size:           2
        .value_kind:     hidden_group_size_y
      - .offset:         40
        .size:           2
        .value_kind:     hidden_group_size_z
      - .offset:         42
        .size:           2
        .value_kind:     hidden_remainder_x
      - .offset:         44
        .size:           2
        .value_kind:     hidden_remainder_y
      - .offset:         46
        .size:           2
        .value_kind:     hidden_remainder_z
      - .offset:         64
        .size:           8
        .value_kind:     hidden_global_offset_x
      - .offset:         72
        .size:           8
        .value_kind:     hidden_global_offset_y
      - .offset:         80
        .size:           8
        .value_kind:     hidden_global_offset_z
      - .offset:         88
        .size:           2
        .value_kind:     hidden_grid_dims
    .group_segment_fixed_size: 8
    .kernarg_segment_align: 8
    .kernarg_segment_size: 280
    .language:       OpenCL C
    .language_version:
      - 2
      - 0
    .max_flat_workgroup_size: 64
    .name:           _Z6kernelI14exclusive_scanILN6hipcub18BlockScanAlgorithmE0EEiLj64ELj4ELj100EEvPKT0_PS4_S4_
    .private_segment_fixed_size: 0
    .sgpr_count:     18
    .sgpr_spill_count: 0
    .symbol:         _Z6kernelI14exclusive_scanILN6hipcub18BlockScanAlgorithmE0EEiLj64ELj4ELj100EEvPKT0_PS4_S4_.kd
    .uniform_work_group_size: 1
    .uses_dynamic_stack: false
    .vgpr_count:     13
    .vgpr_spill_count: 0
    .wavefront_size: 32
    .workgroup_processor_mode: 1
  - .args:
      - .address_space:  global
        .offset:         0
        .size:           8
        .value_kind:     global_buffer
      - .address_space:  global
        .offset:         8
        .size:           8
        .value_kind:     global_buffer
      - .offset:         16
        .size:           4
        .value_kind:     by_value
      - .offset:         24
        .size:           4
        .value_kind:     hidden_block_count_x
      - .offset:         28
        .size:           4
        .value_kind:     hidden_block_count_y
      - .offset:         32
        .size:           4
        .value_kind:     hidden_block_count_z
      - .offset:         36
        .size:           2
        .value_kind:     hidden_group_size_x
      - .offset:         38
        .size:           2
        .value_kind:     hidden_group_size_y
      - .offset:         40
        .size:           2
        .value_kind:     hidden_group_size_z
      - .offset:         42
        .size:           2
        .value_kind:     hidden_remainder_x
      - .offset:         44
        .size:           2
        .value_kind:     hidden_remainder_y
      - .offset:         46
        .size:           2
        .value_kind:     hidden_remainder_z
      - .offset:         64
        .size:           8
        .value_kind:     hidden_global_offset_x
      - .offset:         72
        .size:           8
        .value_kind:     hidden_global_offset_y
      - .offset:         80
        .size:           8
        .value_kind:     hidden_global_offset_z
      - .offset:         88
        .size:           2
        .value_kind:     hidden_grid_dims
    .group_segment_fixed_size: 8
    .kernarg_segment_align: 8
    .kernarg_segment_size: 280
    .language:       OpenCL C
    .language_version:
      - 2
      - 0
    .max_flat_workgroup_size: 64
    .name:           _Z6kernelI14exclusive_scanILN6hipcub18BlockScanAlgorithmE0EEiLj64ELj8ELj100EEvPKT0_PS4_S4_
    .private_segment_fixed_size: 0
    .sgpr_count:     18
    .sgpr_spill_count: 0
    .symbol:         _Z6kernelI14exclusive_scanILN6hipcub18BlockScanAlgorithmE0EEiLj64ELj8ELj100EEvPKT0_PS4_S4_.kd
    .uniform_work_group_size: 1
    .uses_dynamic_stack: false
    .vgpr_count:     21
    .vgpr_spill_count: 0
    .wavefront_size: 32
    .workgroup_processor_mode: 1
  - .args:
      - .address_space:  global
        .offset:         0
        .size:           8
        .value_kind:     global_buffer
      - .address_space:  global
        .offset:         8
        .size:           8
        .value_kind:     global_buffer
      - .offset:         16
        .size:           4
        .value_kind:     by_value
      - .offset:         24
        .size:           4
        .value_kind:     hidden_block_count_x
      - .offset:         28
        .size:           4
        .value_kind:     hidden_block_count_y
      - .offset:         32
        .size:           4
        .value_kind:     hidden_block_count_z
      - .offset:         36
        .size:           2
        .value_kind:     hidden_group_size_x
      - .offset:         38
        .size:           2
        .value_kind:     hidden_group_size_y
      - .offset:         40
        .size:           2
        .value_kind:     hidden_group_size_z
      - .offset:         42
        .size:           2
        .value_kind:     hidden_remainder_x
      - .offset:         44
        .size:           2
        .value_kind:     hidden_remainder_y
      - .offset:         46
        .size:           2
        .value_kind:     hidden_remainder_z
      - .offset:         64
        .size:           8
        .value_kind:     hidden_global_offset_x
      - .offset:         72
        .size:           8
        .value_kind:     hidden_global_offset_y
      - .offset:         80
        .size:           8
        .value_kind:     hidden_global_offset_z
      - .offset:         88
        .size:           2
        .value_kind:     hidden_grid_dims
    .group_segment_fixed_size: 8
    .kernarg_segment_align: 8
    .kernarg_segment_size: 280
    .language:       OpenCL C
    .language_version:
      - 2
      - 0
    .max_flat_workgroup_size: 64
    .name:           _Z6kernelI14exclusive_scanILN6hipcub18BlockScanAlgorithmE0EEiLj64ELj11ELj100EEvPKT0_PS4_S4_
    .private_segment_fixed_size: 0
    .sgpr_count:     18
    .sgpr_spill_count: 0
    .symbol:         _Z6kernelI14exclusive_scanILN6hipcub18BlockScanAlgorithmE0EEiLj64ELj11ELj100EEvPKT0_PS4_S4_.kd
    .uniform_work_group_size: 1
    .uses_dynamic_stack: false
    .vgpr_count:     47
    .vgpr_spill_count: 0
    .wavefront_size: 32
    .workgroup_processor_mode: 1
  - .args:
      - .address_space:  global
        .offset:         0
        .size:           8
        .value_kind:     global_buffer
      - .address_space:  global
        .offset:         8
        .size:           8
        .value_kind:     global_buffer
      - .offset:         16
        .size:           4
        .value_kind:     by_value
      - .offset:         24
        .size:           4
        .value_kind:     hidden_block_count_x
      - .offset:         28
        .size:           4
        .value_kind:     hidden_block_count_y
      - .offset:         32
        .size:           4
        .value_kind:     hidden_block_count_z
      - .offset:         36
        .size:           2
        .value_kind:     hidden_group_size_x
      - .offset:         38
        .size:           2
        .value_kind:     hidden_group_size_y
      - .offset:         40
        .size:           2
        .value_kind:     hidden_group_size_z
      - .offset:         42
        .size:           2
        .value_kind:     hidden_remainder_x
      - .offset:         44
        .size:           2
        .value_kind:     hidden_remainder_y
      - .offset:         46
        .size:           2
        .value_kind:     hidden_remainder_z
      - .offset:         64
        .size:           8
        .value_kind:     hidden_global_offset_x
      - .offset:         72
        .size:           8
        .value_kind:     hidden_global_offset_y
      - .offset:         80
        .size:           8
        .value_kind:     hidden_global_offset_z
      - .offset:         88
        .size:           2
        .value_kind:     hidden_grid_dims
    .group_segment_fixed_size: 8
    .kernarg_segment_align: 8
    .kernarg_segment_size: 280
    .language:       OpenCL C
    .language_version:
      - 2
      - 0
    .max_flat_workgroup_size: 64
    .name:           _Z6kernelI14exclusive_scanILN6hipcub18BlockScanAlgorithmE0EEiLj64ELj16ELj100EEvPKT0_PS4_S4_
    .private_segment_fixed_size: 0
    .sgpr_count:     18
    .sgpr_spill_count: 0
    .symbol:         _Z6kernelI14exclusive_scanILN6hipcub18BlockScanAlgorithmE0EEiLj64ELj16ELj100EEvPKT0_PS4_S4_.kd
    .uniform_work_group_size: 1
    .uses_dynamic_stack: false
    .vgpr_count:     27
    .vgpr_spill_count: 0
    .wavefront_size: 32
    .workgroup_processor_mode: 1
  - .args:
      - .address_space:  global
        .offset:         0
        .size:           8
        .value_kind:     global_buffer
      - .address_space:  global
        .offset:         8
        .size:           8
        .value_kind:     global_buffer
      - .offset:         16
        .size:           4
        .value_kind:     by_value
      - .offset:         24
        .size:           4
        .value_kind:     hidden_block_count_x
      - .offset:         28
        .size:           4
        .value_kind:     hidden_block_count_y
      - .offset:         32
        .size:           4
        .value_kind:     hidden_block_count_z
      - .offset:         36
        .size:           2
        .value_kind:     hidden_group_size_x
      - .offset:         38
        .size:           2
        .value_kind:     hidden_group_size_y
      - .offset:         40
        .size:           2
        .value_kind:     hidden_group_size_z
      - .offset:         42
        .size:           2
        .value_kind:     hidden_remainder_x
      - .offset:         44
        .size:           2
        .value_kind:     hidden_remainder_y
      - .offset:         46
        .size:           2
        .value_kind:     hidden_remainder_z
      - .offset:         64
        .size:           8
        .value_kind:     hidden_global_offset_x
      - .offset:         72
        .size:           8
        .value_kind:     hidden_global_offset_y
      - .offset:         80
        .size:           8
        .value_kind:     hidden_global_offset_z
      - .offset:         88
        .size:           2
        .value_kind:     hidden_grid_dims
    .group_segment_fixed_size: 8
    .kernarg_segment_align: 8
    .kernarg_segment_size: 280
    .language:       OpenCL C
    .language_version:
      - 2
      - 0
    .max_flat_workgroup_size: 64
    .name:           _Z6kernelI14exclusive_scanILN6hipcub18BlockScanAlgorithmE0EEfLj64ELj1ELj100EEvPKT0_PS4_S4_
    .private_segment_fixed_size: 0
    .sgpr_count:     18
    .sgpr_spill_count: 0
    .symbol:         _Z6kernelI14exclusive_scanILN6hipcub18BlockScanAlgorithmE0EEfLj64ELj1ELj100EEvPKT0_PS4_S4_.kd
    .uniform_work_group_size: 1
    .uses_dynamic_stack: false
    .vgpr_count:     9
    .vgpr_spill_count: 0
    .wavefront_size: 32
    .workgroup_processor_mode: 1
  - .args:
      - .address_space:  global
        .offset:         0
        .size:           8
        .value_kind:     global_buffer
      - .address_space:  global
        .offset:         8
        .size:           8
        .value_kind:     global_buffer
      - .offset:         16
        .size:           4
        .value_kind:     by_value
      - .offset:         24
        .size:           4
        .value_kind:     hidden_block_count_x
      - .offset:         28
        .size:           4
        .value_kind:     hidden_block_count_y
      - .offset:         32
        .size:           4
        .value_kind:     hidden_block_count_z
      - .offset:         36
        .size:           2
        .value_kind:     hidden_group_size_x
      - .offset:         38
        .size:           2
        .value_kind:     hidden_group_size_y
      - .offset:         40
        .size:           2
        .value_kind:     hidden_group_size_z
      - .offset:         42
        .size:           2
        .value_kind:     hidden_remainder_x
      - .offset:         44
        .size:           2
        .value_kind:     hidden_remainder_y
      - .offset:         46
        .size:           2
        .value_kind:     hidden_remainder_z
      - .offset:         64
        .size:           8
        .value_kind:     hidden_global_offset_x
      - .offset:         72
        .size:           8
        .value_kind:     hidden_global_offset_y
      - .offset:         80
        .size:           8
        .value_kind:     hidden_global_offset_z
      - .offset:         88
        .size:           2
        .value_kind:     hidden_grid_dims
    .group_segment_fixed_size: 8
    .kernarg_segment_align: 8
    .kernarg_segment_size: 280
    .language:       OpenCL C
    .language_version:
      - 2
      - 0
    .max_flat_workgroup_size: 64
    .name:           _Z6kernelI14exclusive_scanILN6hipcub18BlockScanAlgorithmE0EEfLj64ELj3ELj100EEvPKT0_PS4_S4_
    .private_segment_fixed_size: 0
    .sgpr_count:     18
    .sgpr_spill_count: 0
    .symbol:         _Z6kernelI14exclusive_scanILN6hipcub18BlockScanAlgorithmE0EEfLj64ELj3ELj100EEvPKT0_PS4_S4_.kd
    .uniform_work_group_size: 1
    .uses_dynamic_stack: false
    .vgpr_count:     15
    .vgpr_spill_count: 0
    .wavefront_size: 32
    .workgroup_processor_mode: 1
  - .args:
      - .address_space:  global
        .offset:         0
        .size:           8
        .value_kind:     global_buffer
      - .address_space:  global
        .offset:         8
        .size:           8
        .value_kind:     global_buffer
      - .offset:         16
        .size:           4
        .value_kind:     by_value
      - .offset:         24
        .size:           4
        .value_kind:     hidden_block_count_x
      - .offset:         28
        .size:           4
        .value_kind:     hidden_block_count_y
      - .offset:         32
        .size:           4
        .value_kind:     hidden_block_count_z
      - .offset:         36
        .size:           2
        .value_kind:     hidden_group_size_x
      - .offset:         38
        .size:           2
        .value_kind:     hidden_group_size_y
      - .offset:         40
        .size:           2
        .value_kind:     hidden_group_size_z
      - .offset:         42
        .size:           2
        .value_kind:     hidden_remainder_x
      - .offset:         44
        .size:           2
        .value_kind:     hidden_remainder_y
      - .offset:         46
        .size:           2
        .value_kind:     hidden_remainder_z
      - .offset:         64
        .size:           8
        .value_kind:     hidden_global_offset_x
      - .offset:         72
        .size:           8
        .value_kind:     hidden_global_offset_y
      - .offset:         80
        .size:           8
        .value_kind:     hidden_global_offset_z
      - .offset:         88
        .size:           2
        .value_kind:     hidden_grid_dims
    .group_segment_fixed_size: 8
    .kernarg_segment_align: 8
    .kernarg_segment_size: 280
    .language:       OpenCL C
    .language_version:
      - 2
      - 0
    .max_flat_workgroup_size: 64
    .name:           _Z6kernelI14exclusive_scanILN6hipcub18BlockScanAlgorithmE0EEfLj64ELj4ELj100EEvPKT0_PS4_S4_
    .private_segment_fixed_size: 0
    .sgpr_count:     18
    .sgpr_spill_count: 0
    .symbol:         _Z6kernelI14exclusive_scanILN6hipcub18BlockScanAlgorithmE0EEfLj64ELj4ELj100EEvPKT0_PS4_S4_.kd
    .uniform_work_group_size: 1
    .uses_dynamic_stack: false
    .vgpr_count:     13
    .vgpr_spill_count: 0
    .wavefront_size: 32
    .workgroup_processor_mode: 1
  - .args:
      - .address_space:  global
        .offset:         0
        .size:           8
        .value_kind:     global_buffer
      - .address_space:  global
        .offset:         8
        .size:           8
        .value_kind:     global_buffer
      - .offset:         16
        .size:           4
        .value_kind:     by_value
      - .offset:         24
        .size:           4
        .value_kind:     hidden_block_count_x
      - .offset:         28
        .size:           4
        .value_kind:     hidden_block_count_y
      - .offset:         32
        .size:           4
        .value_kind:     hidden_block_count_z
      - .offset:         36
        .size:           2
        .value_kind:     hidden_group_size_x
      - .offset:         38
        .size:           2
        .value_kind:     hidden_group_size_y
      - .offset:         40
        .size:           2
        .value_kind:     hidden_group_size_z
      - .offset:         42
        .size:           2
        .value_kind:     hidden_remainder_x
      - .offset:         44
        .size:           2
        .value_kind:     hidden_remainder_y
      - .offset:         46
        .size:           2
        .value_kind:     hidden_remainder_z
      - .offset:         64
        .size:           8
        .value_kind:     hidden_global_offset_x
      - .offset:         72
        .size:           8
        .value_kind:     hidden_global_offset_y
      - .offset:         80
        .size:           8
        .value_kind:     hidden_global_offset_z
      - .offset:         88
        .size:           2
        .value_kind:     hidden_grid_dims
    .group_segment_fixed_size: 8
    .kernarg_segment_align: 8
    .kernarg_segment_size: 280
    .language:       OpenCL C
    .language_version:
      - 2
      - 0
    .max_flat_workgroup_size: 64
    .name:           _Z6kernelI14exclusive_scanILN6hipcub18BlockScanAlgorithmE0EEfLj64ELj8ELj100EEvPKT0_PS4_S4_
    .private_segment_fixed_size: 0
    .sgpr_count:     18
    .sgpr_spill_count: 0
    .symbol:         _Z6kernelI14exclusive_scanILN6hipcub18BlockScanAlgorithmE0EEfLj64ELj8ELj100EEvPKT0_PS4_S4_.kd
    .uniform_work_group_size: 1
    .uses_dynamic_stack: false
    .vgpr_count:     21
    .vgpr_spill_count: 0
    .wavefront_size: 32
    .workgroup_processor_mode: 1
  - .args:
      - .address_space:  global
        .offset:         0
        .size:           8
        .value_kind:     global_buffer
      - .address_space:  global
        .offset:         8
        .size:           8
        .value_kind:     global_buffer
      - .offset:         16
        .size:           4
        .value_kind:     by_value
      - .offset:         24
        .size:           4
        .value_kind:     hidden_block_count_x
      - .offset:         28
        .size:           4
        .value_kind:     hidden_block_count_y
      - .offset:         32
        .size:           4
        .value_kind:     hidden_block_count_z
      - .offset:         36
        .size:           2
        .value_kind:     hidden_group_size_x
      - .offset:         38
        .size:           2
        .value_kind:     hidden_group_size_y
      - .offset:         40
        .size:           2
        .value_kind:     hidden_group_size_z
      - .offset:         42
        .size:           2
        .value_kind:     hidden_remainder_x
      - .offset:         44
        .size:           2
        .value_kind:     hidden_remainder_y
      - .offset:         46
        .size:           2
        .value_kind:     hidden_remainder_z
      - .offset:         64
        .size:           8
        .value_kind:     hidden_global_offset_x
      - .offset:         72
        .size:           8
        .value_kind:     hidden_global_offset_y
      - .offset:         80
        .size:           8
        .value_kind:     hidden_global_offset_z
      - .offset:         88
        .size:           2
        .value_kind:     hidden_grid_dims
    .group_segment_fixed_size: 8
    .kernarg_segment_align: 8
    .kernarg_segment_size: 280
    .language:       OpenCL C
    .language_version:
      - 2
      - 0
    .max_flat_workgroup_size: 64
    .name:           _Z6kernelI14exclusive_scanILN6hipcub18BlockScanAlgorithmE0EEfLj64ELj11ELj100EEvPKT0_PS4_S4_
    .private_segment_fixed_size: 0
    .sgpr_count:     18
    .sgpr_spill_count: 0
    .symbol:         _Z6kernelI14exclusive_scanILN6hipcub18BlockScanAlgorithmE0EEfLj64ELj11ELj100EEvPKT0_PS4_S4_.kd
    .uniform_work_group_size: 1
    .uses_dynamic_stack: false
    .vgpr_count:     48
    .vgpr_spill_count: 0
    .wavefront_size: 32
    .workgroup_processor_mode: 1
  - .args:
      - .address_space:  global
        .offset:         0
        .size:           8
        .value_kind:     global_buffer
      - .address_space:  global
        .offset:         8
        .size:           8
        .value_kind:     global_buffer
      - .offset:         16
        .size:           4
        .value_kind:     by_value
      - .offset:         24
        .size:           4
        .value_kind:     hidden_block_count_x
      - .offset:         28
        .size:           4
        .value_kind:     hidden_block_count_y
      - .offset:         32
        .size:           4
        .value_kind:     hidden_block_count_z
      - .offset:         36
        .size:           2
        .value_kind:     hidden_group_size_x
      - .offset:         38
        .size:           2
        .value_kind:     hidden_group_size_y
      - .offset:         40
        .size:           2
        .value_kind:     hidden_group_size_z
      - .offset:         42
        .size:           2
        .value_kind:     hidden_remainder_x
      - .offset:         44
        .size:           2
        .value_kind:     hidden_remainder_y
      - .offset:         46
        .size:           2
        .value_kind:     hidden_remainder_z
      - .offset:         64
        .size:           8
        .value_kind:     hidden_global_offset_x
      - .offset:         72
        .size:           8
        .value_kind:     hidden_global_offset_y
      - .offset:         80
        .size:           8
        .value_kind:     hidden_global_offset_z
      - .offset:         88
        .size:           2
        .value_kind:     hidden_grid_dims
    .group_segment_fixed_size: 8
    .kernarg_segment_align: 8
    .kernarg_segment_size: 280
    .language:       OpenCL C
    .language_version:
      - 2
      - 0
    .max_flat_workgroup_size: 64
    .name:           _Z6kernelI14exclusive_scanILN6hipcub18BlockScanAlgorithmE0EEfLj64ELj16ELj100EEvPKT0_PS4_S4_
    .private_segment_fixed_size: 0
    .sgpr_count:     18
    .sgpr_spill_count: 0
    .symbol:         _Z6kernelI14exclusive_scanILN6hipcub18BlockScanAlgorithmE0EEfLj64ELj16ELj100EEvPKT0_PS4_S4_.kd
    .uniform_work_group_size: 1
    .uses_dynamic_stack: false
    .vgpr_count:     27
    .vgpr_spill_count: 0
    .wavefront_size: 32
    .workgroup_processor_mode: 1
  - .args:
      - .address_space:  global
        .offset:         0
        .size:           8
        .value_kind:     global_buffer
      - .address_space:  global
        .offset:         8
        .size:           8
        .value_kind:     global_buffer
      - .offset:         16
        .size:           8
        .value_kind:     by_value
      - .offset:         24
        .size:           4
        .value_kind:     hidden_block_count_x
      - .offset:         28
        .size:           4
        .value_kind:     hidden_block_count_y
      - .offset:         32
        .size:           4
        .value_kind:     hidden_block_count_z
      - .offset:         36
        .size:           2
        .value_kind:     hidden_group_size_x
      - .offset:         38
        .size:           2
        .value_kind:     hidden_group_size_y
      - .offset:         40
        .size:           2
        .value_kind:     hidden_group_size_z
      - .offset:         42
        .size:           2
        .value_kind:     hidden_remainder_x
      - .offset:         44
        .size:           2
        .value_kind:     hidden_remainder_y
      - .offset:         46
        .size:           2
        .value_kind:     hidden_remainder_z
      - .offset:         64
        .size:           8
        .value_kind:     hidden_global_offset_x
      - .offset:         72
        .size:           8
        .value_kind:     hidden_global_offset_y
      - .offset:         80
        .size:           8
        .value_kind:     hidden_global_offset_z
      - .offset:         88
        .size:           2
        .value_kind:     hidden_grid_dims
    .group_segment_fixed_size: 16
    .kernarg_segment_align: 8
    .kernarg_segment_size: 280
    .language:       OpenCL C
    .language_version:
      - 2
      - 0
    .max_flat_workgroup_size: 64
    .name:           _Z6kernelI14exclusive_scanILN6hipcub18BlockScanAlgorithmE0EEdLj64ELj1ELj100EEvPKT0_PS4_S4_
    .private_segment_fixed_size: 0
    .sgpr_count:     18
    .sgpr_spill_count: 0
    .symbol:         _Z6kernelI14exclusive_scanILN6hipcub18BlockScanAlgorithmE0EEdLj64ELj1ELj100EEvPKT0_PS4_S4_.kd
    .uniform_work_group_size: 1
    .uses_dynamic_stack: false
    .vgpr_count:     12
    .vgpr_spill_count: 0
    .wavefront_size: 32
    .workgroup_processor_mode: 1
  - .args:
      - .address_space:  global
        .offset:         0
        .size:           8
        .value_kind:     global_buffer
      - .address_space:  global
        .offset:         8
        .size:           8
        .value_kind:     global_buffer
      - .offset:         16
        .size:           8
        .value_kind:     by_value
      - .offset:         24
        .size:           4
        .value_kind:     hidden_block_count_x
      - .offset:         28
        .size:           4
        .value_kind:     hidden_block_count_y
      - .offset:         32
        .size:           4
        .value_kind:     hidden_block_count_z
      - .offset:         36
        .size:           2
        .value_kind:     hidden_group_size_x
      - .offset:         38
        .size:           2
        .value_kind:     hidden_group_size_y
      - .offset:         40
        .size:           2
        .value_kind:     hidden_group_size_z
      - .offset:         42
        .size:           2
        .value_kind:     hidden_remainder_x
      - .offset:         44
        .size:           2
        .value_kind:     hidden_remainder_y
      - .offset:         46
        .size:           2
        .value_kind:     hidden_remainder_z
      - .offset:         64
        .size:           8
        .value_kind:     hidden_global_offset_x
      - .offset:         72
        .size:           8
        .value_kind:     hidden_global_offset_y
      - .offset:         80
        .size:           8
        .value_kind:     hidden_global_offset_z
      - .offset:         88
        .size:           2
        .value_kind:     hidden_grid_dims
    .group_segment_fixed_size: 16
    .kernarg_segment_align: 8
    .kernarg_segment_size: 280
    .language:       OpenCL C
    .language_version:
      - 2
      - 0
    .max_flat_workgroup_size: 64
    .name:           _Z6kernelI14exclusive_scanILN6hipcub18BlockScanAlgorithmE0EEdLj64ELj3ELj100EEvPKT0_PS4_S4_
    .private_segment_fixed_size: 0
    .sgpr_count:     19
    .sgpr_spill_count: 0
    .symbol:         _Z6kernelI14exclusive_scanILN6hipcub18BlockScanAlgorithmE0EEdLj64ELj3ELj100EEvPKT0_PS4_S4_.kd
    .uniform_work_group_size: 1
    .uses_dynamic_stack: false
    .vgpr_count:     20
    .vgpr_spill_count: 0
    .wavefront_size: 32
    .workgroup_processor_mode: 1
  - .args:
      - .address_space:  global
        .offset:         0
        .size:           8
        .value_kind:     global_buffer
      - .address_space:  global
        .offset:         8
        .size:           8
        .value_kind:     global_buffer
      - .offset:         16
        .size:           8
        .value_kind:     by_value
      - .offset:         24
        .size:           4
        .value_kind:     hidden_block_count_x
      - .offset:         28
        .size:           4
        .value_kind:     hidden_block_count_y
      - .offset:         32
        .size:           4
        .value_kind:     hidden_block_count_z
      - .offset:         36
        .size:           2
        .value_kind:     hidden_group_size_x
      - .offset:         38
        .size:           2
        .value_kind:     hidden_group_size_y
      - .offset:         40
        .size:           2
        .value_kind:     hidden_group_size_z
      - .offset:         42
        .size:           2
        .value_kind:     hidden_remainder_x
      - .offset:         44
        .size:           2
        .value_kind:     hidden_remainder_y
      - .offset:         46
        .size:           2
        .value_kind:     hidden_remainder_z
      - .offset:         64
        .size:           8
        .value_kind:     hidden_global_offset_x
      - .offset:         72
        .size:           8
        .value_kind:     hidden_global_offset_y
      - .offset:         80
        .size:           8
        .value_kind:     hidden_global_offset_z
      - .offset:         88
        .size:           2
        .value_kind:     hidden_grid_dims
    .group_segment_fixed_size: 16
    .kernarg_segment_align: 8
    .kernarg_segment_size: 280
    .language:       OpenCL C
    .language_version:
      - 2
      - 0
    .max_flat_workgroup_size: 64
    .name:           _Z6kernelI14exclusive_scanILN6hipcub18BlockScanAlgorithmE0EEdLj64ELj4ELj100EEvPKT0_PS4_S4_
    .private_segment_fixed_size: 0
    .sgpr_count:     19
    .sgpr_spill_count: 0
    .symbol:         _Z6kernelI14exclusive_scanILN6hipcub18BlockScanAlgorithmE0EEdLj64ELj4ELj100EEvPKT0_PS4_S4_.kd
    .uniform_work_group_size: 1
    .uses_dynamic_stack: false
    .vgpr_count:     20
    .vgpr_spill_count: 0
    .wavefront_size: 32
    .workgroup_processor_mode: 1
  - .args:
      - .address_space:  global
        .offset:         0
        .size:           8
        .value_kind:     global_buffer
      - .address_space:  global
        .offset:         8
        .size:           8
        .value_kind:     global_buffer
      - .offset:         16
        .size:           8
        .value_kind:     by_value
      - .offset:         24
        .size:           4
        .value_kind:     hidden_block_count_x
      - .offset:         28
        .size:           4
        .value_kind:     hidden_block_count_y
      - .offset:         32
        .size:           4
        .value_kind:     hidden_block_count_z
      - .offset:         36
        .size:           2
        .value_kind:     hidden_group_size_x
      - .offset:         38
        .size:           2
        .value_kind:     hidden_group_size_y
      - .offset:         40
        .size:           2
        .value_kind:     hidden_group_size_z
      - .offset:         42
        .size:           2
        .value_kind:     hidden_remainder_x
      - .offset:         44
        .size:           2
        .value_kind:     hidden_remainder_y
      - .offset:         46
        .size:           2
        .value_kind:     hidden_remainder_z
      - .offset:         64
        .size:           8
        .value_kind:     hidden_global_offset_x
      - .offset:         72
        .size:           8
        .value_kind:     hidden_global_offset_y
      - .offset:         80
        .size:           8
        .value_kind:     hidden_global_offset_z
      - .offset:         88
        .size:           2
        .value_kind:     hidden_grid_dims
    .group_segment_fixed_size: 16
    .kernarg_segment_align: 8
    .kernarg_segment_size: 280
    .language:       OpenCL C
    .language_version:
      - 2
      - 0
    .max_flat_workgroup_size: 64
    .name:           _Z6kernelI14exclusive_scanILN6hipcub18BlockScanAlgorithmE0EEdLj64ELj8ELj100EEvPKT0_PS4_S4_
    .private_segment_fixed_size: 0
    .sgpr_count:     19
    .sgpr_spill_count: 0
    .symbol:         _Z6kernelI14exclusive_scanILN6hipcub18BlockScanAlgorithmE0EEdLj64ELj8ELj100EEvPKT0_PS4_S4_.kd
    .uniform_work_group_size: 1
    .uses_dynamic_stack: false
    .vgpr_count:     26
    .vgpr_spill_count: 0
    .wavefront_size: 32
    .workgroup_processor_mode: 1
  - .args:
      - .address_space:  global
        .offset:         0
        .size:           8
        .value_kind:     global_buffer
      - .address_space:  global
        .offset:         8
        .size:           8
        .value_kind:     global_buffer
      - .offset:         16
        .size:           8
        .value_kind:     by_value
      - .offset:         24
        .size:           4
        .value_kind:     hidden_block_count_x
      - .offset:         28
        .size:           4
        .value_kind:     hidden_block_count_y
      - .offset:         32
        .size:           4
        .value_kind:     hidden_block_count_z
      - .offset:         36
        .size:           2
        .value_kind:     hidden_group_size_x
      - .offset:         38
        .size:           2
        .value_kind:     hidden_group_size_y
      - .offset:         40
        .size:           2
        .value_kind:     hidden_group_size_z
      - .offset:         42
        .size:           2
        .value_kind:     hidden_remainder_x
      - .offset:         44
        .size:           2
        .value_kind:     hidden_remainder_y
      - .offset:         46
        .size:           2
        .value_kind:     hidden_remainder_z
      - .offset:         64
        .size:           8
        .value_kind:     hidden_global_offset_x
      - .offset:         72
        .size:           8
        .value_kind:     hidden_global_offset_y
      - .offset:         80
        .size:           8
        .value_kind:     hidden_global_offset_z
      - .offset:         88
        .size:           2
        .value_kind:     hidden_grid_dims
    .group_segment_fixed_size: 16
    .kernarg_segment_align: 8
    .kernarg_segment_size: 280
    .language:       OpenCL C
    .language_version:
      - 2
      - 0
    .max_flat_workgroup_size: 64
    .name:           _Z6kernelI14exclusive_scanILN6hipcub18BlockScanAlgorithmE0EEdLj64ELj11ELj100EEvPKT0_PS4_S4_
    .private_segment_fixed_size: 0
    .sgpr_count:     19
    .sgpr_spill_count: 0
    .symbol:         _Z6kernelI14exclusive_scanILN6hipcub18BlockScanAlgorithmE0EEdLj64ELj11ELj100EEvPKT0_PS4_S4_.kd
    .uniform_work_group_size: 1
    .uses_dynamic_stack: false
    .vgpr_count:     56
    .vgpr_spill_count: 0
    .wavefront_size: 32
    .workgroup_processor_mode: 1
  - .args:
      - .address_space:  global
        .offset:         0
        .size:           8
        .value_kind:     global_buffer
      - .address_space:  global
        .offset:         8
        .size:           8
        .value_kind:     global_buffer
      - .offset:         16
        .size:           8
        .value_kind:     by_value
      - .offset:         24
        .size:           4
        .value_kind:     hidden_block_count_x
      - .offset:         28
        .size:           4
        .value_kind:     hidden_block_count_y
      - .offset:         32
        .size:           4
        .value_kind:     hidden_block_count_z
      - .offset:         36
        .size:           2
        .value_kind:     hidden_group_size_x
      - .offset:         38
        .size:           2
        .value_kind:     hidden_group_size_y
      - .offset:         40
        .size:           2
        .value_kind:     hidden_group_size_z
      - .offset:         42
        .size:           2
        .value_kind:     hidden_remainder_x
      - .offset:         44
        .size:           2
        .value_kind:     hidden_remainder_y
      - .offset:         46
        .size:           2
        .value_kind:     hidden_remainder_z
      - .offset:         64
        .size:           8
        .value_kind:     hidden_global_offset_x
      - .offset:         72
        .size:           8
        .value_kind:     hidden_global_offset_y
      - .offset:         80
        .size:           8
        .value_kind:     hidden_global_offset_z
      - .offset:         88
        .size:           2
        .value_kind:     hidden_grid_dims
    .group_segment_fixed_size: 16
    .kernarg_segment_align: 8
    .kernarg_segment_size: 280
    .language:       OpenCL C
    .language_version:
      - 2
      - 0
    .max_flat_workgroup_size: 64
    .name:           _Z6kernelI14exclusive_scanILN6hipcub18BlockScanAlgorithmE0EEdLj64ELj16ELj100EEvPKT0_PS4_S4_
    .private_segment_fixed_size: 0
    .sgpr_count:     19
    .sgpr_spill_count: 0
    .symbol:         _Z6kernelI14exclusive_scanILN6hipcub18BlockScanAlgorithmE0EEdLj64ELj16ELj100EEvPKT0_PS4_S4_.kd
    .uniform_work_group_size: 1
    .uses_dynamic_stack: false
    .vgpr_count:     46
    .vgpr_spill_count: 0
    .wavefront_size: 32
    .workgroup_processor_mode: 1
  - .args:
      - .address_space:  global
        .offset:         0
        .size:           8
        .value_kind:     global_buffer
      - .address_space:  global
        .offset:         8
        .size:           8
        .value_kind:     global_buffer
      - .offset:         16
        .size:           1
        .value_kind:     by_value
      - .offset:         24
        .size:           4
        .value_kind:     hidden_block_count_x
      - .offset:         28
        .size:           4
        .value_kind:     hidden_block_count_y
      - .offset:         32
        .size:           4
        .value_kind:     hidden_block_count_z
      - .offset:         36
        .size:           2
        .value_kind:     hidden_group_size_x
      - .offset:         38
        .size:           2
        .value_kind:     hidden_group_size_y
      - .offset:         40
        .size:           2
        .value_kind:     hidden_group_size_z
      - .offset:         42
        .size:           2
        .value_kind:     hidden_remainder_x
      - .offset:         44
        .size:           2
        .value_kind:     hidden_remainder_y
      - .offset:         46
        .size:           2
        .value_kind:     hidden_remainder_z
      - .offset:         64
        .size:           8
        .value_kind:     hidden_global_offset_x
      - .offset:         72
        .size:           8
        .value_kind:     hidden_global_offset_y
      - .offset:         80
        .size:           8
        .value_kind:     hidden_global_offset_z
      - .offset:         88
        .size:           2
        .value_kind:     hidden_grid_dims
    .group_segment_fixed_size: 2
    .kernarg_segment_align: 8
    .kernarg_segment_size: 280
    .language:       OpenCL C
    .language_version:
      - 2
      - 0
    .max_flat_workgroup_size: 64
    .name:           _Z6kernelI14exclusive_scanILN6hipcub18BlockScanAlgorithmE0EEhLj64ELj1ELj100EEvPKT0_PS4_S4_
    .private_segment_fixed_size: 0
    .sgpr_count:     18
    .sgpr_spill_count: 0
    .symbol:         _Z6kernelI14exclusive_scanILN6hipcub18BlockScanAlgorithmE0EEhLj64ELj1ELj100EEvPKT0_PS4_S4_.kd
    .uniform_work_group_size: 1
    .uses_dynamic_stack: false
    .vgpr_count:     8
    .vgpr_spill_count: 0
    .wavefront_size: 32
    .workgroup_processor_mode: 1
  - .args:
      - .address_space:  global
        .offset:         0
        .size:           8
        .value_kind:     global_buffer
      - .address_space:  global
        .offset:         8
        .size:           8
        .value_kind:     global_buffer
      - .offset:         16
        .size:           1
        .value_kind:     by_value
      - .offset:         24
        .size:           4
        .value_kind:     hidden_block_count_x
      - .offset:         28
        .size:           4
        .value_kind:     hidden_block_count_y
      - .offset:         32
        .size:           4
        .value_kind:     hidden_block_count_z
      - .offset:         36
        .size:           2
        .value_kind:     hidden_group_size_x
      - .offset:         38
        .size:           2
        .value_kind:     hidden_group_size_y
      - .offset:         40
        .size:           2
        .value_kind:     hidden_group_size_z
      - .offset:         42
        .size:           2
        .value_kind:     hidden_remainder_x
      - .offset:         44
        .size:           2
        .value_kind:     hidden_remainder_y
      - .offset:         46
        .size:           2
        .value_kind:     hidden_remainder_z
      - .offset:         64
        .size:           8
        .value_kind:     hidden_global_offset_x
      - .offset:         72
        .size:           8
        .value_kind:     hidden_global_offset_y
      - .offset:         80
        .size:           8
        .value_kind:     hidden_global_offset_z
      - .offset:         88
        .size:           2
        .value_kind:     hidden_grid_dims
    .group_segment_fixed_size: 2
    .kernarg_segment_align: 8
    .kernarg_segment_size: 280
    .language:       OpenCL C
    .language_version:
      - 2
      - 0
    .max_flat_workgroup_size: 64
    .name:           _Z6kernelI14exclusive_scanILN6hipcub18BlockScanAlgorithmE0EEhLj64ELj3ELj100EEvPKT0_PS4_S4_
    .private_segment_fixed_size: 0
    .sgpr_count:     18
    .sgpr_spill_count: 0
    .symbol:         _Z6kernelI14exclusive_scanILN6hipcub18BlockScanAlgorithmE0EEhLj64ELj3ELj100EEvPKT0_PS4_S4_.kd
    .uniform_work_group_size: 1
    .uses_dynamic_stack: false
    .vgpr_count:     14
    .vgpr_spill_count: 0
    .wavefront_size: 32
    .workgroup_processor_mode: 1
  - .args:
      - .address_space:  global
        .offset:         0
        .size:           8
        .value_kind:     global_buffer
      - .address_space:  global
        .offset:         8
        .size:           8
        .value_kind:     global_buffer
      - .offset:         16
        .size:           1
        .value_kind:     by_value
      - .offset:         24
        .size:           4
        .value_kind:     hidden_block_count_x
      - .offset:         28
        .size:           4
        .value_kind:     hidden_block_count_y
      - .offset:         32
        .size:           4
        .value_kind:     hidden_block_count_z
      - .offset:         36
        .size:           2
        .value_kind:     hidden_group_size_x
      - .offset:         38
        .size:           2
        .value_kind:     hidden_group_size_y
      - .offset:         40
        .size:           2
        .value_kind:     hidden_group_size_z
      - .offset:         42
        .size:           2
        .value_kind:     hidden_remainder_x
      - .offset:         44
        .size:           2
        .value_kind:     hidden_remainder_y
      - .offset:         46
        .size:           2
        .value_kind:     hidden_remainder_z
      - .offset:         64
        .size:           8
        .value_kind:     hidden_global_offset_x
      - .offset:         72
        .size:           8
        .value_kind:     hidden_global_offset_y
      - .offset:         80
        .size:           8
        .value_kind:     hidden_global_offset_z
      - .offset:         88
        .size:           2
        .value_kind:     hidden_grid_dims
    .group_segment_fixed_size: 2
    .kernarg_segment_align: 8
    .kernarg_segment_size: 280
    .language:       OpenCL C
    .language_version:
      - 2
      - 0
    .max_flat_workgroup_size: 64
    .name:           _Z6kernelI14exclusive_scanILN6hipcub18BlockScanAlgorithmE0EEhLj64ELj4ELj100EEvPKT0_PS4_S4_
    .private_segment_fixed_size: 0
    .sgpr_count:     18
    .sgpr_spill_count: 0
    .symbol:         _Z6kernelI14exclusive_scanILN6hipcub18BlockScanAlgorithmE0EEhLj64ELj4ELj100EEvPKT0_PS4_S4_.kd
    .uniform_work_group_size: 1
    .uses_dynamic_stack: false
    .vgpr_count:     11
    .vgpr_spill_count: 0
    .wavefront_size: 32
    .workgroup_processor_mode: 1
  - .args:
      - .address_space:  global
        .offset:         0
        .size:           8
        .value_kind:     global_buffer
      - .address_space:  global
        .offset:         8
        .size:           8
        .value_kind:     global_buffer
      - .offset:         16
        .size:           1
        .value_kind:     by_value
      - .offset:         24
        .size:           4
        .value_kind:     hidden_block_count_x
      - .offset:         28
        .size:           4
        .value_kind:     hidden_block_count_y
      - .offset:         32
        .size:           4
        .value_kind:     hidden_block_count_z
      - .offset:         36
        .size:           2
        .value_kind:     hidden_group_size_x
      - .offset:         38
        .size:           2
        .value_kind:     hidden_group_size_y
      - .offset:         40
        .size:           2
        .value_kind:     hidden_group_size_z
      - .offset:         42
        .size:           2
        .value_kind:     hidden_remainder_x
      - .offset:         44
        .size:           2
        .value_kind:     hidden_remainder_y
      - .offset:         46
        .size:           2
        .value_kind:     hidden_remainder_z
      - .offset:         64
        .size:           8
        .value_kind:     hidden_global_offset_x
      - .offset:         72
        .size:           8
        .value_kind:     hidden_global_offset_y
      - .offset:         80
        .size:           8
        .value_kind:     hidden_global_offset_z
      - .offset:         88
        .size:           2
        .value_kind:     hidden_grid_dims
    .group_segment_fixed_size: 2
    .kernarg_segment_align: 8
    .kernarg_segment_size: 280
    .language:       OpenCL C
    .language_version:
      - 2
      - 0
    .max_flat_workgroup_size: 64
    .name:           _Z6kernelI14exclusive_scanILN6hipcub18BlockScanAlgorithmE0EEhLj64ELj8ELj100EEvPKT0_PS4_S4_
    .private_segment_fixed_size: 0
    .sgpr_count:     18
    .sgpr_spill_count: 0
    .symbol:         _Z6kernelI14exclusive_scanILN6hipcub18BlockScanAlgorithmE0EEhLj64ELj8ELj100EEvPKT0_PS4_S4_.kd
    .uniform_work_group_size: 1
    .uses_dynamic_stack: false
    .vgpr_count:     15
    .vgpr_spill_count: 0
    .wavefront_size: 32
    .workgroup_processor_mode: 1
  - .args:
      - .address_space:  global
        .offset:         0
        .size:           8
        .value_kind:     global_buffer
      - .address_space:  global
        .offset:         8
        .size:           8
        .value_kind:     global_buffer
      - .offset:         16
        .size:           1
        .value_kind:     by_value
      - .offset:         24
        .size:           4
        .value_kind:     hidden_block_count_x
      - .offset:         28
        .size:           4
        .value_kind:     hidden_block_count_y
      - .offset:         32
        .size:           4
        .value_kind:     hidden_block_count_z
      - .offset:         36
        .size:           2
        .value_kind:     hidden_group_size_x
      - .offset:         38
        .size:           2
        .value_kind:     hidden_group_size_y
      - .offset:         40
        .size:           2
        .value_kind:     hidden_group_size_z
      - .offset:         42
        .size:           2
        .value_kind:     hidden_remainder_x
      - .offset:         44
        .size:           2
        .value_kind:     hidden_remainder_y
      - .offset:         46
        .size:           2
        .value_kind:     hidden_remainder_z
      - .offset:         64
        .size:           8
        .value_kind:     hidden_global_offset_x
      - .offset:         72
        .size:           8
        .value_kind:     hidden_global_offset_y
      - .offset:         80
        .size:           8
        .value_kind:     hidden_global_offset_z
      - .offset:         88
        .size:           2
        .value_kind:     hidden_grid_dims
    .group_segment_fixed_size: 2
    .kernarg_segment_align: 8
    .kernarg_segment_size: 280
    .language:       OpenCL C
    .language_version:
      - 2
      - 0
    .max_flat_workgroup_size: 64
    .name:           _Z6kernelI14exclusive_scanILN6hipcub18BlockScanAlgorithmE0EEhLj64ELj11ELj100EEvPKT0_PS4_S4_
    .private_segment_fixed_size: 0
    .sgpr_count:     18
    .sgpr_spill_count: 0
    .symbol:         _Z6kernelI14exclusive_scanILN6hipcub18BlockScanAlgorithmE0EEhLj64ELj11ELj100EEvPKT0_PS4_S4_.kd
    .uniform_work_group_size: 1
    .uses_dynamic_stack: false
    .vgpr_count:     34
    .vgpr_spill_count: 0
    .wavefront_size: 32
    .workgroup_processor_mode: 1
  - .args:
      - .address_space:  global
        .offset:         0
        .size:           8
        .value_kind:     global_buffer
      - .address_space:  global
        .offset:         8
        .size:           8
        .value_kind:     global_buffer
      - .offset:         16
        .size:           1
        .value_kind:     by_value
      - .offset:         24
        .size:           4
        .value_kind:     hidden_block_count_x
      - .offset:         28
        .size:           4
        .value_kind:     hidden_block_count_y
      - .offset:         32
        .size:           4
        .value_kind:     hidden_block_count_z
      - .offset:         36
        .size:           2
        .value_kind:     hidden_group_size_x
      - .offset:         38
        .size:           2
        .value_kind:     hidden_group_size_y
      - .offset:         40
        .size:           2
        .value_kind:     hidden_group_size_z
      - .offset:         42
        .size:           2
        .value_kind:     hidden_remainder_x
      - .offset:         44
        .size:           2
        .value_kind:     hidden_remainder_y
      - .offset:         46
        .size:           2
        .value_kind:     hidden_remainder_z
      - .offset:         64
        .size:           8
        .value_kind:     hidden_global_offset_x
      - .offset:         72
        .size:           8
        .value_kind:     hidden_global_offset_y
      - .offset:         80
        .size:           8
        .value_kind:     hidden_global_offset_z
      - .offset:         88
        .size:           2
        .value_kind:     hidden_grid_dims
    .group_segment_fixed_size: 2
    .kernarg_segment_align: 8
    .kernarg_segment_size: 280
    .language:       OpenCL C
    .language_version:
      - 2
      - 0
    .max_flat_workgroup_size: 64
    .name:           _Z6kernelI14exclusive_scanILN6hipcub18BlockScanAlgorithmE0EEhLj64ELj16ELj100EEvPKT0_PS4_S4_
    .private_segment_fixed_size: 0
    .sgpr_count:     18
    .sgpr_spill_count: 0
    .symbol:         _Z6kernelI14exclusive_scanILN6hipcub18BlockScanAlgorithmE0EEhLj64ELj16ELj100EEvPKT0_PS4_S4_.kd
    .uniform_work_group_size: 1
    .uses_dynamic_stack: false
    .vgpr_count:     23
    .vgpr_spill_count: 0
    .wavefront_size: 32
    .workgroup_processor_mode: 1
  - .args:
      - .address_space:  global
        .offset:         0
        .size:           8
        .value_kind:     global_buffer
      - .address_space:  global
        .offset:         8
        .size:           8
        .value_kind:     global_buffer
      - .offset:         16
        .size:           4
        .value_kind:     by_value
      - .offset:         24
        .size:           4
        .value_kind:     hidden_block_count_x
      - .offset:         28
        .size:           4
        .value_kind:     hidden_block_count_y
      - .offset:         32
        .size:           4
        .value_kind:     hidden_block_count_z
      - .offset:         36
        .size:           2
        .value_kind:     hidden_group_size_x
      - .offset:         38
        .size:           2
        .value_kind:     hidden_group_size_y
      - .offset:         40
        .size:           2
        .value_kind:     hidden_group_size_z
      - .offset:         42
        .size:           2
        .value_kind:     hidden_remainder_x
      - .offset:         44
        .size:           2
        .value_kind:     hidden_remainder_y
      - .offset:         46
        .size:           2
        .value_kind:     hidden_remainder_z
      - .offset:         64
        .size:           8
        .value_kind:     hidden_global_offset_x
      - .offset:         72
        .size:           8
        .value_kind:     hidden_global_offset_y
      - .offset:         80
        .size:           8
        .value_kind:     hidden_global_offset_z
      - .offset:         88
        .size:           2
        .value_kind:     hidden_grid_dims
    .group_segment_fixed_size: 32
    .kernarg_segment_align: 8
    .kernarg_segment_size: 280
    .language:       OpenCL C
    .language_version:
      - 2
      - 0
    .max_flat_workgroup_size: 256
    .name:           _Z6kernelI14exclusive_scanILN6hipcub18BlockScanAlgorithmE0EEiLj256ELj1ELj100EEvPKT0_PS4_S4_
    .private_segment_fixed_size: 0
    .sgpr_count:     22
    .sgpr_spill_count: 0
    .symbol:         _Z6kernelI14exclusive_scanILN6hipcub18BlockScanAlgorithmE0EEiLj256ELj1ELj100EEvPKT0_PS4_S4_.kd
    .uniform_work_group_size: 1
    .uses_dynamic_stack: false
    .vgpr_count:     9
    .vgpr_spill_count: 0
    .wavefront_size: 32
    .workgroup_processor_mode: 1
  - .args:
      - .address_space:  global
        .offset:         0
        .size:           8
        .value_kind:     global_buffer
      - .address_space:  global
        .offset:         8
        .size:           8
        .value_kind:     global_buffer
      - .offset:         16
        .size:           4
        .value_kind:     by_value
      - .offset:         24
        .size:           4
        .value_kind:     hidden_block_count_x
      - .offset:         28
        .size:           4
        .value_kind:     hidden_block_count_y
      - .offset:         32
        .size:           4
        .value_kind:     hidden_block_count_z
      - .offset:         36
        .size:           2
        .value_kind:     hidden_group_size_x
      - .offset:         38
        .size:           2
        .value_kind:     hidden_group_size_y
      - .offset:         40
        .size:           2
        .value_kind:     hidden_group_size_z
      - .offset:         42
        .size:           2
        .value_kind:     hidden_remainder_x
      - .offset:         44
        .size:           2
        .value_kind:     hidden_remainder_y
      - .offset:         46
        .size:           2
        .value_kind:     hidden_remainder_z
      - .offset:         64
        .size:           8
        .value_kind:     hidden_global_offset_x
      - .offset:         72
        .size:           8
        .value_kind:     hidden_global_offset_y
      - .offset:         80
        .size:           8
        .value_kind:     hidden_global_offset_z
      - .offset:         88
        .size:           2
        .value_kind:     hidden_grid_dims
    .group_segment_fixed_size: 32
    .kernarg_segment_align: 8
    .kernarg_segment_size: 280
    .language:       OpenCL C
    .language_version:
      - 2
      - 0
    .max_flat_workgroup_size: 256
    .name:           _Z6kernelI14exclusive_scanILN6hipcub18BlockScanAlgorithmE0EEiLj256ELj3ELj100EEvPKT0_PS4_S4_
    .private_segment_fixed_size: 0
    .sgpr_count:     19
    .sgpr_spill_count: 0
    .symbol:         _Z6kernelI14exclusive_scanILN6hipcub18BlockScanAlgorithmE0EEiLj256ELj3ELj100EEvPKT0_PS4_S4_.kd
    .uniform_work_group_size: 1
    .uses_dynamic_stack: false
    .vgpr_count:     15
    .vgpr_spill_count: 0
    .wavefront_size: 32
    .workgroup_processor_mode: 1
  - .args:
      - .address_space:  global
        .offset:         0
        .size:           8
        .value_kind:     global_buffer
      - .address_space:  global
        .offset:         8
        .size:           8
        .value_kind:     global_buffer
      - .offset:         16
        .size:           4
        .value_kind:     by_value
      - .offset:         24
        .size:           4
        .value_kind:     hidden_block_count_x
      - .offset:         28
        .size:           4
        .value_kind:     hidden_block_count_y
      - .offset:         32
        .size:           4
        .value_kind:     hidden_block_count_z
      - .offset:         36
        .size:           2
        .value_kind:     hidden_group_size_x
      - .offset:         38
        .size:           2
        .value_kind:     hidden_group_size_y
      - .offset:         40
        .size:           2
        .value_kind:     hidden_group_size_z
      - .offset:         42
        .size:           2
        .value_kind:     hidden_remainder_x
      - .offset:         44
        .size:           2
        .value_kind:     hidden_remainder_y
      - .offset:         46
        .size:           2
        .value_kind:     hidden_remainder_z
      - .offset:         64
        .size:           8
        .value_kind:     hidden_global_offset_x
      - .offset:         72
        .size:           8
        .value_kind:     hidden_global_offset_y
      - .offset:         80
        .size:           8
        .value_kind:     hidden_global_offset_z
      - .offset:         88
        .size:           2
        .value_kind:     hidden_grid_dims
    .group_segment_fixed_size: 32
    .kernarg_segment_align: 8
    .kernarg_segment_size: 280
    .language:       OpenCL C
    .language_version:
      - 2
      - 0
    .max_flat_workgroup_size: 256
    .name:           _Z6kernelI14exclusive_scanILN6hipcub18BlockScanAlgorithmE0EEiLj256ELj4ELj100EEvPKT0_PS4_S4_
    .private_segment_fixed_size: 0
    .sgpr_count:     22
    .sgpr_spill_count: 0
    .symbol:         _Z6kernelI14exclusive_scanILN6hipcub18BlockScanAlgorithmE0EEiLj256ELj4ELj100EEvPKT0_PS4_S4_.kd
    .uniform_work_group_size: 1
    .uses_dynamic_stack: false
    .vgpr_count:     13
    .vgpr_spill_count: 0
    .wavefront_size: 32
    .workgroup_processor_mode: 1
  - .args:
      - .address_space:  global
        .offset:         0
        .size:           8
        .value_kind:     global_buffer
      - .address_space:  global
        .offset:         8
        .size:           8
        .value_kind:     global_buffer
      - .offset:         16
        .size:           4
        .value_kind:     by_value
      - .offset:         24
        .size:           4
        .value_kind:     hidden_block_count_x
      - .offset:         28
        .size:           4
        .value_kind:     hidden_block_count_y
      - .offset:         32
        .size:           4
        .value_kind:     hidden_block_count_z
      - .offset:         36
        .size:           2
        .value_kind:     hidden_group_size_x
      - .offset:         38
        .size:           2
        .value_kind:     hidden_group_size_y
      - .offset:         40
        .size:           2
        .value_kind:     hidden_group_size_z
      - .offset:         42
        .size:           2
        .value_kind:     hidden_remainder_x
      - .offset:         44
        .size:           2
        .value_kind:     hidden_remainder_y
      - .offset:         46
        .size:           2
        .value_kind:     hidden_remainder_z
      - .offset:         64
        .size:           8
        .value_kind:     hidden_global_offset_x
      - .offset:         72
        .size:           8
        .value_kind:     hidden_global_offset_y
      - .offset:         80
        .size:           8
        .value_kind:     hidden_global_offset_z
      - .offset:         88
        .size:           2
        .value_kind:     hidden_grid_dims
    .group_segment_fixed_size: 32
    .kernarg_segment_align: 8
    .kernarg_segment_size: 280
    .language:       OpenCL C
    .language_version:
      - 2
      - 0
    .max_flat_workgroup_size: 256
    .name:           _Z6kernelI14exclusive_scanILN6hipcub18BlockScanAlgorithmE0EEiLj256ELj8ELj100EEvPKT0_PS4_S4_
    .private_segment_fixed_size: 0
    .sgpr_count:     22
    .sgpr_spill_count: 0
    .symbol:         _Z6kernelI14exclusive_scanILN6hipcub18BlockScanAlgorithmE0EEiLj256ELj8ELj100EEvPKT0_PS4_S4_.kd
    .uniform_work_group_size: 1
    .uses_dynamic_stack: false
    .vgpr_count:     21
    .vgpr_spill_count: 0
    .wavefront_size: 32
    .workgroup_processor_mode: 1
  - .args:
      - .address_space:  global
        .offset:         0
        .size:           8
        .value_kind:     global_buffer
      - .address_space:  global
        .offset:         8
        .size:           8
        .value_kind:     global_buffer
      - .offset:         16
        .size:           4
        .value_kind:     by_value
      - .offset:         24
        .size:           4
        .value_kind:     hidden_block_count_x
      - .offset:         28
        .size:           4
        .value_kind:     hidden_block_count_y
      - .offset:         32
        .size:           4
        .value_kind:     hidden_block_count_z
      - .offset:         36
        .size:           2
        .value_kind:     hidden_group_size_x
      - .offset:         38
        .size:           2
        .value_kind:     hidden_group_size_y
      - .offset:         40
        .size:           2
        .value_kind:     hidden_group_size_z
      - .offset:         42
        .size:           2
        .value_kind:     hidden_remainder_x
      - .offset:         44
        .size:           2
        .value_kind:     hidden_remainder_y
      - .offset:         46
        .size:           2
        .value_kind:     hidden_remainder_z
      - .offset:         64
        .size:           8
        .value_kind:     hidden_global_offset_x
      - .offset:         72
        .size:           8
        .value_kind:     hidden_global_offset_y
      - .offset:         80
        .size:           8
        .value_kind:     hidden_global_offset_z
      - .offset:         88
        .size:           2
        .value_kind:     hidden_grid_dims
    .group_segment_fixed_size: 32
    .kernarg_segment_align: 8
    .kernarg_segment_size: 280
    .language:       OpenCL C
    .language_version:
      - 2
      - 0
    .max_flat_workgroup_size: 256
    .name:           _Z6kernelI14exclusive_scanILN6hipcub18BlockScanAlgorithmE0EEiLj256ELj11ELj100EEvPKT0_PS4_S4_
    .private_segment_fixed_size: 0
    .sgpr_count:     19
    .sgpr_spill_count: 0
    .symbol:         _Z6kernelI14exclusive_scanILN6hipcub18BlockScanAlgorithmE0EEiLj256ELj11ELj100EEvPKT0_PS4_S4_.kd
    .uniform_work_group_size: 1
    .uses_dynamic_stack: false
    .vgpr_count:     47
    .vgpr_spill_count: 0
    .wavefront_size: 32
    .workgroup_processor_mode: 1
  - .args:
      - .address_space:  global
        .offset:         0
        .size:           8
        .value_kind:     global_buffer
      - .address_space:  global
        .offset:         8
        .size:           8
        .value_kind:     global_buffer
      - .offset:         16
        .size:           4
        .value_kind:     by_value
      - .offset:         24
        .size:           4
        .value_kind:     hidden_block_count_x
      - .offset:         28
        .size:           4
        .value_kind:     hidden_block_count_y
      - .offset:         32
        .size:           4
        .value_kind:     hidden_block_count_z
      - .offset:         36
        .size:           2
        .value_kind:     hidden_group_size_x
      - .offset:         38
        .size:           2
        .value_kind:     hidden_group_size_y
      - .offset:         40
        .size:           2
        .value_kind:     hidden_group_size_z
      - .offset:         42
        .size:           2
        .value_kind:     hidden_remainder_x
      - .offset:         44
        .size:           2
        .value_kind:     hidden_remainder_y
      - .offset:         46
        .size:           2
        .value_kind:     hidden_remainder_z
      - .offset:         64
        .size:           8
        .value_kind:     hidden_global_offset_x
      - .offset:         72
        .size:           8
        .value_kind:     hidden_global_offset_y
      - .offset:         80
        .size:           8
        .value_kind:     hidden_global_offset_z
      - .offset:         88
        .size:           2
        .value_kind:     hidden_grid_dims
    .group_segment_fixed_size: 32
    .kernarg_segment_align: 8
    .kernarg_segment_size: 280
    .language:       OpenCL C
    .language_version:
      - 2
      - 0
    .max_flat_workgroup_size: 256
    .name:           _Z6kernelI14exclusive_scanILN6hipcub18BlockScanAlgorithmE0EEiLj256ELj16ELj100EEvPKT0_PS4_S4_
    .private_segment_fixed_size: 0
    .sgpr_count:     22
    .sgpr_spill_count: 0
    .symbol:         _Z6kernelI14exclusive_scanILN6hipcub18BlockScanAlgorithmE0EEiLj256ELj16ELj100EEvPKT0_PS4_S4_.kd
    .uniform_work_group_size: 1
    .uses_dynamic_stack: false
    .vgpr_count:     27
    .vgpr_spill_count: 0
    .wavefront_size: 32
    .workgroup_processor_mode: 1
  - .args:
      - .address_space:  global
        .offset:         0
        .size:           8
        .value_kind:     global_buffer
      - .address_space:  global
        .offset:         8
        .size:           8
        .value_kind:     global_buffer
      - .offset:         16
        .size:           4
        .value_kind:     by_value
      - .offset:         24
        .size:           4
        .value_kind:     hidden_block_count_x
      - .offset:         28
        .size:           4
        .value_kind:     hidden_block_count_y
      - .offset:         32
        .size:           4
        .value_kind:     hidden_block_count_z
      - .offset:         36
        .size:           2
        .value_kind:     hidden_group_size_x
      - .offset:         38
        .size:           2
        .value_kind:     hidden_group_size_y
      - .offset:         40
        .size:           2
        .value_kind:     hidden_group_size_z
      - .offset:         42
        .size:           2
        .value_kind:     hidden_remainder_x
      - .offset:         44
        .size:           2
        .value_kind:     hidden_remainder_y
      - .offset:         46
        .size:           2
        .value_kind:     hidden_remainder_z
      - .offset:         64
        .size:           8
        .value_kind:     hidden_global_offset_x
      - .offset:         72
        .size:           8
        .value_kind:     hidden_global_offset_y
      - .offset:         80
        .size:           8
        .value_kind:     hidden_global_offset_z
      - .offset:         88
        .size:           2
        .value_kind:     hidden_grid_dims
    .group_segment_fixed_size: 32
    .kernarg_segment_align: 8
    .kernarg_segment_size: 280
    .language:       OpenCL C
    .language_version:
      - 2
      - 0
    .max_flat_workgroup_size: 256
    .name:           _Z6kernelI14exclusive_scanILN6hipcub18BlockScanAlgorithmE0EEfLj256ELj1ELj100EEvPKT0_PS4_S4_
    .private_segment_fixed_size: 0
    .sgpr_count:     22
    .sgpr_spill_count: 0
    .symbol:         _Z6kernelI14exclusive_scanILN6hipcub18BlockScanAlgorithmE0EEfLj256ELj1ELj100EEvPKT0_PS4_S4_.kd
    .uniform_work_group_size: 1
    .uses_dynamic_stack: false
    .vgpr_count:     9
    .vgpr_spill_count: 0
    .wavefront_size: 32
    .workgroup_processor_mode: 1
  - .args:
      - .address_space:  global
        .offset:         0
        .size:           8
        .value_kind:     global_buffer
      - .address_space:  global
        .offset:         8
        .size:           8
        .value_kind:     global_buffer
      - .offset:         16
        .size:           4
        .value_kind:     by_value
      - .offset:         24
        .size:           4
        .value_kind:     hidden_block_count_x
      - .offset:         28
        .size:           4
        .value_kind:     hidden_block_count_y
      - .offset:         32
        .size:           4
        .value_kind:     hidden_block_count_z
      - .offset:         36
        .size:           2
        .value_kind:     hidden_group_size_x
      - .offset:         38
        .size:           2
        .value_kind:     hidden_group_size_y
      - .offset:         40
        .size:           2
        .value_kind:     hidden_group_size_z
      - .offset:         42
        .size:           2
        .value_kind:     hidden_remainder_x
      - .offset:         44
        .size:           2
        .value_kind:     hidden_remainder_y
      - .offset:         46
        .size:           2
        .value_kind:     hidden_remainder_z
      - .offset:         64
        .size:           8
        .value_kind:     hidden_global_offset_x
      - .offset:         72
        .size:           8
        .value_kind:     hidden_global_offset_y
      - .offset:         80
        .size:           8
        .value_kind:     hidden_global_offset_z
      - .offset:         88
        .size:           2
        .value_kind:     hidden_grid_dims
    .group_segment_fixed_size: 32
    .kernarg_segment_align: 8
    .kernarg_segment_size: 280
    .language:       OpenCL C
    .language_version:
      - 2
      - 0
    .max_flat_workgroup_size: 256
    .name:           _Z6kernelI14exclusive_scanILN6hipcub18BlockScanAlgorithmE0EEfLj256ELj3ELj100EEvPKT0_PS4_S4_
    .private_segment_fixed_size: 0
    .sgpr_count:     19
    .sgpr_spill_count: 0
    .symbol:         _Z6kernelI14exclusive_scanILN6hipcub18BlockScanAlgorithmE0EEfLj256ELj3ELj100EEvPKT0_PS4_S4_.kd
    .uniform_work_group_size: 1
    .uses_dynamic_stack: false
    .vgpr_count:     15
    .vgpr_spill_count: 0
    .wavefront_size: 32
    .workgroup_processor_mode: 1
  - .args:
      - .address_space:  global
        .offset:         0
        .size:           8
        .value_kind:     global_buffer
      - .address_space:  global
        .offset:         8
        .size:           8
        .value_kind:     global_buffer
      - .offset:         16
        .size:           4
        .value_kind:     by_value
      - .offset:         24
        .size:           4
        .value_kind:     hidden_block_count_x
      - .offset:         28
        .size:           4
        .value_kind:     hidden_block_count_y
      - .offset:         32
        .size:           4
        .value_kind:     hidden_block_count_z
      - .offset:         36
        .size:           2
        .value_kind:     hidden_group_size_x
      - .offset:         38
        .size:           2
        .value_kind:     hidden_group_size_y
      - .offset:         40
        .size:           2
        .value_kind:     hidden_group_size_z
      - .offset:         42
        .size:           2
        .value_kind:     hidden_remainder_x
      - .offset:         44
        .size:           2
        .value_kind:     hidden_remainder_y
      - .offset:         46
        .size:           2
        .value_kind:     hidden_remainder_z
      - .offset:         64
        .size:           8
        .value_kind:     hidden_global_offset_x
      - .offset:         72
        .size:           8
        .value_kind:     hidden_global_offset_y
      - .offset:         80
        .size:           8
        .value_kind:     hidden_global_offset_z
      - .offset:         88
        .size:           2
        .value_kind:     hidden_grid_dims
    .group_segment_fixed_size: 32
    .kernarg_segment_align: 8
    .kernarg_segment_size: 280
    .language:       OpenCL C
    .language_version:
      - 2
      - 0
    .max_flat_workgroup_size: 256
    .name:           _Z6kernelI14exclusive_scanILN6hipcub18BlockScanAlgorithmE0EEfLj256ELj4ELj100EEvPKT0_PS4_S4_
    .private_segment_fixed_size: 0
    .sgpr_count:     22
    .sgpr_spill_count: 0
    .symbol:         _Z6kernelI14exclusive_scanILN6hipcub18BlockScanAlgorithmE0EEfLj256ELj4ELj100EEvPKT0_PS4_S4_.kd
    .uniform_work_group_size: 1
    .uses_dynamic_stack: false
    .vgpr_count:     13
    .vgpr_spill_count: 0
    .wavefront_size: 32
    .workgroup_processor_mode: 1
  - .args:
      - .address_space:  global
        .offset:         0
        .size:           8
        .value_kind:     global_buffer
      - .address_space:  global
        .offset:         8
        .size:           8
        .value_kind:     global_buffer
      - .offset:         16
        .size:           4
        .value_kind:     by_value
      - .offset:         24
        .size:           4
        .value_kind:     hidden_block_count_x
      - .offset:         28
        .size:           4
        .value_kind:     hidden_block_count_y
      - .offset:         32
        .size:           4
        .value_kind:     hidden_block_count_z
      - .offset:         36
        .size:           2
        .value_kind:     hidden_group_size_x
      - .offset:         38
        .size:           2
        .value_kind:     hidden_group_size_y
      - .offset:         40
        .size:           2
        .value_kind:     hidden_group_size_z
      - .offset:         42
        .size:           2
        .value_kind:     hidden_remainder_x
      - .offset:         44
        .size:           2
        .value_kind:     hidden_remainder_y
      - .offset:         46
        .size:           2
        .value_kind:     hidden_remainder_z
      - .offset:         64
        .size:           8
        .value_kind:     hidden_global_offset_x
      - .offset:         72
        .size:           8
        .value_kind:     hidden_global_offset_y
      - .offset:         80
        .size:           8
        .value_kind:     hidden_global_offset_z
      - .offset:         88
        .size:           2
        .value_kind:     hidden_grid_dims
    .group_segment_fixed_size: 32
    .kernarg_segment_align: 8
    .kernarg_segment_size: 280
    .language:       OpenCL C
    .language_version:
      - 2
      - 0
    .max_flat_workgroup_size: 256
    .name:           _Z6kernelI14exclusive_scanILN6hipcub18BlockScanAlgorithmE0EEfLj256ELj8ELj100EEvPKT0_PS4_S4_
    .private_segment_fixed_size: 0
    .sgpr_count:     22
    .sgpr_spill_count: 0
    .symbol:         _Z6kernelI14exclusive_scanILN6hipcub18BlockScanAlgorithmE0EEfLj256ELj8ELj100EEvPKT0_PS4_S4_.kd
    .uniform_work_group_size: 1
    .uses_dynamic_stack: false
    .vgpr_count:     21
    .vgpr_spill_count: 0
    .wavefront_size: 32
    .workgroup_processor_mode: 1
  - .args:
      - .address_space:  global
        .offset:         0
        .size:           8
        .value_kind:     global_buffer
      - .address_space:  global
        .offset:         8
        .size:           8
        .value_kind:     global_buffer
      - .offset:         16
        .size:           4
        .value_kind:     by_value
      - .offset:         24
        .size:           4
        .value_kind:     hidden_block_count_x
      - .offset:         28
        .size:           4
        .value_kind:     hidden_block_count_y
      - .offset:         32
        .size:           4
        .value_kind:     hidden_block_count_z
      - .offset:         36
        .size:           2
        .value_kind:     hidden_group_size_x
      - .offset:         38
        .size:           2
        .value_kind:     hidden_group_size_y
      - .offset:         40
        .size:           2
        .value_kind:     hidden_group_size_z
      - .offset:         42
        .size:           2
        .value_kind:     hidden_remainder_x
      - .offset:         44
        .size:           2
        .value_kind:     hidden_remainder_y
      - .offset:         46
        .size:           2
        .value_kind:     hidden_remainder_z
      - .offset:         64
        .size:           8
        .value_kind:     hidden_global_offset_x
      - .offset:         72
        .size:           8
        .value_kind:     hidden_global_offset_y
      - .offset:         80
        .size:           8
        .value_kind:     hidden_global_offset_z
      - .offset:         88
        .size:           2
        .value_kind:     hidden_grid_dims
    .group_segment_fixed_size: 32
    .kernarg_segment_align: 8
    .kernarg_segment_size: 280
    .language:       OpenCL C
    .language_version:
      - 2
      - 0
    .max_flat_workgroup_size: 256
    .name:           _Z6kernelI14exclusive_scanILN6hipcub18BlockScanAlgorithmE0EEfLj256ELj11ELj100EEvPKT0_PS4_S4_
    .private_segment_fixed_size: 0
    .sgpr_count:     19
    .sgpr_spill_count: 0
    .symbol:         _Z6kernelI14exclusive_scanILN6hipcub18BlockScanAlgorithmE0EEfLj256ELj11ELj100EEvPKT0_PS4_S4_.kd
    .uniform_work_group_size: 1
    .uses_dynamic_stack: false
    .vgpr_count:     47
    .vgpr_spill_count: 0
    .wavefront_size: 32
    .workgroup_processor_mode: 1
  - .args:
      - .address_space:  global
        .offset:         0
        .size:           8
        .value_kind:     global_buffer
      - .address_space:  global
        .offset:         8
        .size:           8
        .value_kind:     global_buffer
      - .offset:         16
        .size:           4
        .value_kind:     by_value
      - .offset:         24
        .size:           4
        .value_kind:     hidden_block_count_x
      - .offset:         28
        .size:           4
        .value_kind:     hidden_block_count_y
      - .offset:         32
        .size:           4
        .value_kind:     hidden_block_count_z
      - .offset:         36
        .size:           2
        .value_kind:     hidden_group_size_x
      - .offset:         38
        .size:           2
        .value_kind:     hidden_group_size_y
      - .offset:         40
        .size:           2
        .value_kind:     hidden_group_size_z
      - .offset:         42
        .size:           2
        .value_kind:     hidden_remainder_x
      - .offset:         44
        .size:           2
        .value_kind:     hidden_remainder_y
      - .offset:         46
        .size:           2
        .value_kind:     hidden_remainder_z
      - .offset:         64
        .size:           8
        .value_kind:     hidden_global_offset_x
      - .offset:         72
        .size:           8
        .value_kind:     hidden_global_offset_y
      - .offset:         80
        .size:           8
        .value_kind:     hidden_global_offset_z
      - .offset:         88
        .size:           2
        .value_kind:     hidden_grid_dims
    .group_segment_fixed_size: 32
    .kernarg_segment_align: 8
    .kernarg_segment_size: 280
    .language:       OpenCL C
    .language_version:
      - 2
      - 0
    .max_flat_workgroup_size: 256
    .name:           _Z6kernelI14exclusive_scanILN6hipcub18BlockScanAlgorithmE0EEfLj256ELj16ELj100EEvPKT0_PS4_S4_
    .private_segment_fixed_size: 0
    .sgpr_count:     22
    .sgpr_spill_count: 0
    .symbol:         _Z6kernelI14exclusive_scanILN6hipcub18BlockScanAlgorithmE0EEfLj256ELj16ELj100EEvPKT0_PS4_S4_.kd
    .uniform_work_group_size: 1
    .uses_dynamic_stack: false
    .vgpr_count:     27
    .vgpr_spill_count: 0
    .wavefront_size: 32
    .workgroup_processor_mode: 1
  - .args:
      - .address_space:  global
        .offset:         0
        .size:           8
        .value_kind:     global_buffer
      - .address_space:  global
        .offset:         8
        .size:           8
        .value_kind:     global_buffer
      - .offset:         16
        .size:           8
        .value_kind:     by_value
      - .offset:         24
        .size:           4
        .value_kind:     hidden_block_count_x
      - .offset:         28
        .size:           4
        .value_kind:     hidden_block_count_y
      - .offset:         32
        .size:           4
        .value_kind:     hidden_block_count_z
      - .offset:         36
        .size:           2
        .value_kind:     hidden_group_size_x
      - .offset:         38
        .size:           2
        .value_kind:     hidden_group_size_y
      - .offset:         40
        .size:           2
        .value_kind:     hidden_group_size_z
      - .offset:         42
        .size:           2
        .value_kind:     hidden_remainder_x
      - .offset:         44
        .size:           2
        .value_kind:     hidden_remainder_y
      - .offset:         46
        .size:           2
        .value_kind:     hidden_remainder_z
      - .offset:         64
        .size:           8
        .value_kind:     hidden_global_offset_x
      - .offset:         72
        .size:           8
        .value_kind:     hidden_global_offset_y
      - .offset:         80
        .size:           8
        .value_kind:     hidden_global_offset_z
      - .offset:         88
        .size:           2
        .value_kind:     hidden_grid_dims
    .group_segment_fixed_size: 64
    .kernarg_segment_align: 8
    .kernarg_segment_size: 280
    .language:       OpenCL C
    .language_version:
      - 2
      - 0
    .max_flat_workgroup_size: 256
    .name:           _Z6kernelI14exclusive_scanILN6hipcub18BlockScanAlgorithmE0EEdLj256ELj1ELj100EEvPKT0_PS4_S4_
    .private_segment_fixed_size: 0
    .sgpr_count:     22
    .sgpr_spill_count: 0
    .symbol:         _Z6kernelI14exclusive_scanILN6hipcub18BlockScanAlgorithmE0EEdLj256ELj1ELj100EEvPKT0_PS4_S4_.kd
    .uniform_work_group_size: 1
    .uses_dynamic_stack: false
    .vgpr_count:     12
    .vgpr_spill_count: 0
    .wavefront_size: 32
    .workgroup_processor_mode: 1
  - .args:
      - .address_space:  global
        .offset:         0
        .size:           8
        .value_kind:     global_buffer
      - .address_space:  global
        .offset:         8
        .size:           8
        .value_kind:     global_buffer
      - .offset:         16
        .size:           8
        .value_kind:     by_value
      - .offset:         24
        .size:           4
        .value_kind:     hidden_block_count_x
      - .offset:         28
        .size:           4
        .value_kind:     hidden_block_count_y
      - .offset:         32
        .size:           4
        .value_kind:     hidden_block_count_z
      - .offset:         36
        .size:           2
        .value_kind:     hidden_group_size_x
      - .offset:         38
        .size:           2
        .value_kind:     hidden_group_size_y
      - .offset:         40
        .size:           2
        .value_kind:     hidden_group_size_z
      - .offset:         42
        .size:           2
        .value_kind:     hidden_remainder_x
      - .offset:         44
        .size:           2
        .value_kind:     hidden_remainder_y
      - .offset:         46
        .size:           2
        .value_kind:     hidden_remainder_z
      - .offset:         64
        .size:           8
        .value_kind:     hidden_global_offset_x
      - .offset:         72
        .size:           8
        .value_kind:     hidden_global_offset_y
      - .offset:         80
        .size:           8
        .value_kind:     hidden_global_offset_z
      - .offset:         88
        .size:           2
        .value_kind:     hidden_grid_dims
    .group_segment_fixed_size: 64
    .kernarg_segment_align: 8
    .kernarg_segment_size: 280
    .language:       OpenCL C
    .language_version:
      - 2
      - 0
    .max_flat_workgroup_size: 256
    .name:           _Z6kernelI14exclusive_scanILN6hipcub18BlockScanAlgorithmE0EEdLj256ELj3ELj100EEvPKT0_PS4_S4_
    .private_segment_fixed_size: 0
    .sgpr_count:     21
    .sgpr_spill_count: 0
    .symbol:         _Z6kernelI14exclusive_scanILN6hipcub18BlockScanAlgorithmE0EEdLj256ELj3ELj100EEvPKT0_PS4_S4_.kd
    .uniform_work_group_size: 1
    .uses_dynamic_stack: false
    .vgpr_count:     20
    .vgpr_spill_count: 0
    .wavefront_size: 32
    .workgroup_processor_mode: 1
  - .args:
      - .address_space:  global
        .offset:         0
        .size:           8
        .value_kind:     global_buffer
      - .address_space:  global
        .offset:         8
        .size:           8
        .value_kind:     global_buffer
      - .offset:         16
        .size:           8
        .value_kind:     by_value
      - .offset:         24
        .size:           4
        .value_kind:     hidden_block_count_x
      - .offset:         28
        .size:           4
        .value_kind:     hidden_block_count_y
      - .offset:         32
        .size:           4
        .value_kind:     hidden_block_count_z
      - .offset:         36
        .size:           2
        .value_kind:     hidden_group_size_x
      - .offset:         38
        .size:           2
        .value_kind:     hidden_group_size_y
      - .offset:         40
        .size:           2
        .value_kind:     hidden_group_size_z
      - .offset:         42
        .size:           2
        .value_kind:     hidden_remainder_x
      - .offset:         44
        .size:           2
        .value_kind:     hidden_remainder_y
      - .offset:         46
        .size:           2
        .value_kind:     hidden_remainder_z
      - .offset:         64
        .size:           8
        .value_kind:     hidden_global_offset_x
      - .offset:         72
        .size:           8
        .value_kind:     hidden_global_offset_y
      - .offset:         80
        .size:           8
        .value_kind:     hidden_global_offset_z
      - .offset:         88
        .size:           2
        .value_kind:     hidden_grid_dims
    .group_segment_fixed_size: 64
    .kernarg_segment_align: 8
    .kernarg_segment_size: 280
    .language:       OpenCL C
    .language_version:
      - 2
      - 0
    .max_flat_workgroup_size: 256
    .name:           _Z6kernelI14exclusive_scanILN6hipcub18BlockScanAlgorithmE0EEdLj256ELj4ELj100EEvPKT0_PS4_S4_
    .private_segment_fixed_size: 0
    .sgpr_count:     22
    .sgpr_spill_count: 0
    .symbol:         _Z6kernelI14exclusive_scanILN6hipcub18BlockScanAlgorithmE0EEdLj256ELj4ELj100EEvPKT0_PS4_S4_.kd
    .uniform_work_group_size: 1
    .uses_dynamic_stack: false
    .vgpr_count:     20
    .vgpr_spill_count: 0
    .wavefront_size: 32
    .workgroup_processor_mode: 1
  - .args:
      - .address_space:  global
        .offset:         0
        .size:           8
        .value_kind:     global_buffer
      - .address_space:  global
        .offset:         8
        .size:           8
        .value_kind:     global_buffer
      - .offset:         16
        .size:           8
        .value_kind:     by_value
      - .offset:         24
        .size:           4
        .value_kind:     hidden_block_count_x
      - .offset:         28
        .size:           4
        .value_kind:     hidden_block_count_y
      - .offset:         32
        .size:           4
        .value_kind:     hidden_block_count_z
      - .offset:         36
        .size:           2
        .value_kind:     hidden_group_size_x
      - .offset:         38
        .size:           2
        .value_kind:     hidden_group_size_y
      - .offset:         40
        .size:           2
        .value_kind:     hidden_group_size_z
      - .offset:         42
        .size:           2
        .value_kind:     hidden_remainder_x
      - .offset:         44
        .size:           2
        .value_kind:     hidden_remainder_y
      - .offset:         46
        .size:           2
        .value_kind:     hidden_remainder_z
      - .offset:         64
        .size:           8
        .value_kind:     hidden_global_offset_x
      - .offset:         72
        .size:           8
        .value_kind:     hidden_global_offset_y
      - .offset:         80
        .size:           8
        .value_kind:     hidden_global_offset_z
      - .offset:         88
        .size:           2
        .value_kind:     hidden_grid_dims
    .group_segment_fixed_size: 64
    .kernarg_segment_align: 8
    .kernarg_segment_size: 280
    .language:       OpenCL C
    .language_version:
      - 2
      - 0
    .max_flat_workgroup_size: 256
    .name:           _Z6kernelI14exclusive_scanILN6hipcub18BlockScanAlgorithmE0EEdLj256ELj8ELj100EEvPKT0_PS4_S4_
    .private_segment_fixed_size: 0
    .sgpr_count:     22
    .sgpr_spill_count: 0
    .symbol:         _Z6kernelI14exclusive_scanILN6hipcub18BlockScanAlgorithmE0EEdLj256ELj8ELj100EEvPKT0_PS4_S4_.kd
    .uniform_work_group_size: 1
    .uses_dynamic_stack: false
    .vgpr_count:     26
    .vgpr_spill_count: 0
    .wavefront_size: 32
    .workgroup_processor_mode: 1
  - .args:
      - .address_space:  global
        .offset:         0
        .size:           8
        .value_kind:     global_buffer
      - .address_space:  global
        .offset:         8
        .size:           8
        .value_kind:     global_buffer
      - .offset:         16
        .size:           8
        .value_kind:     by_value
      - .offset:         24
        .size:           4
        .value_kind:     hidden_block_count_x
      - .offset:         28
        .size:           4
        .value_kind:     hidden_block_count_y
      - .offset:         32
        .size:           4
        .value_kind:     hidden_block_count_z
      - .offset:         36
        .size:           2
        .value_kind:     hidden_group_size_x
      - .offset:         38
        .size:           2
        .value_kind:     hidden_group_size_y
      - .offset:         40
        .size:           2
        .value_kind:     hidden_group_size_z
      - .offset:         42
        .size:           2
        .value_kind:     hidden_remainder_x
      - .offset:         44
        .size:           2
        .value_kind:     hidden_remainder_y
      - .offset:         46
        .size:           2
        .value_kind:     hidden_remainder_z
      - .offset:         64
        .size:           8
        .value_kind:     hidden_global_offset_x
      - .offset:         72
        .size:           8
        .value_kind:     hidden_global_offset_y
      - .offset:         80
        .size:           8
        .value_kind:     hidden_global_offset_z
      - .offset:         88
        .size:           2
        .value_kind:     hidden_grid_dims
    .group_segment_fixed_size: 64
    .kernarg_segment_align: 8
    .kernarg_segment_size: 280
    .language:       OpenCL C
    .language_version:
      - 2
      - 0
    .max_flat_workgroup_size: 256
    .name:           _Z6kernelI14exclusive_scanILN6hipcub18BlockScanAlgorithmE0EEdLj256ELj11ELj100EEvPKT0_PS4_S4_
    .private_segment_fixed_size: 0
    .sgpr_count:     21
    .sgpr_spill_count: 0
    .symbol:         _Z6kernelI14exclusive_scanILN6hipcub18BlockScanAlgorithmE0EEdLj256ELj11ELj100EEvPKT0_PS4_S4_.kd
    .uniform_work_group_size: 1
    .uses_dynamic_stack: false
    .vgpr_count:     56
    .vgpr_spill_count: 0
    .wavefront_size: 32
    .workgroup_processor_mode: 1
  - .args:
      - .address_space:  global
        .offset:         0
        .size:           8
        .value_kind:     global_buffer
      - .address_space:  global
        .offset:         8
        .size:           8
        .value_kind:     global_buffer
      - .offset:         16
        .size:           8
        .value_kind:     by_value
      - .offset:         24
        .size:           4
        .value_kind:     hidden_block_count_x
      - .offset:         28
        .size:           4
        .value_kind:     hidden_block_count_y
      - .offset:         32
        .size:           4
        .value_kind:     hidden_block_count_z
      - .offset:         36
        .size:           2
        .value_kind:     hidden_group_size_x
      - .offset:         38
        .size:           2
        .value_kind:     hidden_group_size_y
      - .offset:         40
        .size:           2
        .value_kind:     hidden_group_size_z
      - .offset:         42
        .size:           2
        .value_kind:     hidden_remainder_x
      - .offset:         44
        .size:           2
        .value_kind:     hidden_remainder_y
      - .offset:         46
        .size:           2
        .value_kind:     hidden_remainder_z
      - .offset:         64
        .size:           8
        .value_kind:     hidden_global_offset_x
      - .offset:         72
        .size:           8
        .value_kind:     hidden_global_offset_y
      - .offset:         80
        .size:           8
        .value_kind:     hidden_global_offset_z
      - .offset:         88
        .size:           2
        .value_kind:     hidden_grid_dims
    .group_segment_fixed_size: 64
    .kernarg_segment_align: 8
    .kernarg_segment_size: 280
    .language:       OpenCL C
    .language_version:
      - 2
      - 0
    .max_flat_workgroup_size: 256
    .name:           _Z6kernelI14exclusive_scanILN6hipcub18BlockScanAlgorithmE0EEdLj256ELj16ELj100EEvPKT0_PS4_S4_
    .private_segment_fixed_size: 0
    .sgpr_count:     22
    .sgpr_spill_count: 0
    .symbol:         _Z6kernelI14exclusive_scanILN6hipcub18BlockScanAlgorithmE0EEdLj256ELj16ELj100EEvPKT0_PS4_S4_.kd
    .uniform_work_group_size: 1
    .uses_dynamic_stack: false
    .vgpr_count:     46
    .vgpr_spill_count: 0
    .wavefront_size: 32
    .workgroup_processor_mode: 1
  - .args:
      - .address_space:  global
        .offset:         0
        .size:           8
        .value_kind:     global_buffer
      - .address_space:  global
        .offset:         8
        .size:           8
        .value_kind:     global_buffer
      - .offset:         16
        .size:           1
        .value_kind:     by_value
      - .offset:         24
        .size:           4
        .value_kind:     hidden_block_count_x
      - .offset:         28
        .size:           4
        .value_kind:     hidden_block_count_y
      - .offset:         32
        .size:           4
        .value_kind:     hidden_block_count_z
      - .offset:         36
        .size:           2
        .value_kind:     hidden_group_size_x
      - .offset:         38
        .size:           2
        .value_kind:     hidden_group_size_y
      - .offset:         40
        .size:           2
        .value_kind:     hidden_group_size_z
      - .offset:         42
        .size:           2
        .value_kind:     hidden_remainder_x
      - .offset:         44
        .size:           2
        .value_kind:     hidden_remainder_y
      - .offset:         46
        .size:           2
        .value_kind:     hidden_remainder_z
      - .offset:         64
        .size:           8
        .value_kind:     hidden_global_offset_x
      - .offset:         72
        .size:           8
        .value_kind:     hidden_global_offset_y
      - .offset:         80
        .size:           8
        .value_kind:     hidden_global_offset_z
      - .offset:         88
        .size:           2
        .value_kind:     hidden_grid_dims
    .group_segment_fixed_size: 8
    .kernarg_segment_align: 8
    .kernarg_segment_size: 280
    .language:       OpenCL C
    .language_version:
      - 2
      - 0
    .max_flat_workgroup_size: 256
    .name:           _Z6kernelI14exclusive_scanILN6hipcub18BlockScanAlgorithmE0EEhLj256ELj1ELj100EEvPKT0_PS4_S4_
    .private_segment_fixed_size: 0
    .sgpr_count:     22
    .sgpr_spill_count: 0
    .symbol:         _Z6kernelI14exclusive_scanILN6hipcub18BlockScanAlgorithmE0EEhLj256ELj1ELj100EEvPKT0_PS4_S4_.kd
    .uniform_work_group_size: 1
    .uses_dynamic_stack: false
    .vgpr_count:     8
    .vgpr_spill_count: 0
    .wavefront_size: 32
    .workgroup_processor_mode: 1
  - .args:
      - .address_space:  global
        .offset:         0
        .size:           8
        .value_kind:     global_buffer
      - .address_space:  global
        .offset:         8
        .size:           8
        .value_kind:     global_buffer
      - .offset:         16
        .size:           1
        .value_kind:     by_value
      - .offset:         24
        .size:           4
        .value_kind:     hidden_block_count_x
      - .offset:         28
        .size:           4
        .value_kind:     hidden_block_count_y
      - .offset:         32
        .size:           4
        .value_kind:     hidden_block_count_z
      - .offset:         36
        .size:           2
        .value_kind:     hidden_group_size_x
      - .offset:         38
        .size:           2
        .value_kind:     hidden_group_size_y
      - .offset:         40
        .size:           2
        .value_kind:     hidden_group_size_z
      - .offset:         42
        .size:           2
        .value_kind:     hidden_remainder_x
      - .offset:         44
        .size:           2
        .value_kind:     hidden_remainder_y
      - .offset:         46
        .size:           2
        .value_kind:     hidden_remainder_z
      - .offset:         64
        .size:           8
        .value_kind:     hidden_global_offset_x
      - .offset:         72
        .size:           8
        .value_kind:     hidden_global_offset_y
      - .offset:         80
        .size:           8
        .value_kind:     hidden_global_offset_z
      - .offset:         88
        .size:           2
        .value_kind:     hidden_grid_dims
    .group_segment_fixed_size: 8
    .kernarg_segment_align: 8
    .kernarg_segment_size: 280
    .language:       OpenCL C
    .language_version:
      - 2
      - 0
    .max_flat_workgroup_size: 256
    .name:           _Z6kernelI14exclusive_scanILN6hipcub18BlockScanAlgorithmE0EEhLj256ELj3ELj100EEvPKT0_PS4_S4_
    .private_segment_fixed_size: 0
    .sgpr_count:     22
    .sgpr_spill_count: 0
    .symbol:         _Z6kernelI14exclusive_scanILN6hipcub18BlockScanAlgorithmE0EEhLj256ELj3ELj100EEvPKT0_PS4_S4_.kd
    .uniform_work_group_size: 1
    .uses_dynamic_stack: false
    .vgpr_count:     14
    .vgpr_spill_count: 0
    .wavefront_size: 32
    .workgroup_processor_mode: 1
  - .args:
      - .address_space:  global
        .offset:         0
        .size:           8
        .value_kind:     global_buffer
      - .address_space:  global
        .offset:         8
        .size:           8
        .value_kind:     global_buffer
      - .offset:         16
        .size:           1
        .value_kind:     by_value
      - .offset:         24
        .size:           4
        .value_kind:     hidden_block_count_x
      - .offset:         28
        .size:           4
        .value_kind:     hidden_block_count_y
      - .offset:         32
        .size:           4
        .value_kind:     hidden_block_count_z
      - .offset:         36
        .size:           2
        .value_kind:     hidden_group_size_x
      - .offset:         38
        .size:           2
        .value_kind:     hidden_group_size_y
      - .offset:         40
        .size:           2
        .value_kind:     hidden_group_size_z
      - .offset:         42
        .size:           2
        .value_kind:     hidden_remainder_x
      - .offset:         44
        .size:           2
        .value_kind:     hidden_remainder_y
      - .offset:         46
        .size:           2
        .value_kind:     hidden_remainder_z
      - .offset:         64
        .size:           8
        .value_kind:     hidden_global_offset_x
      - .offset:         72
        .size:           8
        .value_kind:     hidden_global_offset_y
      - .offset:         80
        .size:           8
        .value_kind:     hidden_global_offset_z
      - .offset:         88
        .size:           2
        .value_kind:     hidden_grid_dims
    .group_segment_fixed_size: 8
    .kernarg_segment_align: 8
    .kernarg_segment_size: 280
    .language:       OpenCL C
    .language_version:
      - 2
      - 0
    .max_flat_workgroup_size: 256
    .name:           _Z6kernelI14exclusive_scanILN6hipcub18BlockScanAlgorithmE0EEhLj256ELj4ELj100EEvPKT0_PS4_S4_
    .private_segment_fixed_size: 0
    .sgpr_count:     22
    .sgpr_spill_count: 0
    .symbol:         _Z6kernelI14exclusive_scanILN6hipcub18BlockScanAlgorithmE0EEhLj256ELj4ELj100EEvPKT0_PS4_S4_.kd
    .uniform_work_group_size: 1
    .uses_dynamic_stack: false
    .vgpr_count:     11
    .vgpr_spill_count: 0
    .wavefront_size: 32
    .workgroup_processor_mode: 1
  - .args:
      - .address_space:  global
        .offset:         0
        .size:           8
        .value_kind:     global_buffer
      - .address_space:  global
        .offset:         8
        .size:           8
        .value_kind:     global_buffer
      - .offset:         16
        .size:           1
        .value_kind:     by_value
      - .offset:         24
        .size:           4
        .value_kind:     hidden_block_count_x
      - .offset:         28
        .size:           4
        .value_kind:     hidden_block_count_y
      - .offset:         32
        .size:           4
        .value_kind:     hidden_block_count_z
      - .offset:         36
        .size:           2
        .value_kind:     hidden_group_size_x
      - .offset:         38
        .size:           2
        .value_kind:     hidden_group_size_y
      - .offset:         40
        .size:           2
        .value_kind:     hidden_group_size_z
      - .offset:         42
        .size:           2
        .value_kind:     hidden_remainder_x
      - .offset:         44
        .size:           2
        .value_kind:     hidden_remainder_y
      - .offset:         46
        .size:           2
        .value_kind:     hidden_remainder_z
      - .offset:         64
        .size:           8
        .value_kind:     hidden_global_offset_x
      - .offset:         72
        .size:           8
        .value_kind:     hidden_global_offset_y
      - .offset:         80
        .size:           8
        .value_kind:     hidden_global_offset_z
      - .offset:         88
        .size:           2
        .value_kind:     hidden_grid_dims
    .group_segment_fixed_size: 8
    .kernarg_segment_align: 8
    .kernarg_segment_size: 280
    .language:       OpenCL C
    .language_version:
      - 2
      - 0
    .max_flat_workgroup_size: 256
    .name:           _Z6kernelI14exclusive_scanILN6hipcub18BlockScanAlgorithmE0EEhLj256ELj8ELj100EEvPKT0_PS4_S4_
    .private_segment_fixed_size: 0
    .sgpr_count:     22
    .sgpr_spill_count: 0
    .symbol:         _Z6kernelI14exclusive_scanILN6hipcub18BlockScanAlgorithmE0EEhLj256ELj8ELj100EEvPKT0_PS4_S4_.kd
    .uniform_work_group_size: 1
    .uses_dynamic_stack: false
    .vgpr_count:     15
    .vgpr_spill_count: 0
    .wavefront_size: 32
    .workgroup_processor_mode: 1
  - .args:
      - .address_space:  global
        .offset:         0
        .size:           8
        .value_kind:     global_buffer
      - .address_space:  global
        .offset:         8
        .size:           8
        .value_kind:     global_buffer
      - .offset:         16
        .size:           1
        .value_kind:     by_value
      - .offset:         24
        .size:           4
        .value_kind:     hidden_block_count_x
      - .offset:         28
        .size:           4
        .value_kind:     hidden_block_count_y
      - .offset:         32
        .size:           4
        .value_kind:     hidden_block_count_z
      - .offset:         36
        .size:           2
        .value_kind:     hidden_group_size_x
      - .offset:         38
        .size:           2
        .value_kind:     hidden_group_size_y
      - .offset:         40
        .size:           2
        .value_kind:     hidden_group_size_z
      - .offset:         42
        .size:           2
        .value_kind:     hidden_remainder_x
      - .offset:         44
        .size:           2
        .value_kind:     hidden_remainder_y
      - .offset:         46
        .size:           2
        .value_kind:     hidden_remainder_z
      - .offset:         64
        .size:           8
        .value_kind:     hidden_global_offset_x
      - .offset:         72
        .size:           8
        .value_kind:     hidden_global_offset_y
      - .offset:         80
        .size:           8
        .value_kind:     hidden_global_offset_z
      - .offset:         88
        .size:           2
        .value_kind:     hidden_grid_dims
    .group_segment_fixed_size: 8
    .kernarg_segment_align: 8
    .kernarg_segment_size: 280
    .language:       OpenCL C
    .language_version:
      - 2
      - 0
    .max_flat_workgroup_size: 256
    .name:           _Z6kernelI14exclusive_scanILN6hipcub18BlockScanAlgorithmE0EEhLj256ELj11ELj100EEvPKT0_PS4_S4_
    .private_segment_fixed_size: 0
    .sgpr_count:     19
    .sgpr_spill_count: 0
    .symbol:         _Z6kernelI14exclusive_scanILN6hipcub18BlockScanAlgorithmE0EEhLj256ELj11ELj100EEvPKT0_PS4_S4_.kd
    .uniform_work_group_size: 1
    .uses_dynamic_stack: false
    .vgpr_count:     36
    .vgpr_spill_count: 0
    .wavefront_size: 32
    .workgroup_processor_mode: 1
  - .args:
      - .address_space:  global
        .offset:         0
        .size:           8
        .value_kind:     global_buffer
      - .address_space:  global
        .offset:         8
        .size:           8
        .value_kind:     global_buffer
      - .offset:         16
        .size:           1
        .value_kind:     by_value
      - .offset:         24
        .size:           4
        .value_kind:     hidden_block_count_x
      - .offset:         28
        .size:           4
        .value_kind:     hidden_block_count_y
      - .offset:         32
        .size:           4
        .value_kind:     hidden_block_count_z
      - .offset:         36
        .size:           2
        .value_kind:     hidden_group_size_x
      - .offset:         38
        .size:           2
        .value_kind:     hidden_group_size_y
      - .offset:         40
        .size:           2
        .value_kind:     hidden_group_size_z
      - .offset:         42
        .size:           2
        .value_kind:     hidden_remainder_x
      - .offset:         44
        .size:           2
        .value_kind:     hidden_remainder_y
      - .offset:         46
        .size:           2
        .value_kind:     hidden_remainder_z
      - .offset:         64
        .size:           8
        .value_kind:     hidden_global_offset_x
      - .offset:         72
        .size:           8
        .value_kind:     hidden_global_offset_y
      - .offset:         80
        .size:           8
        .value_kind:     hidden_global_offset_z
      - .offset:         88
        .size:           2
        .value_kind:     hidden_grid_dims
    .group_segment_fixed_size: 8
    .kernarg_segment_align: 8
    .kernarg_segment_size: 280
    .language:       OpenCL C
    .language_version:
      - 2
      - 0
    .max_flat_workgroup_size: 256
    .name:           _Z6kernelI14exclusive_scanILN6hipcub18BlockScanAlgorithmE0EEhLj256ELj16ELj100EEvPKT0_PS4_S4_
    .private_segment_fixed_size: 0
    .sgpr_count:     22
    .sgpr_spill_count: 0
    .symbol:         _Z6kernelI14exclusive_scanILN6hipcub18BlockScanAlgorithmE0EEhLj256ELj16ELj100EEvPKT0_PS4_S4_.kd
    .uniform_work_group_size: 1
    .uses_dynamic_stack: false
    .vgpr_count:     23
    .vgpr_spill_count: 0
    .wavefront_size: 32
    .workgroup_processor_mode: 1
  - .args:
      - .address_space:  global
        .offset:         0
        .size:           8
        .value_kind:     global_buffer
      - .address_space:  global
        .offset:         8
        .size:           8
        .value_kind:     global_buffer
      - .offset:         16
        .size:           8
        .value_kind:     by_value
      - .offset:         24
        .size:           4
        .value_kind:     hidden_block_count_x
      - .offset:         28
        .size:           4
        .value_kind:     hidden_block_count_y
      - .offset:         32
        .size:           4
        .value_kind:     hidden_block_count_z
      - .offset:         36
        .size:           2
        .value_kind:     hidden_group_size_x
      - .offset:         38
        .size:           2
        .value_kind:     hidden_group_size_y
      - .offset:         40
        .size:           2
        .value_kind:     hidden_group_size_z
      - .offset:         42
        .size:           2
        .value_kind:     hidden_remainder_x
      - .offset:         44
        .size:           2
        .value_kind:     hidden_remainder_y
      - .offset:         46
        .size:           2
        .value_kind:     hidden_remainder_z
      - .offset:         64
        .size:           8
        .value_kind:     hidden_global_offset_x
      - .offset:         72
        .size:           8
        .value_kind:     hidden_global_offset_y
      - .offset:         80
        .size:           8
        .value_kind:     hidden_global_offset_z
      - .offset:         88
        .size:           2
        .value_kind:     hidden_grid_dims
    .group_segment_fixed_size: 64
    .kernarg_segment_align: 8
    .kernarg_segment_size: 280
    .language:       OpenCL C
    .language_version:
      - 2
      - 0
    .max_flat_workgroup_size: 256
    .name:           _Z6kernelI14exclusive_scanILN6hipcub18BlockScanAlgorithmE0EEN15benchmark_utils11custom_typeIffEELj256ELj1ELj100EEvPKT0_PS7_S7_
    .private_segment_fixed_size: 0
    .sgpr_count:     22
    .sgpr_spill_count: 0
    .symbol:         _Z6kernelI14exclusive_scanILN6hipcub18BlockScanAlgorithmE0EEN15benchmark_utils11custom_typeIffEELj256ELj1ELj100EEvPKT0_PS7_S7_.kd
    .uniform_work_group_size: 1
    .uses_dynamic_stack: false
    .vgpr_count:     12
    .vgpr_spill_count: 0
    .wavefront_size: 32
    .workgroup_processor_mode: 1
  - .args:
      - .address_space:  global
        .offset:         0
        .size:           8
        .value_kind:     global_buffer
      - .address_space:  global
        .offset:         8
        .size:           8
        .value_kind:     global_buffer
      - .offset:         16
        .size:           8
        .value_kind:     by_value
      - .offset:         24
        .size:           4
        .value_kind:     hidden_block_count_x
      - .offset:         28
        .size:           4
        .value_kind:     hidden_block_count_y
      - .offset:         32
        .size:           4
        .value_kind:     hidden_block_count_z
      - .offset:         36
        .size:           2
        .value_kind:     hidden_group_size_x
      - .offset:         38
        .size:           2
        .value_kind:     hidden_group_size_y
      - .offset:         40
        .size:           2
        .value_kind:     hidden_group_size_z
      - .offset:         42
        .size:           2
        .value_kind:     hidden_remainder_x
      - .offset:         44
        .size:           2
        .value_kind:     hidden_remainder_y
      - .offset:         46
        .size:           2
        .value_kind:     hidden_remainder_z
      - .offset:         64
        .size:           8
        .value_kind:     hidden_global_offset_x
      - .offset:         72
        .size:           8
        .value_kind:     hidden_global_offset_y
      - .offset:         80
        .size:           8
        .value_kind:     hidden_global_offset_z
      - .offset:         88
        .size:           2
        .value_kind:     hidden_grid_dims
    .group_segment_fixed_size: 64
    .kernarg_segment_align: 8
    .kernarg_segment_size: 280
    .language:       OpenCL C
    .language_version:
      - 2
      - 0
    .max_flat_workgroup_size: 256
    .name:           _Z6kernelI14exclusive_scanILN6hipcub18BlockScanAlgorithmE0EEN15benchmark_utils11custom_typeIffEELj256ELj4ELj100EEvPKT0_PS7_S7_
    .private_segment_fixed_size: 0
    .sgpr_count:     22
    .sgpr_spill_count: 0
    .symbol:         _Z6kernelI14exclusive_scanILN6hipcub18BlockScanAlgorithmE0EEN15benchmark_utils11custom_typeIffEELj256ELj4ELj100EEvPKT0_PS7_S7_.kd
    .uniform_work_group_size: 1
    .uses_dynamic_stack: false
    .vgpr_count:     18
    .vgpr_spill_count: 0
    .wavefront_size: 32
    .workgroup_processor_mode: 1
  - .args:
      - .address_space:  global
        .offset:         0
        .size:           8
        .value_kind:     global_buffer
      - .address_space:  global
        .offset:         8
        .size:           8
        .value_kind:     global_buffer
      - .offset:         16
        .size:           8
        .value_kind:     by_value
      - .offset:         24
        .size:           4
        .value_kind:     hidden_block_count_x
      - .offset:         28
        .size:           4
        .value_kind:     hidden_block_count_y
      - .offset:         32
        .size:           4
        .value_kind:     hidden_block_count_z
      - .offset:         36
        .size:           2
        .value_kind:     hidden_group_size_x
      - .offset:         38
        .size:           2
        .value_kind:     hidden_group_size_y
      - .offset:         40
        .size:           2
        .value_kind:     hidden_group_size_z
      - .offset:         42
        .size:           2
        .value_kind:     hidden_remainder_x
      - .offset:         44
        .size:           2
        .value_kind:     hidden_remainder_y
      - .offset:         46
        .size:           2
        .value_kind:     hidden_remainder_z
      - .offset:         64
        .size:           8
        .value_kind:     hidden_global_offset_x
      - .offset:         72
        .size:           8
        .value_kind:     hidden_global_offset_y
      - .offset:         80
        .size:           8
        .value_kind:     hidden_global_offset_z
      - .offset:         88
        .size:           2
        .value_kind:     hidden_grid_dims
    .group_segment_fixed_size: 64
    .kernarg_segment_align: 8
    .kernarg_segment_size: 280
    .language:       OpenCL C
    .language_version:
      - 2
      - 0
    .max_flat_workgroup_size: 256
    .name:           _Z6kernelI14exclusive_scanILN6hipcub18BlockScanAlgorithmE0EEN15benchmark_utils11custom_typeIffEELj256ELj8ELj100EEvPKT0_PS7_S7_
    .private_segment_fixed_size: 0
    .sgpr_count:     22
    .sgpr_spill_count: 0
    .symbol:         _Z6kernelI14exclusive_scanILN6hipcub18BlockScanAlgorithmE0EEN15benchmark_utils11custom_typeIffEELj256ELj8ELj100EEvPKT0_PS7_S7_.kd
    .uniform_work_group_size: 1
    .uses_dynamic_stack: false
    .vgpr_count:     26
    .vgpr_spill_count: 0
    .wavefront_size: 32
    .workgroup_processor_mode: 1
  - .args:
      - .address_space:  global
        .offset:         0
        .size:           8
        .value_kind:     global_buffer
      - .address_space:  global
        .offset:         8
        .size:           8
        .value_kind:     global_buffer
      - .offset:         16
        .size:           16
        .value_kind:     by_value
      - .offset:         32
        .size:           4
        .value_kind:     hidden_block_count_x
      - .offset:         36
        .size:           4
        .value_kind:     hidden_block_count_y
      - .offset:         40
        .size:           4
        .value_kind:     hidden_block_count_z
      - .offset:         44
        .size:           2
        .value_kind:     hidden_group_size_x
      - .offset:         46
        .size:           2
        .value_kind:     hidden_group_size_y
      - .offset:         48
        .size:           2
        .value_kind:     hidden_group_size_z
      - .offset:         50
        .size:           2
        .value_kind:     hidden_remainder_x
      - .offset:         52
        .size:           2
        .value_kind:     hidden_remainder_y
      - .offset:         54
        .size:           2
        .value_kind:     hidden_remainder_z
      - .offset:         72
        .size:           8
        .value_kind:     hidden_global_offset_x
      - .offset:         80
        .size:           8
        .value_kind:     hidden_global_offset_y
      - .offset:         88
        .size:           8
        .value_kind:     hidden_global_offset_z
      - .offset:         96
        .size:           2
        .value_kind:     hidden_grid_dims
    .group_segment_fixed_size: 128
    .kernarg_segment_align: 8
    .kernarg_segment_size: 288
    .language:       OpenCL C
    .language_version:
      - 2
      - 0
    .max_flat_workgroup_size: 256
    .name:           _Z6kernelI14exclusive_scanILN6hipcub18BlockScanAlgorithmE0EEN15benchmark_utils11custom_typeIddEELj256ELj1ELj100EEvPKT0_PS7_S7_
    .private_segment_fixed_size: 0
    .sgpr_count:     26
    .sgpr_spill_count: 0
    .symbol:         _Z6kernelI14exclusive_scanILN6hipcub18BlockScanAlgorithmE0EEN15benchmark_utils11custom_typeIddEELj256ELj1ELj100EEvPKT0_PS7_S7_.kd
    .uniform_work_group_size: 1
    .uses_dynamic_stack: false
    .vgpr_count:     18
    .vgpr_spill_count: 0
    .wavefront_size: 32
    .workgroup_processor_mode: 1
  - .args:
      - .address_space:  global
        .offset:         0
        .size:           8
        .value_kind:     global_buffer
      - .address_space:  global
        .offset:         8
        .size:           8
        .value_kind:     global_buffer
      - .offset:         16
        .size:           16
        .value_kind:     by_value
      - .offset:         32
        .size:           4
        .value_kind:     hidden_block_count_x
      - .offset:         36
        .size:           4
        .value_kind:     hidden_block_count_y
      - .offset:         40
        .size:           4
        .value_kind:     hidden_block_count_z
      - .offset:         44
        .size:           2
        .value_kind:     hidden_group_size_x
      - .offset:         46
        .size:           2
        .value_kind:     hidden_group_size_y
      - .offset:         48
        .size:           2
        .value_kind:     hidden_group_size_z
      - .offset:         50
        .size:           2
        .value_kind:     hidden_remainder_x
      - .offset:         52
        .size:           2
        .value_kind:     hidden_remainder_y
      - .offset:         54
        .size:           2
        .value_kind:     hidden_remainder_z
      - .offset:         72
        .size:           8
        .value_kind:     hidden_global_offset_x
      - .offset:         80
        .size:           8
        .value_kind:     hidden_global_offset_y
      - .offset:         88
        .size:           8
        .value_kind:     hidden_global_offset_z
      - .offset:         96
        .size:           2
        .value_kind:     hidden_grid_dims
    .group_segment_fixed_size: 128
    .kernarg_segment_align: 8
    .kernarg_segment_size: 288
    .language:       OpenCL C
    .language_version:
      - 2
      - 0
    .max_flat_workgroup_size: 256
    .name:           _Z6kernelI14exclusive_scanILN6hipcub18BlockScanAlgorithmE0EEN15benchmark_utils11custom_typeIddEELj256ELj4ELj100EEvPKT0_PS7_S7_
    .private_segment_fixed_size: 0
    .sgpr_count:     26
    .sgpr_spill_count: 0
    .symbol:         _Z6kernelI14exclusive_scanILN6hipcub18BlockScanAlgorithmE0EEN15benchmark_utils11custom_typeIddEELj256ELj4ELj100EEvPKT0_PS7_S7_.kd
    .uniform_work_group_size: 1
    .uses_dynamic_stack: false
    .vgpr_count:     30
    .vgpr_spill_count: 0
    .wavefront_size: 32
    .workgroup_processor_mode: 1
  - .args:
      - .address_space:  global
        .offset:         0
        .size:           8
        .value_kind:     global_buffer
      - .address_space:  global
        .offset:         8
        .size:           8
        .value_kind:     global_buffer
      - .offset:         16
        .size:           16
        .value_kind:     by_value
      - .offset:         32
        .size:           4
        .value_kind:     hidden_block_count_x
      - .offset:         36
        .size:           4
        .value_kind:     hidden_block_count_y
      - .offset:         40
        .size:           4
        .value_kind:     hidden_block_count_z
      - .offset:         44
        .size:           2
        .value_kind:     hidden_group_size_x
      - .offset:         46
        .size:           2
        .value_kind:     hidden_group_size_y
      - .offset:         48
        .size:           2
        .value_kind:     hidden_group_size_z
      - .offset:         50
        .size:           2
        .value_kind:     hidden_remainder_x
      - .offset:         52
        .size:           2
        .value_kind:     hidden_remainder_y
      - .offset:         54
        .size:           2
        .value_kind:     hidden_remainder_z
      - .offset:         72
        .size:           8
        .value_kind:     hidden_global_offset_x
      - .offset:         80
        .size:           8
        .value_kind:     hidden_global_offset_y
      - .offset:         88
        .size:           8
        .value_kind:     hidden_global_offset_z
      - .offset:         96
        .size:           2
        .value_kind:     hidden_grid_dims
    .group_segment_fixed_size: 128
    .kernarg_segment_align: 8
    .kernarg_segment_size: 288
    .language:       OpenCL C
    .language_version:
      - 2
      - 0
    .max_flat_workgroup_size: 256
    .name:           _Z6kernelI14exclusive_scanILN6hipcub18BlockScanAlgorithmE0EEN15benchmark_utils11custom_typeIddEELj256ELj8ELj100EEvPKT0_PS7_S7_
    .private_segment_fixed_size: 0
    .sgpr_count:     26
    .sgpr_spill_count: 0
    .symbol:         _Z6kernelI14exclusive_scanILN6hipcub18BlockScanAlgorithmE0EEN15benchmark_utils11custom_typeIddEELj256ELj8ELj100EEvPKT0_PS7_S7_.kd
    .uniform_work_group_size: 1
    .uses_dynamic_stack: false
    .vgpr_count:     51
    .vgpr_spill_count: 0
    .wavefront_size: 32
    .workgroup_processor_mode: 1
amdhsa.target:   amdgcn-amd-amdhsa--gfx1100
amdhsa.version:
  - 1
  - 2
...

	.end_amdgpu_metadata
